;; amdgpu-corpus repo=pytorch/pytorch kind=compiled arch=gfx1100 opt=O3
	.text
	.amdgcn_target "amdgcn-amd-amdhsa--gfx1100"
	.amdhsa_code_object_version 6
	.section	.text._ZN2at6native12_GLOBAL__N_125multi_tensor_apply_kernelINS1_18TensorListMetadataILi4EEENS1_24PointwiseOpScalarFunctorIhLi4ELi3ELi3EEEJSt10multipliesIhEhEEEvT_T0_DpT1_,"axG",@progbits,_ZN2at6native12_GLOBAL__N_125multi_tensor_apply_kernelINS1_18TensorListMetadataILi4EEENS1_24PointwiseOpScalarFunctorIhLi4ELi3ELi3EEEJSt10multipliesIhEhEEEvT_T0_DpT1_,comdat
	.globl	_ZN2at6native12_GLOBAL__N_125multi_tensor_apply_kernelINS1_18TensorListMetadataILi4EEENS1_24PointwiseOpScalarFunctorIhLi4ELi3ELi3EEEJSt10multipliesIhEhEEEvT_T0_DpT1_ ; -- Begin function _ZN2at6native12_GLOBAL__N_125multi_tensor_apply_kernelINS1_18TensorListMetadataILi4EEENS1_24PointwiseOpScalarFunctorIhLi4ELi3ELi3EEEJSt10multipliesIhEhEEEvT_T0_DpT1_
	.p2align	8
	.type	_ZN2at6native12_GLOBAL__N_125multi_tensor_apply_kernelINS1_18TensorListMetadataILi4EEENS1_24PointwiseOpScalarFunctorIhLi4ELi3ELi3EEEJSt10multipliesIhEhEEEvT_T0_DpT1_,@function
_ZN2at6native12_GLOBAL__N_125multi_tensor_apply_kernelINS1_18TensorListMetadataILi4EEENS1_24PointwiseOpScalarFunctorIhLi4ELi3ELi3EEEJSt10multipliesIhEhEEEvT_T0_DpT1_: ; @_ZN2at6native12_GLOBAL__N_125multi_tensor_apply_kernelINS1_18TensorListMetadataILi4EEENS1_24PointwiseOpScalarFunctorIhLi4ELi3ELi3EEEJSt10multipliesIhEhEEEvT_T0_DpT1_
; %bb.0:
	v_mov_b32_e32 v1, s15
	s_add_u32 s2, s0, s15
	s_mul_hi_u32 s3, s15, 3
	s_mul_i32 s15, s15, 3
	s_addc_u32 s4, s1, 0
	global_load_u8 v1, v1, s[0:1] offset:1440
	s_load_b32 s24, s[0:1], 0xbe8
	s_add_u32 s2, s2, s15
	s_addc_u32 s3, s4, s3
	s_mov_b32 s11, 0
	s_load_b32 s6, s[2:3], 0x6e0
	s_waitcnt lgkmcnt(0)
	s_ashr_i32 s7, s6, 31
	s_delay_alu instid0(SALU_CYCLE_1) | instskip(SKIP_2) | instid1(VALU_DEP_1)
	s_lshl_b64 s[16:17], s[6:7], 16
	s_waitcnt vmcnt(0)
	v_readfirstlane_b32 s2, v1
	s_lshl_b32 s8, s2, 3
	s_clause 0x4
	s_load_b64 s[2:3], s[0:1], s8 offset:0x0
	s_load_b64 s[4:5], s[0:1], s8 offset:0x120
	;; [unrolled: 1-line block ×5, first 2 shown]
	s_waitcnt lgkmcnt(0)
	s_add_u32 s6, s2, s16
	s_addc_u32 s7, s3, s17
	s_add_u32 s18, s4, s16
	s_addc_u32 s19, s5, s17
	s_and_b32 s10, s18, 3
	s_delay_alu instid0(SALU_CYCLE_1)
	s_cmp_eq_u64 s[10:11], 0
	s_cselect_b32 s8, -1, 0
	s_add_u32 s20, s12, s16
	s_addc_u32 s21, s13, s17
	s_add_u32 s22, s14, s16
	s_addc_u32 s23, s15, s17
	s_or_b32 s9, s22, s20
	s_delay_alu instid0(SALU_CYCLE_1) | instskip(NEXT) | instid1(SALU_CYCLE_1)
	s_and_b32 s9, s9, 3
	s_cmp_eq_u32 s9, 0
	s_cselect_b32 s9, -1, 0
	s_delay_alu instid0(SALU_CYCLE_1) | instskip(SKIP_3) | instid1(SALU_CYCLE_1)
	s_and_b32 s25, s9, s8
	s_sub_u32 s8, s26, s16
	s_subb_u32 s9, s27, s17
	s_or_b64 s[26:27], s[26:27], s[6:7]
	s_and_b32 s10, s26, 3
	s_delay_alu instid0(SALU_CYCLE_1) | instskip(SKIP_1) | instid1(SALU_CYCLE_1)
	s_cmp_eq_u64 s[10:11], 0
	s_cselect_b32 s10, -1, 0
	s_and_b32 s10, s25, s10
	s_delay_alu instid0(SALU_CYCLE_1)
	s_and_b32 vcc_lo, exec_lo, s10
	s_mov_b32 s10, -1
	s_cbranch_vccnz .LBB0_29
; %bb.1:
	v_cmp_lt_i64_e64 s10, s[8:9], 1
	s_delay_alu instid0(VALU_DEP_1)
	s_and_b32 vcc_lo, exec_lo, s10
	s_cbranch_vccnz .LBB0_28
; %bb.2:
	s_load_b32 s10, s[0:1], 0xbfc
	v_add_co_u32 v27, s11, s16, v0
	s_delay_alu instid0(VALU_DEP_1) | instskip(SKIP_1) | instid1(VALU_DEP_3)
	v_add_co_ci_u32_e64 v28, null, s17, 0, s11
	v_cmp_gt_u64_e64 s11, 0x10000, s[8:9]
	v_add_co_u32 v1, vcc_lo, s2, v27
	s_delay_alu instid0(VALU_DEP_3)
	v_add_co_ci_u32_e32 v2, vcc_lo, s3, v28, vcc_lo
	v_add_co_u32 v3, vcc_lo, s4, v27
	v_add_co_ci_u32_e32 v4, vcc_lo, s5, v28, vcc_lo
	v_add_co_u32 v5, vcc_lo, s12, v27
	;; [unrolled: 2-line block ×3, first 2 shown]
	s_waitcnt lgkmcnt(0)
	s_and_b32 s26, s10, 0xffff
	s_and_b32 s10, s11, exec_lo
	s_mul_i32 s28, s26, 3
	s_cselect_b32 s11, s9, 0
	s_cselect_b32 s10, s8, 0x10000
	s_lshl_b32 s27, s26, 1
	s_lshl_b32 s25, s26, 2
	s_add_u32 s29, s16, s28
	s_addc_u32 s30, s17, 0
	v_add_co_u32 v15, s29, s29, v0
	s_delay_alu instid0(VALU_DEP_1) | instskip(SKIP_1) | instid1(VALU_DEP_3)
	v_add_co_ci_u32_e64 v16, null, s30, 0, s29
	v_add_co_ci_u32_e32 v8, vcc_lo, s15, v28, vcc_lo
	v_add_co_u32 v9, vcc_lo, s2, v15
	s_delay_alu instid0(VALU_DEP_3)
	v_add_co_ci_u32_e32 v10, vcc_lo, s3, v16, vcc_lo
	v_add_co_u32 v11, vcc_lo, s4, v15
	v_add_co_ci_u32_e32 v12, vcc_lo, s5, v16, vcc_lo
	s_add_u32 s16, s16, s27
	v_add_co_u32 v13, vcc_lo, s12, v15
	s_addc_u32 s17, s17, 0
	v_add_co_u32 v25, s16, s16, v0
	v_add_co_ci_u32_e32 v14, vcc_lo, s13, v16, vcc_lo
	v_add_co_u32 v15, vcc_lo, s14, v15
	v_add_co_ci_u32_e64 v26, null, s17, 0, s16
	v_add_co_ci_u32_e32 v16, vcc_lo, s15, v16, vcc_lo
	v_add_co_u32 v19, vcc_lo, s2, v25
	s_delay_alu instid0(VALU_DEP_3)
	v_add_co_ci_u32_e32 v20, vcc_lo, s3, v26, vcc_lo
	v_add_co_u32 v21, vcc_lo, s4, v25
	v_add_co_ci_u32_e32 v22, vcc_lo, s5, v26, vcc_lo
	v_add_co_u32 v23, vcc_lo, s12, v25
	;; [unrolled: 2-line block ×4, first 2 shown]
	v_add_co_ci_u32_e32 v36, vcc_lo, 0, v28, vcc_lo
	v_add_co_u32 v17, s16, s28, v0
	s_delay_alu instid0(VALU_DEP_3) | instskip(NEXT) | instid1(VALU_DEP_3)
	v_add_co_u32 v29, vcc_lo, s2, v35
	v_add_co_ci_u32_e32 v30, vcc_lo, s3, v36, vcc_lo
	v_add_co_u32 v31, vcc_lo, s4, v35
	v_add_co_ci_u32_e32 v32, vcc_lo, s5, v36, vcc_lo
	;; [unrolled: 2-line block ×3, first 2 shown]
	v_add_co_ci_u32_e64 v18, null, 0, 0, s16
	v_add_co_u32 v27, s16, s27, v0
	v_add_co_u32 v35, vcc_lo, s14, v35
	v_add_co_u32 v37, s2, v0, s26
	v_add_co_ci_u32_e64 v28, null, 0, 0, s16
	v_add_co_ci_u32_e32 v36, vcc_lo, s15, v36, vcc_lo
	v_add_co_ci_u32_e64 v38, null, 0, 0, s2
	s_mov_b64 s[12:13], 0
	s_lshr_b32 s14, s24, 16
	s_branch .LBB0_4
.LBB0_3:                                ;   in Loop: Header=BB0_4 Depth=1
	s_or_b32 exec_lo, exec_lo, s2
	s_add_u32 s12, s12, s25
	s_addc_u32 s13, s13, 0
	s_delay_alu instid0(SALU_CYCLE_1) | instskip(SKIP_1) | instid1(VALU_DEP_1)
	v_cmp_lt_i64_e64 s2, s[12:13], s[8:9]
	v_cmp_gt_u64_e64 s3, 0x10000, s[12:13]
	s_and_b32 s2, s2, s3
	s_delay_alu instid0(SALU_CYCLE_1)
	s_and_b32 vcc_lo, exec_lo, s2
	s_cbranch_vccz .LBB0_28
.LBB0_4:                                ; =>This Inner Loop Header: Depth=1
	s_waitcnt vmcnt(1)
	v_add_co_u32 v39, s2, v0, s12
	s_waitcnt vmcnt(0)
	v_add_co_ci_u32_e64 v40, null, 0, s13, s2
	s_delay_alu instid0(VALU_DEP_1)
	v_cmp_gt_u64_e32 vcc_lo, s[10:11], v[39:40]
	v_dual_mov_b32 v39, 0 :: v_dual_mov_b32 v40, 0
	s_and_saveexec_b32 s3, vcc_lo
	s_cbranch_execz .LBB0_6
; %bb.5:                                ;   in Loop: Header=BB0_4 Depth=1
	v_add_co_u32 v39, s2, v1, s12
	s_delay_alu instid0(VALU_DEP_1) | instskip(SKIP_1) | instid1(VALU_DEP_1)
	v_add_co_ci_u32_e64 v40, s2, s13, v2, s2
	v_add_co_u32 v41, s2, v3, s12
	v_add_co_ci_u32_e64 v42, s2, s13, v4, s2
	global_load_u8 v39, v[39:40], off
	global_load_u8 v40, v[41:42], off
.LBB0_6:                                ;   in Loop: Header=BB0_4 Depth=1
	s_or_b32 exec_lo, exec_lo, s3
	v_dual_mov_b32 v41, 0 :: v_dual_mov_b32 v42, 0
	s_and_saveexec_b32 s3, vcc_lo
	s_cbranch_execz .LBB0_8
; %bb.7:                                ;   in Loop: Header=BB0_4 Depth=1
	v_add_co_u32 v42, s2, v5, s12
	s_delay_alu instid0(VALU_DEP_1)
	v_add_co_ci_u32_e64 v43, s2, s13, v6, s2
	global_load_u8 v42, v[42:43], off
.LBB0_8:                                ;   in Loop: Header=BB0_4 Depth=1
	s_or_b32 exec_lo, exec_lo, s3
	v_add_co_u32 v43, s2, v37, s12
	s_delay_alu instid0(VALU_DEP_1) | instskip(NEXT) | instid1(VALU_DEP_1)
	v_add_co_ci_u32_e64 v44, s2, s13, v38, s2
	v_cmp_gt_u64_e64 s2, s[10:11], v[43:44]
	v_mov_b32_e32 v43, 0
	s_delay_alu instid0(VALU_DEP_2)
	s_and_saveexec_b32 s4, s2
	s_cbranch_execz .LBB0_10
; %bb.9:                                ;   in Loop: Header=BB0_4 Depth=1
	v_add_co_u32 v43, s3, v29, s12
	s_delay_alu instid0(VALU_DEP_1) | instskip(SKIP_1) | instid1(VALU_DEP_1)
	v_add_co_ci_u32_e64 v44, s3, s13, v30, s3
	v_add_co_u32 v45, s3, v31, s12
	v_add_co_ci_u32_e64 v46, s3, s13, v32, s3
	global_load_u8 v41, v[43:44], off
	global_load_u8 v43, v[45:46], off
.LBB0_10:                               ;   in Loop: Header=BB0_4 Depth=1
	s_or_b32 exec_lo, exec_lo, s4
	v_dual_mov_b32 v44, 0 :: v_dual_mov_b32 v45, 0
	s_and_saveexec_b32 s4, s2
	s_cbranch_execz .LBB0_12
; %bb.11:                               ;   in Loop: Header=BB0_4 Depth=1
	v_add_co_u32 v45, s3, v33, s12
	s_delay_alu instid0(VALU_DEP_1)
	v_add_co_ci_u32_e64 v46, s3, s13, v34, s3
	global_load_u8 v45, v[45:46], off
.LBB0_12:                               ;   in Loop: Header=BB0_4 Depth=1
	s_or_b32 exec_lo, exec_lo, s4
	v_add_co_u32 v46, s3, v27, s12
	s_delay_alu instid0(VALU_DEP_1) | instskip(NEXT) | instid1(VALU_DEP_1)
	v_add_co_ci_u32_e64 v47, s3, s13, v28, s3
	v_cmp_gt_u64_e64 s3, s[10:11], v[46:47]
	v_mov_b32_e32 v46, 0
	s_delay_alu instid0(VALU_DEP_2)
	s_and_saveexec_b32 s5, s3
	s_cbranch_execz .LBB0_14
; %bb.13:                               ;   in Loop: Header=BB0_4 Depth=1
	v_add_co_u32 v46, s4, v19, s12
	s_delay_alu instid0(VALU_DEP_1) | instskip(SKIP_1) | instid1(VALU_DEP_1)
	v_add_co_ci_u32_e64 v47, s4, s13, v20, s4
	v_add_co_u32 v48, s4, v21, s12
	v_add_co_ci_u32_e64 v49, s4, s13, v22, s4
	global_load_u8 v44, v[46:47], off
	global_load_u8 v46, v[48:49], off
.LBB0_14:                               ;   in Loop: Header=BB0_4 Depth=1
	s_or_b32 exec_lo, exec_lo, s5
	v_dual_mov_b32 v47, 0 :: v_dual_mov_b32 v48, 0
	s_and_saveexec_b32 s5, s3
	s_cbranch_execz .LBB0_16
; %bb.15:                               ;   in Loop: Header=BB0_4 Depth=1
	v_add_co_u32 v48, s4, v23, s12
	s_delay_alu instid0(VALU_DEP_1)
	v_add_co_ci_u32_e64 v49, s4, s13, v24, s4
	global_load_u8 v48, v[48:49], off
.LBB0_16:                               ;   in Loop: Header=BB0_4 Depth=1
	s_or_b32 exec_lo, exec_lo, s5
	v_add_co_u32 v49, s4, v17, s12
	s_delay_alu instid0(VALU_DEP_1) | instskip(NEXT) | instid1(VALU_DEP_1)
	v_add_co_ci_u32_e64 v50, s4, s13, v18, s4
	v_cmp_gt_u64_e64 s4, s[10:11], v[49:50]
	v_mov_b32_e32 v49, 0
	s_delay_alu instid0(VALU_DEP_2)
	s_and_saveexec_b32 s15, s4
	s_cbranch_execnz .LBB0_22
; %bb.17:                               ;   in Loop: Header=BB0_4 Depth=1
	s_or_b32 exec_lo, exec_lo, s15
	v_mov_b32_e32 v50, 0
	s_and_saveexec_b32 s15, s4
	s_cbranch_execnz .LBB0_23
.LBB0_18:                               ;   in Loop: Header=BB0_4 Depth=1
	s_or_b32 exec_lo, exec_lo, s15
	s_and_saveexec_b32 s5, vcc_lo
	s_cbranch_execnz .LBB0_24
.LBB0_19:                               ;   in Loop: Header=BB0_4 Depth=1
	s_or_b32 exec_lo, exec_lo, s5
	s_and_saveexec_b32 s5, s2
	s_cbranch_execnz .LBB0_25
.LBB0_20:                               ;   in Loop: Header=BB0_4 Depth=1
	s_or_b32 exec_lo, exec_lo, s5
	s_and_saveexec_b32 s2, s3
	s_cbranch_execnz .LBB0_26
.LBB0_21:                               ;   in Loop: Header=BB0_4 Depth=1
	s_or_b32 exec_lo, exec_lo, s2
	s_and_saveexec_b32 s2, s4
	s_cbranch_execz .LBB0_3
	s_branch .LBB0_27
.LBB0_22:                               ;   in Loop: Header=BB0_4 Depth=1
	v_add_co_u32 v49, s5, v9, s12
	s_delay_alu instid0(VALU_DEP_1) | instskip(SKIP_1) | instid1(VALU_DEP_1)
	v_add_co_ci_u32_e64 v50, s5, s13, v10, s5
	v_add_co_u32 v51, s5, v11, s12
	v_add_co_ci_u32_e64 v52, s5, s13, v12, s5
	global_load_u8 v47, v[49:50], off
	global_load_u8 v49, v[51:52], off
	s_or_b32 exec_lo, exec_lo, s15
	v_mov_b32_e32 v50, 0
	s_and_saveexec_b32 s15, s4
	s_cbranch_execz .LBB0_18
.LBB0_23:                               ;   in Loop: Header=BB0_4 Depth=1
	v_add_co_u32 v50, s5, v13, s12
	s_delay_alu instid0(VALU_DEP_1)
	v_add_co_ci_u32_e64 v51, s5, s13, v14, s5
	global_load_u8 v50, v[50:51], off
	s_or_b32 exec_lo, exec_lo, s15
	s_and_saveexec_b32 s5, vcc_lo
	s_cbranch_execz .LBB0_19
.LBB0_24:                               ;   in Loop: Header=BB0_4 Depth=1
	s_waitcnt vmcnt(0)
	v_mul_lo_u16 v40, v40, s14
	s_delay_alu instid0(VALU_DEP_1)
	v_mad_u16 v42, v40, v42, v39
	v_add_co_u32 v39, vcc_lo, v7, s12
	v_add_co_ci_u32_e32 v40, vcc_lo, s13, v8, vcc_lo
	global_store_b8 v[39:40], v42, off
	s_or_b32 exec_lo, exec_lo, s5
	s_and_saveexec_b32 s5, s2
	s_cbranch_execz .LBB0_20
.LBB0_25:                               ;   in Loop: Header=BB0_4 Depth=1
	s_waitcnt vmcnt(0)
	v_mul_lo_u16 v39, v43, s14
	s_delay_alu instid0(VALU_DEP_1)
	v_mad_u16 v41, v39, v45, v41
	v_add_co_u32 v39, vcc_lo, v35, s12
	v_add_co_ci_u32_e32 v40, vcc_lo, s13, v36, vcc_lo
	global_store_b8 v[39:40], v41, off
	s_or_b32 exec_lo, exec_lo, s5
	s_and_saveexec_b32 s2, s3
	s_cbranch_execz .LBB0_21
.LBB0_26:                               ;   in Loop: Header=BB0_4 Depth=1
	s_waitcnt vmcnt(0)
	v_mul_lo_u16 v39, v46, s14
	s_delay_alu instid0(VALU_DEP_1)
	v_mad_u16 v41, v39, v48, v44
	v_add_co_u32 v39, vcc_lo, v25, s12
	v_add_co_ci_u32_e32 v40, vcc_lo, s13, v26, vcc_lo
	global_store_b8 v[39:40], v41, off
	s_or_b32 exec_lo, exec_lo, s2
	s_and_saveexec_b32 s2, s4
	s_cbranch_execz .LBB0_3
.LBB0_27:                               ;   in Loop: Header=BB0_4 Depth=1
	s_waitcnt vmcnt(0)
	v_mul_lo_u16 v39, v49, s14
	s_delay_alu instid0(VALU_DEP_1)
	v_mad_u16 v41, v39, v50, v47
	v_add_co_u32 v39, vcc_lo, v15, s12
	v_add_co_ci_u32_e32 v40, vcc_lo, s13, v16, vcc_lo
	global_store_b8 v[39:40], v41, off
	s_branch .LBB0_3
.LBB0_28:
	s_mov_b32 s10, 0
.LBB0_29:
	s_delay_alu instid0(SALU_CYCLE_1)
	s_and_not1_b32 vcc_lo, exec_lo, s10
	s_cbranch_vccnz .LBB0_33
; %bb.30:
	v_dual_mov_b32 v1, 0 :: v_dual_lshlrev_b32 v0, 2, v0
	s_mov_b32 s2, exec_lo
	s_delay_alu instid0(VALU_DEP_1)
	v_cmpx_gt_i64_e64 s[8:9], v[0:1]
	s_cbranch_execz .LBB0_33
; %bb.31:
	s_load_b32 s0, s[0:1], 0xbfc
	s_mov_b32 s1, 0
	s_lshr_b32 s3, s24, 16
	s_waitcnt lgkmcnt(0)
	s_and_b32 s0, s0, 0xffff
	s_delay_alu instid0(SALU_CYCLE_1)
	s_lshl_b32 s2, s0, 2
.LBB0_32:                               ; =>This Inner Loop Header: Depth=1
	v_add_co_u32 v2, vcc_lo, s6, v0
	v_add_co_ci_u32_e32 v3, vcc_lo, s7, v1, vcc_lo
	v_add_co_u32 v4, vcc_lo, s18, v0
	v_add_co_ci_u32_e32 v5, vcc_lo, s19, v1, vcc_lo
	;; [unrolled: 2-line block ×3, first 2 shown]
	global_load_b32 v4, v[4:5], off
	global_load_b32 v5, v[2:3], off
	;; [unrolled: 1-line block ×3, first 2 shown]
	v_add_co_u32 v2, vcc_lo, s22, v0
	v_add_co_ci_u32_e32 v3, vcc_lo, s23, v1, vcc_lo
	v_add_co_u32 v0, vcc_lo, s2, v0
	v_add_co_ci_u32_e32 v1, vcc_lo, 0, v1, vcc_lo
	s_delay_alu instid0(VALU_DEP_1) | instskip(SKIP_1) | instid1(VALU_DEP_1)
	v_cmp_le_i64_e32 vcc_lo, s[8:9], v[0:1]
	v_cmp_lt_u64_e64 s0, 0xffff, v[0:1]
	s_or_b32 s0, vcc_lo, s0
	s_delay_alu instid0(SALU_CYCLE_1) | instskip(NEXT) | instid1(SALU_CYCLE_1)
	s_and_b32 s0, exec_lo, s0
	s_or_b32 s1, s0, s1
	s_waitcnt vmcnt(2)
	v_lshrrev_b32_e32 v9, 8, v4
	v_lshrrev_b32_e32 v12, 16, v4
	v_mul_lo_u16 v7, v4, s3
	s_waitcnt vmcnt(1)
	v_lshrrev_b32_e32 v8, 8, v5
	s_waitcnt vmcnt(0)
	v_lshrrev_b32_e32 v10, 8, v6
	v_lshrrev_b32_e32 v11, 16, v5
	;; [unrolled: 1-line block ×4, first 2 shown]
	v_mul_lo_u16 v9, v9, s3
	v_mul_lo_u16 v12, v12, s3
	v_lshrrev_b32_e32 v14, 24, v5
	v_lshrrev_b32_e32 v15, 24, v6
	v_mul_lo_u16 v4, v4, s3
	v_mad_u16 v8, v9, v10, v8
	v_mad_u16 v9, v12, v13, v11
	;; [unrolled: 1-line block ×3, first 2 shown]
	s_delay_alu instid0(VALU_DEP_4) | instskip(NEXT) | instid1(VALU_DEP_4)
	v_mad_u16 v4, v4, v15, v14
	v_and_b32_e32 v6, 0xff, v8
	s_delay_alu instid0(VALU_DEP_4) | instskip(NEXT) | instid1(VALU_DEP_3)
	v_and_b32_e32 v7, 0xff, v9
	v_lshlrev_b32_e32 v4, 24, v4
	s_delay_alu instid0(VALU_DEP_3) | instskip(NEXT) | instid1(VALU_DEP_3)
	v_perm_b32 v5, v6, v5, 0x6050400
	v_lshlrev_b32_e32 v6, 16, v7
	s_delay_alu instid0(VALU_DEP_1)
	v_or3_b32 v4, v5, v6, v4
	global_store_b32 v[2:3], v4, off
	s_and_not1_b32 exec_lo, exec_lo, s1
	s_cbranch_execnz .LBB0_32
.LBB0_33:
	s_nop 0
	s_sendmsg sendmsg(MSG_DEALLOC_VGPRS)
	s_endpgm
	.section	.rodata,"a",@progbits
	.p2align	6, 0x0
	.amdhsa_kernel _ZN2at6native12_GLOBAL__N_125multi_tensor_apply_kernelINS1_18TensorListMetadataILi4EEENS1_24PointwiseOpScalarFunctorIhLi4ELi3ELi3EEEJSt10multipliesIhEhEEEvT_T0_DpT1_
		.amdhsa_group_segment_fixed_size 0
		.amdhsa_private_segment_fixed_size 0
		.amdhsa_kernarg_size 3312
		.amdhsa_user_sgpr_count 15
		.amdhsa_user_sgpr_dispatch_ptr 0
		.amdhsa_user_sgpr_queue_ptr 0
		.amdhsa_user_sgpr_kernarg_segment_ptr 1
		.amdhsa_user_sgpr_dispatch_id 0
		.amdhsa_user_sgpr_private_segment_size 0
		.amdhsa_wavefront_size32 1
		.amdhsa_uses_dynamic_stack 0
		.amdhsa_enable_private_segment 0
		.amdhsa_system_sgpr_workgroup_id_x 1
		.amdhsa_system_sgpr_workgroup_id_y 0
		.amdhsa_system_sgpr_workgroup_id_z 0
		.amdhsa_system_sgpr_workgroup_info 0
		.amdhsa_system_vgpr_workitem_id 0
		.amdhsa_next_free_vgpr 53
		.amdhsa_next_free_sgpr 31
		.amdhsa_reserve_vcc 1
		.amdhsa_float_round_mode_32 0
		.amdhsa_float_round_mode_16_64 0
		.amdhsa_float_denorm_mode_32 3
		.amdhsa_float_denorm_mode_16_64 3
		.amdhsa_dx10_clamp 1
		.amdhsa_ieee_mode 1
		.amdhsa_fp16_overflow 0
		.amdhsa_workgroup_processor_mode 1
		.amdhsa_memory_ordered 1
		.amdhsa_forward_progress 0
		.amdhsa_shared_vgpr_count 0
		.amdhsa_exception_fp_ieee_invalid_op 0
		.amdhsa_exception_fp_denorm_src 0
		.amdhsa_exception_fp_ieee_div_zero 0
		.amdhsa_exception_fp_ieee_overflow 0
		.amdhsa_exception_fp_ieee_underflow 0
		.amdhsa_exception_fp_ieee_inexact 0
		.amdhsa_exception_int_div_zero 0
	.end_amdhsa_kernel
	.section	.text._ZN2at6native12_GLOBAL__N_125multi_tensor_apply_kernelINS1_18TensorListMetadataILi4EEENS1_24PointwiseOpScalarFunctorIhLi4ELi3ELi3EEEJSt10multipliesIhEhEEEvT_T0_DpT1_,"axG",@progbits,_ZN2at6native12_GLOBAL__N_125multi_tensor_apply_kernelINS1_18TensorListMetadataILi4EEENS1_24PointwiseOpScalarFunctorIhLi4ELi3ELi3EEEJSt10multipliesIhEhEEEvT_T0_DpT1_,comdat
.Lfunc_end0:
	.size	_ZN2at6native12_GLOBAL__N_125multi_tensor_apply_kernelINS1_18TensorListMetadataILi4EEENS1_24PointwiseOpScalarFunctorIhLi4ELi3ELi3EEEJSt10multipliesIhEhEEEvT_T0_DpT1_, .Lfunc_end0-_ZN2at6native12_GLOBAL__N_125multi_tensor_apply_kernelINS1_18TensorListMetadataILi4EEENS1_24PointwiseOpScalarFunctorIhLi4ELi3ELi3EEEJSt10multipliesIhEhEEEvT_T0_DpT1_
                                        ; -- End function
	.section	.AMDGPU.csdata,"",@progbits
; Kernel info:
; codeLenInByte = 2024
; NumSgprs: 33
; NumVgprs: 53
; ScratchSize: 0
; MemoryBound: 0
; FloatMode: 240
; IeeeMode: 1
; LDSByteSize: 0 bytes/workgroup (compile time only)
; SGPRBlocks: 4
; VGPRBlocks: 6
; NumSGPRsForWavesPerEU: 33
; NumVGPRsForWavesPerEU: 53
; Occupancy: 16
; WaveLimiterHint : 0
; COMPUTE_PGM_RSRC2:SCRATCH_EN: 0
; COMPUTE_PGM_RSRC2:USER_SGPR: 15
; COMPUTE_PGM_RSRC2:TRAP_HANDLER: 0
; COMPUTE_PGM_RSRC2:TGID_X_EN: 1
; COMPUTE_PGM_RSRC2:TGID_Y_EN: 0
; COMPUTE_PGM_RSRC2:TGID_Z_EN: 0
; COMPUTE_PGM_RSRC2:TIDIG_COMP_CNT: 0
	.section	.text._ZN2at6native12_GLOBAL__N_125multi_tensor_apply_kernelINS1_18TensorListMetadataILi4EEENS1_24PointwiseOpScalarFunctorIaLi4ELi3ELi3EEEJSt10multipliesIaEaEEEvT_T0_DpT1_,"axG",@progbits,_ZN2at6native12_GLOBAL__N_125multi_tensor_apply_kernelINS1_18TensorListMetadataILi4EEENS1_24PointwiseOpScalarFunctorIaLi4ELi3ELi3EEEJSt10multipliesIaEaEEEvT_T0_DpT1_,comdat
	.globl	_ZN2at6native12_GLOBAL__N_125multi_tensor_apply_kernelINS1_18TensorListMetadataILi4EEENS1_24PointwiseOpScalarFunctorIaLi4ELi3ELi3EEEJSt10multipliesIaEaEEEvT_T0_DpT1_ ; -- Begin function _ZN2at6native12_GLOBAL__N_125multi_tensor_apply_kernelINS1_18TensorListMetadataILi4EEENS1_24PointwiseOpScalarFunctorIaLi4ELi3ELi3EEEJSt10multipliesIaEaEEEvT_T0_DpT1_
	.p2align	8
	.type	_ZN2at6native12_GLOBAL__N_125multi_tensor_apply_kernelINS1_18TensorListMetadataILi4EEENS1_24PointwiseOpScalarFunctorIaLi4ELi3ELi3EEEJSt10multipliesIaEaEEEvT_T0_DpT1_,@function
_ZN2at6native12_GLOBAL__N_125multi_tensor_apply_kernelINS1_18TensorListMetadataILi4EEENS1_24PointwiseOpScalarFunctorIaLi4ELi3ELi3EEEJSt10multipliesIaEaEEEvT_T0_DpT1_: ; @_ZN2at6native12_GLOBAL__N_125multi_tensor_apply_kernelINS1_18TensorListMetadataILi4EEENS1_24PointwiseOpScalarFunctorIaLi4ELi3ELi3EEEJSt10multipliesIaEaEEEvT_T0_DpT1_
; %bb.0:
	v_mov_b32_e32 v1, s15
	s_add_u32 s2, s0, s15
	s_mul_hi_u32 s3, s15, 3
	s_mul_i32 s15, s15, 3
	s_addc_u32 s4, s1, 0
	global_load_u8 v1, v1, s[0:1] offset:1440
	s_load_b32 s24, s[0:1], 0xbe8
	s_add_u32 s2, s2, s15
	s_addc_u32 s3, s4, s3
	s_mov_b32 s11, 0
	s_load_b32 s6, s[2:3], 0x6e0
	s_waitcnt lgkmcnt(0)
	s_ashr_i32 s7, s6, 31
	s_delay_alu instid0(SALU_CYCLE_1) | instskip(SKIP_2) | instid1(VALU_DEP_1)
	s_lshl_b64 s[16:17], s[6:7], 16
	s_waitcnt vmcnt(0)
	v_readfirstlane_b32 s2, v1
	s_lshl_b32 s8, s2, 3
	s_clause 0x4
	s_load_b64 s[2:3], s[0:1], s8 offset:0x0
	s_load_b64 s[4:5], s[0:1], s8 offset:0x120
	;; [unrolled: 1-line block ×5, first 2 shown]
	s_waitcnt lgkmcnt(0)
	s_add_u32 s6, s2, s16
	s_addc_u32 s7, s3, s17
	s_add_u32 s18, s4, s16
	s_addc_u32 s19, s5, s17
	s_and_b32 s10, s18, 3
	s_delay_alu instid0(SALU_CYCLE_1)
	s_cmp_eq_u64 s[10:11], 0
	s_cselect_b32 s8, -1, 0
	s_add_u32 s20, s12, s16
	s_addc_u32 s21, s13, s17
	s_add_u32 s22, s14, s16
	s_addc_u32 s23, s15, s17
	s_or_b32 s9, s22, s20
	s_delay_alu instid0(SALU_CYCLE_1) | instskip(NEXT) | instid1(SALU_CYCLE_1)
	s_and_b32 s9, s9, 3
	s_cmp_eq_u32 s9, 0
	s_cselect_b32 s9, -1, 0
	s_delay_alu instid0(SALU_CYCLE_1) | instskip(SKIP_3) | instid1(SALU_CYCLE_1)
	s_and_b32 s25, s9, s8
	s_sub_u32 s8, s26, s16
	s_subb_u32 s9, s27, s17
	s_or_b64 s[26:27], s[26:27], s[6:7]
	s_and_b32 s10, s26, 3
	s_delay_alu instid0(SALU_CYCLE_1) | instskip(SKIP_1) | instid1(SALU_CYCLE_1)
	s_cmp_eq_u64 s[10:11], 0
	s_cselect_b32 s10, -1, 0
	s_and_b32 s10, s25, s10
	s_delay_alu instid0(SALU_CYCLE_1)
	s_and_b32 vcc_lo, exec_lo, s10
	s_mov_b32 s10, -1
	s_cbranch_vccnz .LBB1_29
; %bb.1:
	v_cmp_lt_i64_e64 s10, s[8:9], 1
	s_delay_alu instid0(VALU_DEP_1)
	s_and_b32 vcc_lo, exec_lo, s10
	s_cbranch_vccnz .LBB1_28
; %bb.2:
	s_load_b32 s10, s[0:1], 0xbfc
	v_add_co_u32 v27, s11, s16, v0
	s_delay_alu instid0(VALU_DEP_1) | instskip(SKIP_1) | instid1(VALU_DEP_3)
	v_add_co_ci_u32_e64 v28, null, s17, 0, s11
	v_cmp_gt_u64_e64 s11, 0x10000, s[8:9]
	v_add_co_u32 v1, vcc_lo, s2, v27
	s_delay_alu instid0(VALU_DEP_3)
	v_add_co_ci_u32_e32 v2, vcc_lo, s3, v28, vcc_lo
	v_add_co_u32 v3, vcc_lo, s4, v27
	v_add_co_ci_u32_e32 v4, vcc_lo, s5, v28, vcc_lo
	v_add_co_u32 v5, vcc_lo, s12, v27
	;; [unrolled: 2-line block ×3, first 2 shown]
	s_waitcnt lgkmcnt(0)
	s_and_b32 s26, s10, 0xffff
	s_and_b32 s10, s11, exec_lo
	s_mul_i32 s28, s26, 3
	s_cselect_b32 s11, s9, 0
	s_cselect_b32 s10, s8, 0x10000
	s_lshl_b32 s27, s26, 1
	s_lshl_b32 s25, s26, 2
	s_add_u32 s29, s16, s28
	s_addc_u32 s30, s17, 0
	v_add_co_u32 v15, s29, s29, v0
	s_delay_alu instid0(VALU_DEP_1) | instskip(SKIP_1) | instid1(VALU_DEP_3)
	v_add_co_ci_u32_e64 v16, null, s30, 0, s29
	v_add_co_ci_u32_e32 v8, vcc_lo, s15, v28, vcc_lo
	v_add_co_u32 v9, vcc_lo, s2, v15
	s_delay_alu instid0(VALU_DEP_3)
	v_add_co_ci_u32_e32 v10, vcc_lo, s3, v16, vcc_lo
	v_add_co_u32 v11, vcc_lo, s4, v15
	v_add_co_ci_u32_e32 v12, vcc_lo, s5, v16, vcc_lo
	s_add_u32 s16, s16, s27
	v_add_co_u32 v13, vcc_lo, s12, v15
	s_addc_u32 s17, s17, 0
	v_add_co_u32 v25, s16, s16, v0
	v_add_co_ci_u32_e32 v14, vcc_lo, s13, v16, vcc_lo
	v_add_co_u32 v15, vcc_lo, s14, v15
	v_add_co_ci_u32_e64 v26, null, s17, 0, s16
	v_add_co_ci_u32_e32 v16, vcc_lo, s15, v16, vcc_lo
	v_add_co_u32 v19, vcc_lo, s2, v25
	s_delay_alu instid0(VALU_DEP_3)
	v_add_co_ci_u32_e32 v20, vcc_lo, s3, v26, vcc_lo
	v_add_co_u32 v21, vcc_lo, s4, v25
	v_add_co_ci_u32_e32 v22, vcc_lo, s5, v26, vcc_lo
	v_add_co_u32 v23, vcc_lo, s12, v25
	;; [unrolled: 2-line block ×4, first 2 shown]
	v_add_co_ci_u32_e32 v36, vcc_lo, 0, v28, vcc_lo
	v_add_co_u32 v17, s16, s28, v0
	s_delay_alu instid0(VALU_DEP_3) | instskip(NEXT) | instid1(VALU_DEP_3)
	v_add_co_u32 v29, vcc_lo, s2, v35
	v_add_co_ci_u32_e32 v30, vcc_lo, s3, v36, vcc_lo
	v_add_co_u32 v31, vcc_lo, s4, v35
	v_add_co_ci_u32_e32 v32, vcc_lo, s5, v36, vcc_lo
	;; [unrolled: 2-line block ×3, first 2 shown]
	v_add_co_ci_u32_e64 v18, null, 0, 0, s16
	v_add_co_u32 v27, s16, s27, v0
	v_add_co_u32 v35, vcc_lo, s14, v35
	v_add_co_u32 v37, s2, v0, s26
	v_add_co_ci_u32_e64 v28, null, 0, 0, s16
	v_add_co_ci_u32_e32 v36, vcc_lo, s15, v36, vcc_lo
	v_add_co_ci_u32_e64 v38, null, 0, 0, s2
	s_mov_b64 s[12:13], 0
	s_lshr_b32 s14, s24, 16
	s_branch .LBB1_4
.LBB1_3:                                ;   in Loop: Header=BB1_4 Depth=1
	s_or_b32 exec_lo, exec_lo, s2
	s_add_u32 s12, s12, s25
	s_addc_u32 s13, s13, 0
	s_delay_alu instid0(SALU_CYCLE_1) | instskip(SKIP_1) | instid1(VALU_DEP_1)
	v_cmp_lt_i64_e64 s2, s[12:13], s[8:9]
	v_cmp_gt_u64_e64 s3, 0x10000, s[12:13]
	s_and_b32 s2, s2, s3
	s_delay_alu instid0(SALU_CYCLE_1)
	s_and_b32 vcc_lo, exec_lo, s2
	s_cbranch_vccz .LBB1_28
.LBB1_4:                                ; =>This Inner Loop Header: Depth=1
	s_waitcnt vmcnt(1)
	v_add_co_u32 v39, s2, v0, s12
	s_waitcnt vmcnt(0)
	v_add_co_ci_u32_e64 v40, null, 0, s13, s2
	s_delay_alu instid0(VALU_DEP_1)
	v_cmp_gt_u64_e32 vcc_lo, s[10:11], v[39:40]
	v_dual_mov_b32 v39, 0 :: v_dual_mov_b32 v40, 0
	s_and_saveexec_b32 s3, vcc_lo
	s_cbranch_execz .LBB1_6
; %bb.5:                                ;   in Loop: Header=BB1_4 Depth=1
	v_add_co_u32 v39, s2, v1, s12
	s_delay_alu instid0(VALU_DEP_1) | instskip(SKIP_1) | instid1(VALU_DEP_1)
	v_add_co_ci_u32_e64 v40, s2, s13, v2, s2
	v_add_co_u32 v41, s2, v3, s12
	v_add_co_ci_u32_e64 v42, s2, s13, v4, s2
	global_load_u8 v39, v[39:40], off
	global_load_u8 v40, v[41:42], off
.LBB1_6:                                ;   in Loop: Header=BB1_4 Depth=1
	s_or_b32 exec_lo, exec_lo, s3
	v_dual_mov_b32 v41, 0 :: v_dual_mov_b32 v42, 0
	s_and_saveexec_b32 s3, vcc_lo
	s_cbranch_execz .LBB1_8
; %bb.7:                                ;   in Loop: Header=BB1_4 Depth=1
	v_add_co_u32 v42, s2, v5, s12
	s_delay_alu instid0(VALU_DEP_1)
	v_add_co_ci_u32_e64 v43, s2, s13, v6, s2
	global_load_u8 v42, v[42:43], off
.LBB1_8:                                ;   in Loop: Header=BB1_4 Depth=1
	s_or_b32 exec_lo, exec_lo, s3
	v_add_co_u32 v43, s2, v37, s12
	s_delay_alu instid0(VALU_DEP_1) | instskip(NEXT) | instid1(VALU_DEP_1)
	v_add_co_ci_u32_e64 v44, s2, s13, v38, s2
	v_cmp_gt_u64_e64 s2, s[10:11], v[43:44]
	v_mov_b32_e32 v43, 0
	s_delay_alu instid0(VALU_DEP_2)
	s_and_saveexec_b32 s4, s2
	s_cbranch_execz .LBB1_10
; %bb.9:                                ;   in Loop: Header=BB1_4 Depth=1
	v_add_co_u32 v43, s3, v29, s12
	s_delay_alu instid0(VALU_DEP_1) | instskip(SKIP_1) | instid1(VALU_DEP_1)
	v_add_co_ci_u32_e64 v44, s3, s13, v30, s3
	v_add_co_u32 v45, s3, v31, s12
	v_add_co_ci_u32_e64 v46, s3, s13, v32, s3
	global_load_u8 v41, v[43:44], off
	global_load_u8 v43, v[45:46], off
.LBB1_10:                               ;   in Loop: Header=BB1_4 Depth=1
	s_or_b32 exec_lo, exec_lo, s4
	v_dual_mov_b32 v44, 0 :: v_dual_mov_b32 v45, 0
	s_and_saveexec_b32 s4, s2
	s_cbranch_execz .LBB1_12
; %bb.11:                               ;   in Loop: Header=BB1_4 Depth=1
	v_add_co_u32 v45, s3, v33, s12
	s_delay_alu instid0(VALU_DEP_1)
	v_add_co_ci_u32_e64 v46, s3, s13, v34, s3
	global_load_u8 v45, v[45:46], off
.LBB1_12:                               ;   in Loop: Header=BB1_4 Depth=1
	s_or_b32 exec_lo, exec_lo, s4
	v_add_co_u32 v46, s3, v27, s12
	s_delay_alu instid0(VALU_DEP_1) | instskip(NEXT) | instid1(VALU_DEP_1)
	v_add_co_ci_u32_e64 v47, s3, s13, v28, s3
	v_cmp_gt_u64_e64 s3, s[10:11], v[46:47]
	v_mov_b32_e32 v46, 0
	s_delay_alu instid0(VALU_DEP_2)
	s_and_saveexec_b32 s5, s3
	s_cbranch_execz .LBB1_14
; %bb.13:                               ;   in Loop: Header=BB1_4 Depth=1
	v_add_co_u32 v46, s4, v19, s12
	s_delay_alu instid0(VALU_DEP_1) | instskip(SKIP_1) | instid1(VALU_DEP_1)
	v_add_co_ci_u32_e64 v47, s4, s13, v20, s4
	v_add_co_u32 v48, s4, v21, s12
	v_add_co_ci_u32_e64 v49, s4, s13, v22, s4
	global_load_u8 v44, v[46:47], off
	global_load_u8 v46, v[48:49], off
.LBB1_14:                               ;   in Loop: Header=BB1_4 Depth=1
	s_or_b32 exec_lo, exec_lo, s5
	v_dual_mov_b32 v47, 0 :: v_dual_mov_b32 v48, 0
	s_and_saveexec_b32 s5, s3
	s_cbranch_execz .LBB1_16
; %bb.15:                               ;   in Loop: Header=BB1_4 Depth=1
	v_add_co_u32 v48, s4, v23, s12
	s_delay_alu instid0(VALU_DEP_1)
	v_add_co_ci_u32_e64 v49, s4, s13, v24, s4
	global_load_u8 v48, v[48:49], off
.LBB1_16:                               ;   in Loop: Header=BB1_4 Depth=1
	s_or_b32 exec_lo, exec_lo, s5
	v_add_co_u32 v49, s4, v17, s12
	s_delay_alu instid0(VALU_DEP_1) | instskip(NEXT) | instid1(VALU_DEP_1)
	v_add_co_ci_u32_e64 v50, s4, s13, v18, s4
	v_cmp_gt_u64_e64 s4, s[10:11], v[49:50]
	v_mov_b32_e32 v49, 0
	s_delay_alu instid0(VALU_DEP_2)
	s_and_saveexec_b32 s15, s4
	s_cbranch_execnz .LBB1_22
; %bb.17:                               ;   in Loop: Header=BB1_4 Depth=1
	s_or_b32 exec_lo, exec_lo, s15
	v_mov_b32_e32 v50, 0
	s_and_saveexec_b32 s15, s4
	s_cbranch_execnz .LBB1_23
.LBB1_18:                               ;   in Loop: Header=BB1_4 Depth=1
	s_or_b32 exec_lo, exec_lo, s15
	s_and_saveexec_b32 s5, vcc_lo
	s_cbranch_execnz .LBB1_24
.LBB1_19:                               ;   in Loop: Header=BB1_4 Depth=1
	s_or_b32 exec_lo, exec_lo, s5
	s_and_saveexec_b32 s5, s2
	s_cbranch_execnz .LBB1_25
.LBB1_20:                               ;   in Loop: Header=BB1_4 Depth=1
	s_or_b32 exec_lo, exec_lo, s5
	s_and_saveexec_b32 s2, s3
	s_cbranch_execnz .LBB1_26
.LBB1_21:                               ;   in Loop: Header=BB1_4 Depth=1
	s_or_b32 exec_lo, exec_lo, s2
	s_and_saveexec_b32 s2, s4
	s_cbranch_execz .LBB1_3
	s_branch .LBB1_27
.LBB1_22:                               ;   in Loop: Header=BB1_4 Depth=1
	v_add_co_u32 v49, s5, v9, s12
	s_delay_alu instid0(VALU_DEP_1) | instskip(SKIP_1) | instid1(VALU_DEP_1)
	v_add_co_ci_u32_e64 v50, s5, s13, v10, s5
	v_add_co_u32 v51, s5, v11, s12
	v_add_co_ci_u32_e64 v52, s5, s13, v12, s5
	global_load_u8 v47, v[49:50], off
	global_load_u8 v49, v[51:52], off
	s_or_b32 exec_lo, exec_lo, s15
	v_mov_b32_e32 v50, 0
	s_and_saveexec_b32 s15, s4
	s_cbranch_execz .LBB1_18
.LBB1_23:                               ;   in Loop: Header=BB1_4 Depth=1
	v_add_co_u32 v50, s5, v13, s12
	s_delay_alu instid0(VALU_DEP_1)
	v_add_co_ci_u32_e64 v51, s5, s13, v14, s5
	global_load_u8 v50, v[50:51], off
	s_or_b32 exec_lo, exec_lo, s15
	s_and_saveexec_b32 s5, vcc_lo
	s_cbranch_execz .LBB1_19
.LBB1_24:                               ;   in Loop: Header=BB1_4 Depth=1
	s_waitcnt vmcnt(0)
	v_mul_lo_u16 v40, v40, s14
	s_delay_alu instid0(VALU_DEP_1)
	v_mad_u16 v42, v40, v42, v39
	v_add_co_u32 v39, vcc_lo, v7, s12
	v_add_co_ci_u32_e32 v40, vcc_lo, s13, v8, vcc_lo
	global_store_b8 v[39:40], v42, off
	s_or_b32 exec_lo, exec_lo, s5
	s_and_saveexec_b32 s5, s2
	s_cbranch_execz .LBB1_20
.LBB1_25:                               ;   in Loop: Header=BB1_4 Depth=1
	s_waitcnt vmcnt(0)
	v_mul_lo_u16 v39, v43, s14
	s_delay_alu instid0(VALU_DEP_1)
	v_mad_u16 v41, v39, v45, v41
	v_add_co_u32 v39, vcc_lo, v35, s12
	v_add_co_ci_u32_e32 v40, vcc_lo, s13, v36, vcc_lo
	global_store_b8 v[39:40], v41, off
	s_or_b32 exec_lo, exec_lo, s5
	s_and_saveexec_b32 s2, s3
	s_cbranch_execz .LBB1_21
.LBB1_26:                               ;   in Loop: Header=BB1_4 Depth=1
	s_waitcnt vmcnt(0)
	v_mul_lo_u16 v39, v46, s14
	s_delay_alu instid0(VALU_DEP_1)
	v_mad_u16 v41, v39, v48, v44
	v_add_co_u32 v39, vcc_lo, v25, s12
	v_add_co_ci_u32_e32 v40, vcc_lo, s13, v26, vcc_lo
	global_store_b8 v[39:40], v41, off
	s_or_b32 exec_lo, exec_lo, s2
	s_and_saveexec_b32 s2, s4
	s_cbranch_execz .LBB1_3
.LBB1_27:                               ;   in Loop: Header=BB1_4 Depth=1
	s_waitcnt vmcnt(0)
	v_mul_lo_u16 v39, v49, s14
	s_delay_alu instid0(VALU_DEP_1)
	v_mad_u16 v41, v39, v50, v47
	v_add_co_u32 v39, vcc_lo, v15, s12
	v_add_co_ci_u32_e32 v40, vcc_lo, s13, v16, vcc_lo
	global_store_b8 v[39:40], v41, off
	s_branch .LBB1_3
.LBB1_28:
	s_mov_b32 s10, 0
.LBB1_29:
	s_delay_alu instid0(SALU_CYCLE_1)
	s_and_not1_b32 vcc_lo, exec_lo, s10
	s_cbranch_vccnz .LBB1_33
; %bb.30:
	v_dual_mov_b32 v1, 0 :: v_dual_lshlrev_b32 v0, 2, v0
	s_mov_b32 s2, exec_lo
	s_delay_alu instid0(VALU_DEP_1)
	v_cmpx_gt_i64_e64 s[8:9], v[0:1]
	s_cbranch_execz .LBB1_33
; %bb.31:
	s_load_b32 s0, s[0:1], 0xbfc
	s_mov_b32 s1, 0
	s_lshr_b32 s3, s24, 16
	s_waitcnt lgkmcnt(0)
	s_and_b32 s0, s0, 0xffff
	s_delay_alu instid0(SALU_CYCLE_1)
	s_lshl_b32 s2, s0, 2
.LBB1_32:                               ; =>This Inner Loop Header: Depth=1
	v_add_co_u32 v2, vcc_lo, s6, v0
	v_add_co_ci_u32_e32 v3, vcc_lo, s7, v1, vcc_lo
	v_add_co_u32 v4, vcc_lo, s18, v0
	v_add_co_ci_u32_e32 v5, vcc_lo, s19, v1, vcc_lo
	;; [unrolled: 2-line block ×3, first 2 shown]
	global_load_b32 v4, v[4:5], off
	global_load_b32 v5, v[2:3], off
	;; [unrolled: 1-line block ×3, first 2 shown]
	v_add_co_u32 v2, vcc_lo, s22, v0
	v_add_co_ci_u32_e32 v3, vcc_lo, s23, v1, vcc_lo
	v_add_co_u32 v0, vcc_lo, s2, v0
	v_add_co_ci_u32_e32 v1, vcc_lo, 0, v1, vcc_lo
	s_delay_alu instid0(VALU_DEP_1) | instskip(SKIP_1) | instid1(VALU_DEP_1)
	v_cmp_le_i64_e32 vcc_lo, s[8:9], v[0:1]
	v_cmp_lt_u64_e64 s0, 0xffff, v[0:1]
	s_or_b32 s0, vcc_lo, s0
	s_delay_alu instid0(SALU_CYCLE_1) | instskip(NEXT) | instid1(SALU_CYCLE_1)
	s_and_b32 s0, exec_lo, s0
	s_or_b32 s1, s0, s1
	s_waitcnt vmcnt(2)
	v_lshrrev_b32_e32 v9, 8, v4
	v_lshrrev_b32_e32 v12, 16, v4
	v_mul_lo_u16 v7, v4, s3
	s_waitcnt vmcnt(1)
	v_lshrrev_b32_e32 v8, 8, v5
	s_waitcnt vmcnt(0)
	v_lshrrev_b32_e32 v10, 8, v6
	v_lshrrev_b32_e32 v11, 16, v5
	;; [unrolled: 1-line block ×4, first 2 shown]
	v_mul_lo_u16 v9, v9, s3
	v_mul_lo_u16 v12, v12, s3
	v_lshrrev_b32_e32 v14, 24, v5
	v_lshrrev_b32_e32 v15, 24, v6
	v_mul_lo_u16 v4, v4, s3
	v_mad_u16 v8, v9, v10, v8
	v_mad_u16 v9, v12, v13, v11
	;; [unrolled: 1-line block ×3, first 2 shown]
	s_delay_alu instid0(VALU_DEP_4) | instskip(NEXT) | instid1(VALU_DEP_4)
	v_mad_u16 v4, v4, v15, v14
	v_and_b32_e32 v6, 0xff, v8
	s_delay_alu instid0(VALU_DEP_4) | instskip(NEXT) | instid1(VALU_DEP_3)
	v_and_b32_e32 v7, 0xff, v9
	v_lshlrev_b32_e32 v4, 24, v4
	s_delay_alu instid0(VALU_DEP_3) | instskip(NEXT) | instid1(VALU_DEP_3)
	v_perm_b32 v5, v6, v5, 0x6050400
	v_lshlrev_b32_e32 v6, 16, v7
	s_delay_alu instid0(VALU_DEP_1)
	v_or3_b32 v4, v5, v6, v4
	global_store_b32 v[2:3], v4, off
	s_and_not1_b32 exec_lo, exec_lo, s1
	s_cbranch_execnz .LBB1_32
.LBB1_33:
	s_nop 0
	s_sendmsg sendmsg(MSG_DEALLOC_VGPRS)
	s_endpgm
	.section	.rodata,"a",@progbits
	.p2align	6, 0x0
	.amdhsa_kernel _ZN2at6native12_GLOBAL__N_125multi_tensor_apply_kernelINS1_18TensorListMetadataILi4EEENS1_24PointwiseOpScalarFunctorIaLi4ELi3ELi3EEEJSt10multipliesIaEaEEEvT_T0_DpT1_
		.amdhsa_group_segment_fixed_size 0
		.amdhsa_private_segment_fixed_size 0
		.amdhsa_kernarg_size 3312
		.amdhsa_user_sgpr_count 15
		.amdhsa_user_sgpr_dispatch_ptr 0
		.amdhsa_user_sgpr_queue_ptr 0
		.amdhsa_user_sgpr_kernarg_segment_ptr 1
		.amdhsa_user_sgpr_dispatch_id 0
		.amdhsa_user_sgpr_private_segment_size 0
		.amdhsa_wavefront_size32 1
		.amdhsa_uses_dynamic_stack 0
		.amdhsa_enable_private_segment 0
		.amdhsa_system_sgpr_workgroup_id_x 1
		.amdhsa_system_sgpr_workgroup_id_y 0
		.amdhsa_system_sgpr_workgroup_id_z 0
		.amdhsa_system_sgpr_workgroup_info 0
		.amdhsa_system_vgpr_workitem_id 0
		.amdhsa_next_free_vgpr 53
		.amdhsa_next_free_sgpr 31
		.amdhsa_reserve_vcc 1
		.amdhsa_float_round_mode_32 0
		.amdhsa_float_round_mode_16_64 0
		.amdhsa_float_denorm_mode_32 3
		.amdhsa_float_denorm_mode_16_64 3
		.amdhsa_dx10_clamp 1
		.amdhsa_ieee_mode 1
		.amdhsa_fp16_overflow 0
		.amdhsa_workgroup_processor_mode 1
		.amdhsa_memory_ordered 1
		.amdhsa_forward_progress 0
		.amdhsa_shared_vgpr_count 0
		.amdhsa_exception_fp_ieee_invalid_op 0
		.amdhsa_exception_fp_denorm_src 0
		.amdhsa_exception_fp_ieee_div_zero 0
		.amdhsa_exception_fp_ieee_overflow 0
		.amdhsa_exception_fp_ieee_underflow 0
		.amdhsa_exception_fp_ieee_inexact 0
		.amdhsa_exception_int_div_zero 0
	.end_amdhsa_kernel
	.section	.text._ZN2at6native12_GLOBAL__N_125multi_tensor_apply_kernelINS1_18TensorListMetadataILi4EEENS1_24PointwiseOpScalarFunctorIaLi4ELi3ELi3EEEJSt10multipliesIaEaEEEvT_T0_DpT1_,"axG",@progbits,_ZN2at6native12_GLOBAL__N_125multi_tensor_apply_kernelINS1_18TensorListMetadataILi4EEENS1_24PointwiseOpScalarFunctorIaLi4ELi3ELi3EEEJSt10multipliesIaEaEEEvT_T0_DpT1_,comdat
.Lfunc_end1:
	.size	_ZN2at6native12_GLOBAL__N_125multi_tensor_apply_kernelINS1_18TensorListMetadataILi4EEENS1_24PointwiseOpScalarFunctorIaLi4ELi3ELi3EEEJSt10multipliesIaEaEEEvT_T0_DpT1_, .Lfunc_end1-_ZN2at6native12_GLOBAL__N_125multi_tensor_apply_kernelINS1_18TensorListMetadataILi4EEENS1_24PointwiseOpScalarFunctorIaLi4ELi3ELi3EEEJSt10multipliesIaEaEEEvT_T0_DpT1_
                                        ; -- End function
	.section	.AMDGPU.csdata,"",@progbits
; Kernel info:
; codeLenInByte = 2024
; NumSgprs: 33
; NumVgprs: 53
; ScratchSize: 0
; MemoryBound: 0
; FloatMode: 240
; IeeeMode: 1
; LDSByteSize: 0 bytes/workgroup (compile time only)
; SGPRBlocks: 4
; VGPRBlocks: 6
; NumSGPRsForWavesPerEU: 33
; NumVGPRsForWavesPerEU: 53
; Occupancy: 16
; WaveLimiterHint : 0
; COMPUTE_PGM_RSRC2:SCRATCH_EN: 0
; COMPUTE_PGM_RSRC2:USER_SGPR: 15
; COMPUTE_PGM_RSRC2:TRAP_HANDLER: 0
; COMPUTE_PGM_RSRC2:TGID_X_EN: 1
; COMPUTE_PGM_RSRC2:TGID_Y_EN: 0
; COMPUTE_PGM_RSRC2:TGID_Z_EN: 0
; COMPUTE_PGM_RSRC2:TIDIG_COMP_CNT: 0
	.section	.text._ZN2at6native12_GLOBAL__N_125multi_tensor_apply_kernelINS1_18TensorListMetadataILi4EEENS1_24PointwiseOpScalarFunctorIiLi4ELi3ELi3EEEJSt10multipliesIiEiEEEvT_T0_DpT1_,"axG",@progbits,_ZN2at6native12_GLOBAL__N_125multi_tensor_apply_kernelINS1_18TensorListMetadataILi4EEENS1_24PointwiseOpScalarFunctorIiLi4ELi3ELi3EEEJSt10multipliesIiEiEEEvT_T0_DpT1_,comdat
	.globl	_ZN2at6native12_GLOBAL__N_125multi_tensor_apply_kernelINS1_18TensorListMetadataILi4EEENS1_24PointwiseOpScalarFunctorIiLi4ELi3ELi3EEEJSt10multipliesIiEiEEEvT_T0_DpT1_ ; -- Begin function _ZN2at6native12_GLOBAL__N_125multi_tensor_apply_kernelINS1_18TensorListMetadataILi4EEENS1_24PointwiseOpScalarFunctorIiLi4ELi3ELi3EEEJSt10multipliesIiEiEEEvT_T0_DpT1_
	.p2align	8
	.type	_ZN2at6native12_GLOBAL__N_125multi_tensor_apply_kernelINS1_18TensorListMetadataILi4EEENS1_24PointwiseOpScalarFunctorIiLi4ELi3ELi3EEEJSt10multipliesIiEiEEEvT_T0_DpT1_,@function
_ZN2at6native12_GLOBAL__N_125multi_tensor_apply_kernelINS1_18TensorListMetadataILi4EEENS1_24PointwiseOpScalarFunctorIiLi4ELi3ELi3EEEJSt10multipliesIiEiEEEvT_T0_DpT1_: ; @_ZN2at6native12_GLOBAL__N_125multi_tensor_apply_kernelINS1_18TensorListMetadataILi4EEENS1_24PointwiseOpScalarFunctorIiLi4ELi3ELi3EEEJSt10multipliesIiEiEEEvT_T0_DpT1_
; %bb.0:
	v_mov_b32_e32 v1, s15
	s_add_u32 s2, s0, s15
	s_mul_hi_u32 s3, s15, 3
	s_mul_i32 s15, s15, 3
	s_addc_u32 s4, s1, 0
	global_load_u8 v1, v1, s[0:1] offset:1440
	s_add_u32 s2, s2, s15
	s_addc_u32 s3, s4, s3
	s_mov_b32 s11, 0
	s_load_b32 s6, s[2:3], 0x6e0
	s_mov_b32 s21, s11
	s_waitcnt lgkmcnt(0)
	s_ashr_i32 s7, s6, 31
	s_delay_alu instid0(SALU_CYCLE_1) | instskip(SKIP_2) | instid1(VALU_DEP_1)
	s_lshl_b64 s[8:9], s[6:7], 18
	s_waitcnt vmcnt(0)
	v_readfirstlane_b32 s2, v1
	s_lshl_b32 s10, s2, 3
	s_clause 0x4
	s_load_b64 s[2:3], s[0:1], s10 offset:0x0
	s_load_b64 s[4:5], s[0:1], s10 offset:0x120
	;; [unrolled: 1-line block ×5, first 2 shown]
	s_waitcnt lgkmcnt(0)
	s_add_u32 s16, s2, s8
	s_addc_u32 s17, s3, s9
	s_and_b32 s10, s16, 15
	s_add_u32 s18, s4, s8
	s_addc_u32 s19, s5, s9
	s_and_b32 s20, s18, 15
	s_delay_alu instid0(SALU_CYCLE_1)
	s_cmp_eq_u64 s[20:21], 0
	s_cselect_b32 s25, -1, 0
	s_add_u32 s20, s12, s8
	s_addc_u32 s21, s13, s9
	s_add_u32 s22, s14, s8
	s_addc_u32 s23, s15, s9
	s_or_b32 s24, s22, s20
	s_delay_alu instid0(SALU_CYCLE_1) | instskip(NEXT) | instid1(SALU_CYCLE_1)
	s_and_b32 s24, s24, 15
	s_cmp_eq_u32 s24, 0
	s_load_b32 s24, s[0:1], 0xbec
	s_cselect_b32 s28, -1, 0
	s_lshl_b64 s[6:7], s[6:7], 16
	s_and_b32 s25, s28, s25
	s_sub_u32 s6, s26, s6
	s_subb_u32 s7, s27, s7
	s_and_b32 s26, s26, 3
	s_mov_b32 s27, s11
	s_delay_alu instid0(SALU_CYCLE_1) | instskip(NEXT) | instid1(SALU_CYCLE_1)
	s_or_b64 s[10:11], s[10:11], s[26:27]
	s_cmp_eq_u64 s[10:11], 0
	s_cselect_b32 s10, -1, 0
	s_delay_alu instid0(SALU_CYCLE_1) | instskip(NEXT) | instid1(SALU_CYCLE_1)
	s_and_b32 s10, s25, s10
	s_and_b32 vcc_lo, exec_lo, s10
	s_mov_b32 s10, -1
	s_cbranch_vccnz .LBB2_29
; %bb.1:
	v_cmp_lt_i64_e64 s10, s[6:7], 1
	s_delay_alu instid0(VALU_DEP_1)
	s_and_b32 vcc_lo, exec_lo, s10
	s_cbranch_vccnz .LBB2_28
; %bb.2:
	s_load_b32 s10, s[0:1], 0xbfc
	v_dual_mov_b32 v2, 0 :: v_dual_lshlrev_b32 v1, 2, v0
	v_cmp_gt_u64_e64 s11, 0x10000, s[6:7]
	s_delay_alu instid0(VALU_DEP_2) | instskip(NEXT) | instid1(VALU_DEP_1)
	v_add_co_u32 v5, s25, s2, v1
	v_add_co_ci_u32_e64 v6, null, s3, 0, s25
	v_add_co_u32 v7, s25, s4, v1
	s_delay_alu instid0(VALU_DEP_1) | instskip(SKIP_1) | instid1(VALU_DEP_1)
	v_add_co_ci_u32_e64 v8, null, s5, 0, s25
	v_add_co_u32 v9, s25, s12, v1
	v_add_co_ci_u32_e64 v10, null, s13, 0, s25
	s_waitcnt lgkmcnt(0)
	s_and_b32 s25, s10, 0xffff
	v_add_co_u32 v11, s10, s14, v1
	v_mad_u64_u32 v[3:4], null, s25, 12, v[1:2]
	v_add_co_ci_u32_e64 v12, null, s15, 0, s10
	s_and_b32 s10, s11, exec_lo
	s_cselect_b32 s11, s7, 0
	s_cselect_b32 s10, s6, 0x10000
	s_lshl_b32 s28, s25, 3
	s_delay_alu instid0(VALU_DEP_2) | instskip(NEXT) | instid1(VALU_DEP_3)
	v_add_co_u32 v13, vcc_lo, s2, v3
	v_add_co_ci_u32_e32 v14, vcc_lo, s3, v4, vcc_lo
	v_add_co_u32 v15, vcc_lo, s4, v3
	v_add_co_ci_u32_e32 v16, vcc_lo, s5, v4, vcc_lo
	v_add_co_u32 v17, vcc_lo, s12, v3
	v_add_co_u32 v1, s28, s28, v1
	v_add_co_ci_u32_e32 v18, vcc_lo, s13, v4, vcc_lo
	v_add_co_u32 v19, vcc_lo, s14, v3
	v_add_co_ci_u32_e64 v2, null, 0, 0, s28
	v_add_co_ci_u32_e32 v20, vcc_lo, s15, v4, vcc_lo
	s_mul_i32 s27, s25, 3
	v_add_co_u32 v23, vcc_lo, s2, v1
	v_add_co_u32 v21, s27, s27, v0
	v_add_co_ci_u32_e32 v24, vcc_lo, s3, v2, vcc_lo
	v_add_co_u32 v25, vcc_lo, s4, v1
	v_add_co_ci_u32_e64 v22, null, 0, 0, s27
	v_add_co_u32 v29, s27, v0, s25
	v_add_co_ci_u32_e32 v26, vcc_lo, s5, v2, vcc_lo
	v_add_co_u32 v27, vcc_lo, s12, v1
	v_add_co_ci_u32_e32 v28, vcc_lo, s13, v2, vcc_lo
	v_add_co_u32 v30, vcc_lo, s14, v1
	v_lshlrev_b32_e32 v1, 2, v29
	s_lshl_b32 s26, s25, 1
	v_add_co_ci_u32_e32 v31, vcc_lo, s15, v2, vcc_lo
	v_add_co_u32 v33, s26, s26, v0
	s_delay_alu instid0(VALU_DEP_3) | instskip(NEXT) | instid1(VALU_DEP_1)
	v_add_co_u32 v35, s2, s2, v1
	v_add_co_ci_u32_e64 v36, null, s3, 0, s2
	v_add_co_u32 v37, s2, s4, v1
	s_delay_alu instid0(VALU_DEP_1) | instskip(SKIP_1) | instid1(VALU_DEP_1)
	v_add_co_ci_u32_e64 v38, null, s5, 0, s2
	v_add_co_u32 v39, s2, s12, v1
	v_add_co_ci_u32_e64 v40, null, s13, 0, s2
	v_add_co_u32 v41, s2, s14, v1
	v_add_co_ci_u32_e64 v32, null, 0, 0, s27
	v_add_co_ci_u32_e64 v34, null, 0, 0, s26
	;; [unrolled: 1-line block ×3, first 2 shown]
	s_lshl_b32 s14, s25, 2
	s_lshl_b32 s15, s25, 4
	s_mov_b64 s[12:13], 0
	s_branch .LBB2_4
.LBB2_3:                                ;   in Loop: Header=BB2_4 Depth=1
	s_or_b32 exec_lo, exec_lo, s2
	v_add_co_u32 v5, vcc_lo, v5, s15
	v_add_co_ci_u32_e32 v6, vcc_lo, 0, v6, vcc_lo
	v_add_co_u32 v7, vcc_lo, v7, s15
	v_add_co_ci_u32_e32 v8, vcc_lo, 0, v8, vcc_lo
	;; [unrolled: 2-line block ×13, first 2 shown]
	s_add_u32 s12, s12, s14
	v_add_co_u32 v37, vcc_lo, v37, s15
	s_addc_u32 s13, s13, 0
	v_add_co_ci_u32_e32 v38, vcc_lo, 0, v38, vcc_lo
	v_cmp_lt_i64_e64 s2, s[12:13], s[6:7]
	v_cmp_gt_u64_e64 s3, 0x10000, s[12:13]
	v_add_co_u32 v39, vcc_lo, v39, s15
	v_add_co_ci_u32_e32 v40, vcc_lo, 0, v40, vcc_lo
	v_add_co_u32 v41, vcc_lo, v41, s15
	v_add_co_ci_u32_e32 v42, vcc_lo, 0, v42, vcc_lo
	s_and_b32 s2, s2, s3
	s_delay_alu instid0(SALU_CYCLE_1)
	s_and_b32 vcc_lo, exec_lo, s2
	s_cbranch_vccz .LBB2_28
.LBB2_4:                                ; =>This Inner Loop Header: Depth=1
	s_waitcnt vmcnt(1)
	v_add_co_u32 v1, s2, v0, s12
	s_delay_alu instid0(VALU_DEP_1) | instskip(SKIP_2) | instid1(VALU_DEP_2)
	v_add_co_ci_u32_e64 v2, null, 0, s13, s2
	s_waitcnt vmcnt(0)
	v_mov_b32_e32 v43, 0
	v_cmp_gt_u64_e32 vcc_lo, s[10:11], v[1:2]
	v_mov_b32_e32 v1, 0
	s_and_saveexec_b32 s3, vcc_lo
	s_cbranch_execz .LBB2_6
; %bb.5:                                ;   in Loop: Header=BB2_4 Depth=1
	v_add_co_u32 v1, s2, v5, s8
	s_delay_alu instid0(VALU_DEP_1) | instskip(SKIP_1) | instid1(VALU_DEP_1)
	v_add_co_ci_u32_e64 v2, s2, s9, v6, s2
	v_add_co_u32 v3, s2, v7, s8
	v_add_co_ci_u32_e64 v4, s2, s9, v8, s2
	global_load_b32 v1, v[1:2], off
	global_load_b32 v43, v[3:4], off
.LBB2_6:                                ;   in Loop: Header=BB2_4 Depth=1
	s_or_b32 exec_lo, exec_lo, s3
	v_mov_b32_e32 v2, 0
	v_mov_b32_e32 v44, 0
	s_and_saveexec_b32 s3, vcc_lo
	s_cbranch_execz .LBB2_8
; %bb.7:                                ;   in Loop: Header=BB2_4 Depth=1
	v_add_co_u32 v3, s2, v9, s8
	s_delay_alu instid0(VALU_DEP_1)
	v_add_co_ci_u32_e64 v4, s2, s9, v10, s2
	global_load_b32 v44, v[3:4], off
.LBB2_8:                                ;   in Loop: Header=BB2_4 Depth=1
	s_or_b32 exec_lo, exec_lo, s3
	v_add_co_u32 v3, s2, v29, s12
	s_delay_alu instid0(VALU_DEP_1) | instskip(SKIP_1) | instid1(VALU_DEP_2)
	v_add_co_ci_u32_e64 v4, s2, s13, v32, s2
	v_mov_b32_e32 v45, 0
	v_cmp_gt_u64_e64 s2, s[10:11], v[3:4]
	s_delay_alu instid0(VALU_DEP_1)
	s_and_saveexec_b32 s4, s2
	s_cbranch_execz .LBB2_10
; %bb.9:                                ;   in Loop: Header=BB2_4 Depth=1
	v_add_co_u32 v2, s3, v35, s8
	s_delay_alu instid0(VALU_DEP_1) | instskip(SKIP_1) | instid1(VALU_DEP_1)
	v_add_co_ci_u32_e64 v3, s3, s9, v36, s3
	v_add_co_u32 v45, s3, v37, s8
	v_add_co_ci_u32_e64 v46, s3, s9, v38, s3
	global_load_b32 v2, v[2:3], off
	global_load_b32 v45, v[45:46], off
.LBB2_10:                               ;   in Loop: Header=BB2_4 Depth=1
	s_or_b32 exec_lo, exec_lo, s4
	v_dual_mov_b32 v3, 0 :: v_dual_mov_b32 v46, 0
	s_and_saveexec_b32 s4, s2
	s_cbranch_execz .LBB2_12
; %bb.11:                               ;   in Loop: Header=BB2_4 Depth=1
	v_add_co_u32 v46, s3, v39, s8
	s_delay_alu instid0(VALU_DEP_1)
	v_add_co_ci_u32_e64 v47, s3, s9, v40, s3
	global_load_b32 v46, v[46:47], off
.LBB2_12:                               ;   in Loop: Header=BB2_4 Depth=1
	s_or_b32 exec_lo, exec_lo, s4
	v_add_co_u32 v47, s3, v33, s12
	s_delay_alu instid0(VALU_DEP_1) | instskip(NEXT) | instid1(VALU_DEP_1)
	v_add_co_ci_u32_e64 v48, s3, s13, v34, s3
	v_cmp_gt_u64_e64 s3, s[10:11], v[47:48]
	v_mov_b32_e32 v47, 0
	s_delay_alu instid0(VALU_DEP_2)
	s_and_saveexec_b32 s5, s3
	s_cbranch_execz .LBB2_14
; %bb.13:                               ;   in Loop: Header=BB2_4 Depth=1
	v_add_co_u32 v3, s4, v23, s8
	s_delay_alu instid0(VALU_DEP_1) | instskip(SKIP_1) | instid1(VALU_DEP_1)
	v_add_co_ci_u32_e64 v4, s4, s9, v24, s4
	v_add_co_u32 v47, s4, v25, s8
	v_add_co_ci_u32_e64 v48, s4, s9, v26, s4
	global_load_b32 v3, v[3:4], off
	global_load_b32 v47, v[47:48], off
.LBB2_14:                               ;   in Loop: Header=BB2_4 Depth=1
	s_or_b32 exec_lo, exec_lo, s5
	v_mov_b32_e32 v4, 0
	v_mov_b32_e32 v48, 0
	s_and_saveexec_b32 s5, s3
	s_cbranch_execz .LBB2_16
; %bb.15:                               ;   in Loop: Header=BB2_4 Depth=1
	v_add_co_u32 v48, s4, v27, s8
	s_delay_alu instid0(VALU_DEP_1)
	v_add_co_ci_u32_e64 v49, s4, s9, v28, s4
	global_load_b32 v48, v[48:49], off
.LBB2_16:                               ;   in Loop: Header=BB2_4 Depth=1
	s_or_b32 exec_lo, exec_lo, s5
	v_add_co_u32 v49, s4, v21, s12
	s_delay_alu instid0(VALU_DEP_1) | instskip(NEXT) | instid1(VALU_DEP_1)
	v_add_co_ci_u32_e64 v50, s4, s13, v22, s4
	v_cmp_gt_u64_e64 s4, s[10:11], v[49:50]
	v_mov_b32_e32 v49, 0
	s_delay_alu instid0(VALU_DEP_2)
	s_and_saveexec_b32 s25, s4
	s_cbranch_execnz .LBB2_22
; %bb.17:                               ;   in Loop: Header=BB2_4 Depth=1
	s_or_b32 exec_lo, exec_lo, s25
	v_mov_b32_e32 v50, 0
	s_and_saveexec_b32 s25, s4
	s_cbranch_execnz .LBB2_23
.LBB2_18:                               ;   in Loop: Header=BB2_4 Depth=1
	s_or_b32 exec_lo, exec_lo, s25
	s_and_saveexec_b32 s5, vcc_lo
	s_cbranch_execnz .LBB2_24
.LBB2_19:                               ;   in Loop: Header=BB2_4 Depth=1
	s_or_b32 exec_lo, exec_lo, s5
	s_and_saveexec_b32 s5, s2
	s_cbranch_execnz .LBB2_25
.LBB2_20:                               ;   in Loop: Header=BB2_4 Depth=1
	s_or_b32 exec_lo, exec_lo, s5
	s_and_saveexec_b32 s2, s3
	s_cbranch_execnz .LBB2_26
.LBB2_21:                               ;   in Loop: Header=BB2_4 Depth=1
	s_or_b32 exec_lo, exec_lo, s2
	s_and_saveexec_b32 s2, s4
	s_cbranch_execz .LBB2_3
	s_branch .LBB2_27
.LBB2_22:                               ;   in Loop: Header=BB2_4 Depth=1
	v_add_co_u32 v49, s5, v13, s8
	s_delay_alu instid0(VALU_DEP_1) | instskip(SKIP_1) | instid1(VALU_DEP_1)
	v_add_co_ci_u32_e64 v50, s5, s9, v14, s5
	v_add_co_u32 v51, s5, v15, s8
	v_add_co_ci_u32_e64 v52, s5, s9, v16, s5
	global_load_b32 v4, v[49:50], off
	global_load_b32 v49, v[51:52], off
	s_or_b32 exec_lo, exec_lo, s25
	v_mov_b32_e32 v50, 0
	s_and_saveexec_b32 s25, s4
	s_cbranch_execz .LBB2_18
.LBB2_23:                               ;   in Loop: Header=BB2_4 Depth=1
	v_add_co_u32 v50, s5, v17, s8
	s_delay_alu instid0(VALU_DEP_1)
	v_add_co_ci_u32_e64 v51, s5, s9, v18, s5
	global_load_b32 v50, v[50:51], off
	s_or_b32 exec_lo, exec_lo, s25
	s_and_saveexec_b32 s5, vcc_lo
	s_cbranch_execz .LBB2_19
.LBB2_24:                               ;   in Loop: Header=BB2_4 Depth=1
	s_waitcnt vmcnt(0)
	v_mul_lo_u32 v43, v43, s24
	s_delay_alu instid0(VALU_DEP_1)
	v_mad_u64_u32 v[51:52], null, v43, v44, v[1:2]
	v_add_co_u32 v43, vcc_lo, v11, s8
	v_add_co_ci_u32_e32 v44, vcc_lo, s9, v12, vcc_lo
	global_store_b32 v[43:44], v51, off
	s_or_b32 exec_lo, exec_lo, s5
	s_and_saveexec_b32 s5, s2
	s_cbranch_execz .LBB2_20
.LBB2_25:                               ;   in Loop: Header=BB2_4 Depth=1
	s_waitcnt vmcnt(0)
	v_mul_lo_u32 v1, v45, s24
	s_delay_alu instid0(VALU_DEP_1)
	v_mad_u64_u32 v[43:44], null, v1, v46, v[2:3]
	v_add_co_u32 v1, vcc_lo, v41, s8
	v_add_co_ci_u32_e32 v2, vcc_lo, s9, v42, vcc_lo
	global_store_b32 v[1:2], v43, off
	s_or_b32 exec_lo, exec_lo, s5
	s_and_saveexec_b32 s2, s3
	s_cbranch_execz .LBB2_21
.LBB2_26:                               ;   in Loop: Header=BB2_4 Depth=1
	s_waitcnt vmcnt(0)
	v_mul_lo_u32 v43, v47, s24
	s_delay_alu instid0(VALU_DEP_1)
	v_mad_u64_u32 v[1:2], null, v43, v48, v[3:4]
	v_add_co_u32 v2, vcc_lo, v30, s8
	v_add_co_ci_u32_e32 v3, vcc_lo, s9, v31, vcc_lo
	global_store_b32 v[2:3], v1, off
	s_or_b32 exec_lo, exec_lo, s2
	s_and_saveexec_b32 s2, s4
	s_cbranch_execz .LBB2_3
.LBB2_27:                               ;   in Loop: Header=BB2_4 Depth=1
	s_waitcnt vmcnt(0)
	v_mul_lo_u32 v3, v49, s24
	s_delay_alu instid0(VALU_DEP_1)
	v_mad_u64_u32 v[1:2], null, v3, v50, v[4:5]
	v_add_co_u32 v2, vcc_lo, v19, s8
	v_add_co_ci_u32_e32 v3, vcc_lo, s9, v20, vcc_lo
	global_store_b32 v[2:3], v1, off
	s_branch .LBB2_3
.LBB2_28:
	s_mov_b32 s10, 0
.LBB2_29:
	s_delay_alu instid0(SALU_CYCLE_1)
	s_and_not1_b32 vcc_lo, exec_lo, s10
	s_cbranch_vccnz .LBB2_33
; %bb.30:
	s_waitcnt vmcnt(1)
	v_dual_mov_b32 v2, 0 :: v_dual_lshlrev_b32 v1, 2, v0
	s_mov_b32 s2, 0
	s_mov_b32 s3, exec_lo
	s_delay_alu instid0(VALU_DEP_1)
	v_cmpx_gt_i64_e64 s[6:7], v[1:2]
	s_cbranch_execz .LBB2_33
; %bb.31:
	s_load_b32 s0, s[0:1], 0xbfc
	s_waitcnt lgkmcnt(0)
	s_and_b32 s0, s0, 0xffff
	s_delay_alu instid0(SALU_CYCLE_1)
	v_add_lshl_u32 v1, v0, s0, 2
	v_lshlrev_b32_e32 v0, 4, v0
	s_lshl_b32 s3, s0, 2
	s_lshl_b32 s4, s0, 4
.LBB2_32:                               ; =>This Inner Loop Header: Depth=1
	s_delay_alu instid0(VALU_DEP_1) | instskip(NEXT) | instid1(VALU_DEP_1)
	v_add_co_u32 v3, s0, s18, v0
	v_add_co_ci_u32_e64 v4, null, s19, 0, s0
	v_add_co_u32 v7, s0, s16, v0
	s_delay_alu instid0(VALU_DEP_1)
	v_add_co_ci_u32_e64 v8, null, s17, 0, s0
	v_add_co_u32 v11, s0, s20, v0
	global_load_b128 v[3:6], v[3:4], off
	v_add_co_ci_u32_e64 v12, null, s21, 0, s0
	global_load_b128 v[7:10], v[7:8], off
	global_load_b128 v[11:14], v[11:12], off
	v_cmp_le_i64_e32 vcc_lo, s[6:7], v[1:2]
	v_cmp_lt_u64_e64 s0, 0xffff, v[1:2]
	v_add_co_u32 v15, s1, s22, v0
	s_delay_alu instid0(VALU_DEP_1) | instskip(SKIP_1) | instid1(VALU_DEP_4)
	v_add_co_ci_u32_e64 v16, null, s23, 0, s1
	v_add_co_u32 v1, s1, v1, s3
	s_or_b32 s0, vcc_lo, s0
	s_add_u32 s16, s16, s4
	s_addc_u32 s17, s17, 0
	s_add_u32 s22, s22, s4
	s_addc_u32 s23, s23, 0
	;; [unrolled: 2-line block ×3, first 2 shown]
	s_add_u32 s20, s20, s4
	v_add_co_ci_u32_e64 v2, s1, 0, v2, s1
	s_addc_u32 s21, s21, 0
	s_and_b32 s0, exec_lo, s0
	s_delay_alu instid0(SALU_CYCLE_1)
	s_or_b32 s2, s0, s2
	s_waitcnt vmcnt(2)
	v_mul_lo_u32 v6, v6, s24
	v_mul_lo_u32 v19, v3, s24
	;; [unrolled: 1-line block ×4, first 2 shown]
	s_waitcnt vmcnt(1)
	v_mov_b32_e32 v3, v10
	s_waitcnt vmcnt(0)
	s_delay_alu instid0(VALU_DEP_1) | instskip(SKIP_3) | instid1(VALU_DEP_4)
	v_mad_u64_u32 v[17:18], null, v6, v14, v[3:4]
	v_mad_u64_u32 v[3:4], null, v19, v11, v[7:8]
	;; [unrolled: 1-line block ×4, first 2 shown]
	v_mov_b32_e32 v6, v17
	global_store_b128 v[15:16], v[3:6], off
	s_and_not1_b32 exec_lo, exec_lo, s2
	s_cbranch_execnz .LBB2_32
.LBB2_33:
	s_nop 0
	s_sendmsg sendmsg(MSG_DEALLOC_VGPRS)
	s_endpgm
	.section	.rodata,"a",@progbits
	.p2align	6, 0x0
	.amdhsa_kernel _ZN2at6native12_GLOBAL__N_125multi_tensor_apply_kernelINS1_18TensorListMetadataILi4EEENS1_24PointwiseOpScalarFunctorIiLi4ELi3ELi3EEEJSt10multipliesIiEiEEEvT_T0_DpT1_
		.amdhsa_group_segment_fixed_size 0
		.amdhsa_private_segment_fixed_size 0
		.amdhsa_kernarg_size 3312
		.amdhsa_user_sgpr_count 15
		.amdhsa_user_sgpr_dispatch_ptr 0
		.amdhsa_user_sgpr_queue_ptr 0
		.amdhsa_user_sgpr_kernarg_segment_ptr 1
		.amdhsa_user_sgpr_dispatch_id 0
		.amdhsa_user_sgpr_private_segment_size 0
		.amdhsa_wavefront_size32 1
		.amdhsa_uses_dynamic_stack 0
		.amdhsa_enable_private_segment 0
		.amdhsa_system_sgpr_workgroup_id_x 1
		.amdhsa_system_sgpr_workgroup_id_y 0
		.amdhsa_system_sgpr_workgroup_id_z 0
		.amdhsa_system_sgpr_workgroup_info 0
		.amdhsa_system_vgpr_workitem_id 0
		.amdhsa_next_free_vgpr 53
		.amdhsa_next_free_sgpr 29
		.amdhsa_reserve_vcc 1
		.amdhsa_float_round_mode_32 0
		.amdhsa_float_round_mode_16_64 0
		.amdhsa_float_denorm_mode_32 3
		.amdhsa_float_denorm_mode_16_64 3
		.amdhsa_dx10_clamp 1
		.amdhsa_ieee_mode 1
		.amdhsa_fp16_overflow 0
		.amdhsa_workgroup_processor_mode 1
		.amdhsa_memory_ordered 1
		.amdhsa_forward_progress 0
		.amdhsa_shared_vgpr_count 0
		.amdhsa_exception_fp_ieee_invalid_op 0
		.amdhsa_exception_fp_denorm_src 0
		.amdhsa_exception_fp_ieee_div_zero 0
		.amdhsa_exception_fp_ieee_overflow 0
		.amdhsa_exception_fp_ieee_underflow 0
		.amdhsa_exception_fp_ieee_inexact 0
		.amdhsa_exception_int_div_zero 0
	.end_amdhsa_kernel
	.section	.text._ZN2at6native12_GLOBAL__N_125multi_tensor_apply_kernelINS1_18TensorListMetadataILi4EEENS1_24PointwiseOpScalarFunctorIiLi4ELi3ELi3EEEJSt10multipliesIiEiEEEvT_T0_DpT1_,"axG",@progbits,_ZN2at6native12_GLOBAL__N_125multi_tensor_apply_kernelINS1_18TensorListMetadataILi4EEENS1_24PointwiseOpScalarFunctorIiLi4ELi3ELi3EEEJSt10multipliesIiEiEEEvT_T0_DpT1_,comdat
.Lfunc_end2:
	.size	_ZN2at6native12_GLOBAL__N_125multi_tensor_apply_kernelINS1_18TensorListMetadataILi4EEENS1_24PointwiseOpScalarFunctorIiLi4ELi3ELi3EEEJSt10multipliesIiEiEEEvT_T0_DpT1_, .Lfunc_end2-_ZN2at6native12_GLOBAL__N_125multi_tensor_apply_kernelINS1_18TensorListMetadataILi4EEENS1_24PointwiseOpScalarFunctorIiLi4ELi3ELi3EEEJSt10multipliesIiEiEEEvT_T0_DpT1_
                                        ; -- End function
	.section	.AMDGPU.csdata,"",@progbits
; Kernel info:
; codeLenInByte = 2208
; NumSgprs: 31
; NumVgprs: 53
; ScratchSize: 0
; MemoryBound: 0
; FloatMode: 240
; IeeeMode: 1
; LDSByteSize: 0 bytes/workgroup (compile time only)
; SGPRBlocks: 3
; VGPRBlocks: 6
; NumSGPRsForWavesPerEU: 31
; NumVGPRsForWavesPerEU: 53
; Occupancy: 16
; WaveLimiterHint : 0
; COMPUTE_PGM_RSRC2:SCRATCH_EN: 0
; COMPUTE_PGM_RSRC2:USER_SGPR: 15
; COMPUTE_PGM_RSRC2:TRAP_HANDLER: 0
; COMPUTE_PGM_RSRC2:TGID_X_EN: 1
; COMPUTE_PGM_RSRC2:TGID_Y_EN: 0
; COMPUTE_PGM_RSRC2:TGID_Z_EN: 0
; COMPUTE_PGM_RSRC2:TIDIG_COMP_CNT: 0
	.section	.text._ZN2at6native12_GLOBAL__N_125multi_tensor_apply_kernelINS1_18TensorListMetadataILi4EEENS1_24PointwiseOpScalarFunctorIlLi4ELi3ELi3EEEJSt10multipliesIlElEEEvT_T0_DpT1_,"axG",@progbits,_ZN2at6native12_GLOBAL__N_125multi_tensor_apply_kernelINS1_18TensorListMetadataILi4EEENS1_24PointwiseOpScalarFunctorIlLi4ELi3ELi3EEEJSt10multipliesIlElEEEvT_T0_DpT1_,comdat
	.globl	_ZN2at6native12_GLOBAL__N_125multi_tensor_apply_kernelINS1_18TensorListMetadataILi4EEENS1_24PointwiseOpScalarFunctorIlLi4ELi3ELi3EEEJSt10multipliesIlElEEEvT_T0_DpT1_ ; -- Begin function _ZN2at6native12_GLOBAL__N_125multi_tensor_apply_kernelINS1_18TensorListMetadataILi4EEENS1_24PointwiseOpScalarFunctorIlLi4ELi3ELi3EEEJSt10multipliesIlElEEEvT_T0_DpT1_
	.p2align	8
	.type	_ZN2at6native12_GLOBAL__N_125multi_tensor_apply_kernelINS1_18TensorListMetadataILi4EEENS1_24PointwiseOpScalarFunctorIlLi4ELi3ELi3EEEJSt10multipliesIlElEEEvT_T0_DpT1_,@function
_ZN2at6native12_GLOBAL__N_125multi_tensor_apply_kernelINS1_18TensorListMetadataILi4EEENS1_24PointwiseOpScalarFunctorIlLi4ELi3ELi3EEEJSt10multipliesIlElEEEvT_T0_DpT1_: ; @_ZN2at6native12_GLOBAL__N_125multi_tensor_apply_kernelINS1_18TensorListMetadataILi4EEENS1_24PointwiseOpScalarFunctorIlLi4ELi3ELi3EEEJSt10multipliesIlElEEEvT_T0_DpT1_
; %bb.0:
	v_mov_b32_e32 v1, s15
	s_add_u32 s2, s0, s15
	s_mul_hi_u32 s3, s15, 3
	s_mul_i32 s15, s15, 3
	s_addc_u32 s4, s1, 0
	global_load_u8 v1, v1, s[0:1] offset:1440
	s_add_u32 s2, s2, s15
	s_addc_u32 s3, s4, s3
	s_mov_b32 s13, 0
	s_load_b32 s8, s[2:3], 0x6e0
	s_mov_b32 s7, s13
	s_waitcnt lgkmcnt(0)
	s_ashr_i32 s9, s8, 31
	s_delay_alu instid0(SALU_CYCLE_1) | instskip(SKIP_2) | instid1(VALU_DEP_1)
	s_lshl_b64 s[10:11], s[8:9], 19
	s_waitcnt vmcnt(0)
	v_readfirstlane_b32 s2, v1
	s_lshl_b32 s6, s2, 3
	s_clause 0x4
	s_load_b64 s[2:3], s[0:1], s6 offset:0x0
	s_load_b64 s[4:5], s[0:1], s6 offset:0x120
	;; [unrolled: 1-line block ×5, first 2 shown]
	s_waitcnt lgkmcnt(0)
	s_add_u32 s18, s2, s10
	s_addc_u32 s19, s3, s11
	s_and_b32 s12, s18, 31
	s_add_u32 s20, s4, s10
	s_addc_u32 s21, s5, s11
	s_and_b32 s6, s20, 31
	s_delay_alu instid0(SALU_CYCLE_1)
	s_cmp_eq_u64 s[6:7], 0
	s_cselect_b32 s28, -1, 0
	s_add_u32 s22, s14, s10
	s_addc_u32 s23, s15, s11
	s_add_u32 s24, s16, s10
	s_addc_u32 s25, s17, s11
	s_or_b32 s6, s24, s22
	s_delay_alu instid0(SALU_CYCLE_1) | instskip(NEXT) | instid1(SALU_CYCLE_1)
	s_and_b32 s6, s6, 31
	s_cmp_eq_u32 s6, 0
	s_load_b64 s[6:7], s[0:1], 0xbf0
	s_cselect_b32 s29, -1, 0
	s_lshl_b64 s[8:9], s[8:9], 16
	s_and_b32 s28, s29, s28
	s_sub_u32 s8, s26, s8
	s_subb_u32 s9, s27, s9
	s_and_b32 s26, s26, 3
	s_mov_b32 s27, s13
	s_delay_alu instid0(SALU_CYCLE_1) | instskip(NEXT) | instid1(SALU_CYCLE_1)
	s_or_b64 s[12:13], s[12:13], s[26:27]
	s_cmp_eq_u64 s[12:13], 0
	s_cselect_b32 s12, -1, 0
	s_delay_alu instid0(SALU_CYCLE_1) | instskip(NEXT) | instid1(SALU_CYCLE_1)
	s_and_b32 s12, s28, s12
	s_and_b32 vcc_lo, exec_lo, s12
	s_mov_b32 s12, -1
	s_cbranch_vccnz .LBB3_29
; %bb.1:
	v_cmp_lt_i64_e64 s12, s[8:9], 1
	s_delay_alu instid0(VALU_DEP_1)
	s_and_b32 vcc_lo, exec_lo, s12
	s_cbranch_vccnz .LBB3_28
; %bb.2:
	s_load_b32 s12, s[0:1], 0xc04
	v_dual_mov_b32 v2, 0 :: v_dual_lshlrev_b32 v1, 3, v0
	v_cmp_gt_u64_e64 s13, 0x10000, s[8:9]
	s_delay_alu instid0(VALU_DEP_2) | instskip(NEXT) | instid1(VALU_DEP_1)
	v_add_co_u32 v25, s26, s2, v1
	v_add_co_ci_u32_e64 v26, null, s3, 0, s26
	v_add_co_u32 v27, s26, s4, v1
	s_delay_alu instid0(VALU_DEP_1) | instskip(SKIP_1) | instid1(VALU_DEP_1)
	v_add_co_ci_u32_e64 v28, null, s5, 0, s26
	v_add_co_u32 v29, s26, s14, v1
	v_add_co_ci_u32_e64 v30, null, s15, 0, s26
	s_waitcnt lgkmcnt(0)
	s_and_b32 s26, s12, 0xffff
	v_add_co_u32 v31, s12, s16, v1
	v_mad_u64_u32 v[3:4], null, s26, 24, v[1:2]
	v_add_co_ci_u32_e64 v32, null, s17, 0, s12
	s_and_b32 s12, s13, exec_lo
	s_cselect_b32 s13, s9, 0
	s_cselect_b32 s12, s8, 0x10000
	s_lshl_b32 s29, s26, 4
	s_delay_alu instid0(VALU_DEP_2) | instskip(NEXT) | instid1(VALU_DEP_3)
	v_add_co_u32 v33, vcc_lo, s2, v3
	v_add_co_ci_u32_e32 v34, vcc_lo, s3, v4, vcc_lo
	v_add_co_u32 v35, vcc_lo, s4, v3
	v_add_co_ci_u32_e32 v36, vcc_lo, s5, v4, vcc_lo
	v_add_co_u32 v37, vcc_lo, s14, v3
	v_add_co_u32 v1, s29, s29, v1
	v_add_co_ci_u32_e32 v38, vcc_lo, s15, v4, vcc_lo
	v_add_co_u32 v39, vcc_lo, s16, v3
	v_add_co_ci_u32_e64 v2, null, 0, 0, s29
	v_add_co_ci_u32_e32 v40, vcc_lo, s17, v4, vcc_lo
	s_mul_i32 s28, s26, 3
	v_add_co_u32 v43, vcc_lo, s2, v1
	v_add_co_u32 v41, s28, s28, v0
	v_add_co_ci_u32_e32 v44, vcc_lo, s3, v2, vcc_lo
	v_add_co_u32 v45, vcc_lo, s4, v1
	v_add_co_ci_u32_e64 v42, null, 0, 0, s28
	v_add_co_u32 v49, s28, v0, s26
	v_add_co_ci_u32_e32 v46, vcc_lo, s5, v2, vcc_lo
	v_add_co_u32 v47, vcc_lo, s14, v1
	v_add_co_ci_u32_e32 v48, vcc_lo, s15, v2, vcc_lo
	v_add_co_u32 v50, vcc_lo, s16, v1
	v_lshlrev_b32_e32 v1, 3, v49
	s_lshl_b32 s27, s26, 1
	v_add_co_ci_u32_e32 v51, vcc_lo, s17, v2, vcc_lo
	v_add_co_u32 v53, s27, s27, v0
	s_delay_alu instid0(VALU_DEP_3) | instskip(NEXT) | instid1(VALU_DEP_1)
	v_add_co_u32 v55, s2, s2, v1
	v_add_co_ci_u32_e64 v56, null, s3, 0, s2
	v_add_co_u32 v57, s2, s4, v1
	s_delay_alu instid0(VALU_DEP_1) | instskip(SKIP_1) | instid1(VALU_DEP_1)
	v_add_co_ci_u32_e64 v58, null, s5, 0, s2
	v_add_co_u32 v59, s2, s14, v1
	v_add_co_ci_u32_e64 v60, null, s15, 0, s2
	v_add_co_u32 v61, s2, s16, v1
	v_add_co_ci_u32_e64 v52, null, 0, 0, s28
	v_add_co_ci_u32_e64 v54, null, 0, 0, s27
	;; [unrolled: 1-line block ×3, first 2 shown]
	s_lshl_b32 s16, s26, 2
	s_lshl_b32 s17, s26, 5
	s_mov_b64 s[14:15], 0
	s_branch .LBB3_4
.LBB3_3:                                ;   in Loop: Header=BB3_4 Depth=1
	s_or_b32 exec_lo, exec_lo, s2
	v_add_co_u32 v25, vcc_lo, v25, s17
	v_add_co_ci_u32_e32 v26, vcc_lo, 0, v26, vcc_lo
	v_add_co_u32 v27, vcc_lo, v27, s17
	v_add_co_ci_u32_e32 v28, vcc_lo, 0, v28, vcc_lo
	v_add_co_u32 v29, vcc_lo, v29, s17
	v_add_co_ci_u32_e32 v30, vcc_lo, 0, v30, vcc_lo
	v_add_co_u32 v31, vcc_lo, v31, s17
	v_add_co_ci_u32_e32 v32, vcc_lo, 0, v32, vcc_lo
	v_add_co_u32 v33, vcc_lo, v33, s17
	v_add_co_ci_u32_e32 v34, vcc_lo, 0, v34, vcc_lo
	v_add_co_u32 v35, vcc_lo, v35, s17
	v_add_co_ci_u32_e32 v36, vcc_lo, 0, v36, vcc_lo
	v_add_co_u32 v37, vcc_lo, v37, s17
	v_add_co_ci_u32_e32 v38, vcc_lo, 0, v38, vcc_lo
	v_add_co_u32 v39, vcc_lo, v39, s17
	v_add_co_ci_u32_e32 v40, vcc_lo, 0, v40, vcc_lo
	v_add_co_u32 v43, vcc_lo, v43, s17
	v_add_co_ci_u32_e32 v44, vcc_lo, 0, v44, vcc_lo
	v_add_co_u32 v45, vcc_lo, v45, s17
	v_add_co_ci_u32_e32 v46, vcc_lo, 0, v46, vcc_lo
	v_add_co_u32 v47, vcc_lo, v47, s17
	v_add_co_ci_u32_e32 v48, vcc_lo, 0, v48, vcc_lo
	v_add_co_u32 v50, vcc_lo, v50, s17
	v_add_co_ci_u32_e32 v51, vcc_lo, 0, v51, vcc_lo
	v_add_co_u32 v55, vcc_lo, v55, s17
	v_add_co_ci_u32_e32 v56, vcc_lo, 0, v56, vcc_lo
	s_add_u32 s14, s14, s16
	v_add_co_u32 v57, vcc_lo, v57, s17
	s_addc_u32 s15, s15, 0
	v_add_co_ci_u32_e32 v58, vcc_lo, 0, v58, vcc_lo
	v_cmp_lt_i64_e64 s2, s[14:15], s[8:9]
	v_cmp_gt_u64_e64 s3, 0x10000, s[14:15]
	v_add_co_u32 v59, vcc_lo, v59, s17
	v_add_co_ci_u32_e32 v60, vcc_lo, 0, v60, vcc_lo
	v_add_co_u32 v61, vcc_lo, v61, s17
	v_add_co_ci_u32_e32 v62, vcc_lo, 0, v62, vcc_lo
	s_and_b32 s2, s2, s3
	s_delay_alu instid0(SALU_CYCLE_1)
	s_and_b32 vcc_lo, exec_lo, s2
	s_cbranch_vccz .LBB3_28
.LBB3_4:                                ; =>This Inner Loop Header: Depth=1
	s_waitcnt vmcnt(1)
	v_add_co_u32 v3, s2, v0, s14
	s_delay_alu instid0(VALU_DEP_1) | instskip(SKIP_3) | instid1(VALU_DEP_3)
	v_add_co_ci_u32_e64 v4, null, 0, s15, s2
	s_waitcnt vmcnt(0)
	v_mov_b32_e32 v1, 0
	v_mov_b32_e32 v2, 0
	v_cmp_gt_u64_e32 vcc_lo, s[12:13], v[3:4]
	s_delay_alu instid0(VALU_DEP_2)
	v_dual_mov_b32 v4, v2 :: v_dual_mov_b32 v3, v1
	v_dual_mov_b32 v6, v2 :: v_dual_mov_b32 v5, v1
	s_and_saveexec_b32 s3, vcc_lo
	s_cbranch_execz .LBB3_6
; %bb.5:                                ;   in Loop: Header=BB3_4 Depth=1
	v_add_co_u32 v3, s2, v25, s10
	s_delay_alu instid0(VALU_DEP_1) | instskip(SKIP_1) | instid1(VALU_DEP_1)
	v_add_co_ci_u32_e64 v4, s2, s11, v26, s2
	v_add_co_u32 v5, s2, v27, s10
	v_add_co_ci_u32_e64 v6, s2, s11, v28, s2
	global_load_b64 v[3:4], v[3:4], off
	global_load_b64 v[5:6], v[5:6], off
.LBB3_6:                                ;   in Loop: Header=BB3_4 Depth=1
	s_or_b32 exec_lo, exec_lo, s3
	s_and_saveexec_b32 s3, vcc_lo
	s_cbranch_execz .LBB3_8
; %bb.7:                                ;   in Loop: Header=BB3_4 Depth=1
	v_add_co_u32 v1, s2, v29, s10
	s_delay_alu instid0(VALU_DEP_1)
	v_add_co_ci_u32_e64 v2, s2, s11, v30, s2
	global_load_b64 v[1:2], v[1:2], off
.LBB3_8:                                ;   in Loop: Header=BB3_4 Depth=1
	s_or_b32 exec_lo, exec_lo, s3
	v_add_co_u32 v9, s2, v49, s14
	s_delay_alu instid0(VALU_DEP_1) | instskip(SKIP_2) | instid1(VALU_DEP_3)
	v_add_co_ci_u32_e64 v10, s2, s15, v52, s2
	v_mov_b32_e32 v7, 0
	v_mov_b32_e32 v8, 0
	v_cmp_gt_u64_e64 s2, s[12:13], v[9:10]
	s_delay_alu instid0(VALU_DEP_2) | instskip(SKIP_1) | instid1(VALU_DEP_3)
	v_dual_mov_b32 v10, v8 :: v_dual_mov_b32 v9, v7
	v_dual_mov_b32 v12, v8 :: v_dual_mov_b32 v11, v7
	s_and_saveexec_b32 s4, s2
	s_cbranch_execz .LBB3_10
; %bb.9:                                ;   in Loop: Header=BB3_4 Depth=1
	v_add_co_u32 v9, s3, v55, s10
	s_delay_alu instid0(VALU_DEP_1) | instskip(SKIP_1) | instid1(VALU_DEP_1)
	v_add_co_ci_u32_e64 v10, s3, s11, v56, s3
	v_add_co_u32 v11, s3, v57, s10
	v_add_co_ci_u32_e64 v12, s3, s11, v58, s3
	global_load_b64 v[9:10], v[9:10], off
	global_load_b64 v[11:12], v[11:12], off
.LBB3_10:                               ;   in Loop: Header=BB3_4 Depth=1
	s_or_b32 exec_lo, exec_lo, s4
	s_and_saveexec_b32 s4, s2
	s_cbranch_execz .LBB3_12
; %bb.11:                               ;   in Loop: Header=BB3_4 Depth=1
	v_add_co_u32 v7, s3, v59, s10
	s_delay_alu instid0(VALU_DEP_1)
	v_add_co_ci_u32_e64 v8, s3, s11, v60, s3
	global_load_b64 v[7:8], v[7:8], off
.LBB3_12:                               ;   in Loop: Header=BB3_4 Depth=1
	s_or_b32 exec_lo, exec_lo, s4
	v_add_co_u32 v15, s3, v53, s14
	s_delay_alu instid0(VALU_DEP_1) | instskip(SKIP_2) | instid1(VALU_DEP_3)
	v_add_co_ci_u32_e64 v16, s3, s15, v54, s3
	v_mov_b32_e32 v13, 0
	v_mov_b32_e32 v14, 0
	v_cmp_gt_u64_e64 s3, s[12:13], v[15:16]
	s_delay_alu instid0(VALU_DEP_2) | instskip(SKIP_1) | instid1(VALU_DEP_3)
	v_dual_mov_b32 v16, v14 :: v_dual_mov_b32 v15, v13
	v_dual_mov_b32 v18, v14 :: v_dual_mov_b32 v17, v13
	s_and_saveexec_b32 s5, s3
	s_cbranch_execz .LBB3_14
; %bb.13:                               ;   in Loop: Header=BB3_4 Depth=1
	v_add_co_u32 v15, s4, v43, s10
	s_delay_alu instid0(VALU_DEP_1) | instskip(SKIP_1) | instid1(VALU_DEP_1)
	v_add_co_ci_u32_e64 v16, s4, s11, v44, s4
	v_add_co_u32 v17, s4, v45, s10
	v_add_co_ci_u32_e64 v18, s4, s11, v46, s4
	global_load_b64 v[15:16], v[15:16], off
	global_load_b64 v[17:18], v[17:18], off
.LBB3_14:                               ;   in Loop: Header=BB3_4 Depth=1
	s_or_b32 exec_lo, exec_lo, s5
	s_and_saveexec_b32 s5, s3
	s_cbranch_execz .LBB3_16
; %bb.15:                               ;   in Loop: Header=BB3_4 Depth=1
	v_add_co_u32 v13, s4, v47, s10
	s_delay_alu instid0(VALU_DEP_1)
	v_add_co_ci_u32_e64 v14, s4, s11, v48, s4
	global_load_b64 v[13:14], v[13:14], off
.LBB3_16:                               ;   in Loop: Header=BB3_4 Depth=1
	s_or_b32 exec_lo, exec_lo, s5
	v_add_co_u32 v21, s4, v41, s14
	s_delay_alu instid0(VALU_DEP_1) | instskip(SKIP_2) | instid1(VALU_DEP_3)
	v_add_co_ci_u32_e64 v22, s4, s15, v42, s4
	v_mov_b32_e32 v19, 0
	v_mov_b32_e32 v20, 0
	v_cmp_gt_u64_e64 s4, s[12:13], v[21:22]
	s_delay_alu instid0(VALU_DEP_2) | instskip(SKIP_1) | instid1(VALU_DEP_3)
	v_dual_mov_b32 v22, v20 :: v_dual_mov_b32 v21, v19
	v_dual_mov_b32 v24, v20 :: v_dual_mov_b32 v23, v19
	s_and_saveexec_b32 s26, s4
	s_cbranch_execnz .LBB3_22
; %bb.17:                               ;   in Loop: Header=BB3_4 Depth=1
	s_or_b32 exec_lo, exec_lo, s26
	s_and_saveexec_b32 s26, s4
	s_cbranch_execnz .LBB3_23
.LBB3_18:                               ;   in Loop: Header=BB3_4 Depth=1
	s_or_b32 exec_lo, exec_lo, s26
	s_and_saveexec_b32 s5, vcc_lo
	s_cbranch_execnz .LBB3_24
.LBB3_19:                               ;   in Loop: Header=BB3_4 Depth=1
	s_or_b32 exec_lo, exec_lo, s5
	s_and_saveexec_b32 s5, s2
	s_cbranch_execnz .LBB3_25
.LBB3_20:                               ;   in Loop: Header=BB3_4 Depth=1
	s_or_b32 exec_lo, exec_lo, s5
	s_and_saveexec_b32 s2, s3
	s_cbranch_execnz .LBB3_26
.LBB3_21:                               ;   in Loop: Header=BB3_4 Depth=1
	s_or_b32 exec_lo, exec_lo, s2
	s_and_saveexec_b32 s2, s4
	s_cbranch_execz .LBB3_3
	s_branch .LBB3_27
.LBB3_22:                               ;   in Loop: Header=BB3_4 Depth=1
	v_add_co_u32 v21, s5, v33, s10
	s_delay_alu instid0(VALU_DEP_1) | instskip(SKIP_1) | instid1(VALU_DEP_1)
	v_add_co_ci_u32_e64 v22, s5, s11, v34, s5
	v_add_co_u32 v23, s5, v35, s10
	v_add_co_ci_u32_e64 v24, s5, s11, v36, s5
	global_load_b64 v[21:22], v[21:22], off
	global_load_b64 v[23:24], v[23:24], off
	s_or_b32 exec_lo, exec_lo, s26
	s_and_saveexec_b32 s26, s4
	s_cbranch_execz .LBB3_18
.LBB3_23:                               ;   in Loop: Header=BB3_4 Depth=1
	v_add_co_u32 v19, s5, v37, s10
	s_delay_alu instid0(VALU_DEP_1)
	v_add_co_ci_u32_e64 v20, s5, s11, v38, s5
	global_load_b64 v[19:20], v[19:20], off
	s_or_b32 exec_lo, exec_lo, s26
	s_and_saveexec_b32 s5, vcc_lo
	s_cbranch_execz .LBB3_19
.LBB3_24:                               ;   in Loop: Header=BB3_4 Depth=1
	s_waitcnt vmcnt(0)
	v_mul_lo_u32 v6, v6, s6
	v_mul_lo_u32 v65, v5, s7
	v_mad_u64_u32 v[63:64], null, v5, s6, 0
	s_delay_alu instid0(VALU_DEP_1) | instskip(NEXT) | instid1(VALU_DEP_2)
	v_add3_u32 v5, v64, v65, v6
	v_mul_lo_u32 v64, v63, v2
	s_delay_alu instid0(VALU_DEP_2) | instskip(SKIP_3) | instid1(VALU_DEP_3)
	v_mul_lo_u32 v65, v5, v1
	v_mad_u64_u32 v[5:6], null, v63, v1, v[3:4]
	v_add_co_u32 v1, vcc_lo, v31, s10
	v_add_co_ci_u32_e32 v2, vcc_lo, s11, v32, vcc_lo
	v_add3_u32 v6, v65, v6, v64
	global_store_b64 v[1:2], v[5:6], off
	s_or_b32 exec_lo, exec_lo, s5
	s_and_saveexec_b32 s5, s2
	s_cbranch_execz .LBB3_20
.LBB3_25:                               ;   in Loop: Header=BB3_4 Depth=1
	s_waitcnt vmcnt(0)
	v_mul_lo_u32 v3, v12, s6
	v_mul_lo_u32 v4, v11, s7
	v_mad_u64_u32 v[1:2], null, v11, s6, 0
	s_delay_alu instid0(VALU_DEP_1) | instskip(NEXT) | instid1(VALU_DEP_2)
	v_add3_u32 v4, v2, v4, v3
	v_mul_lo_u32 v5, v1, v8
	v_mad_u64_u32 v[2:3], null, v1, v7, v[9:10]
	s_delay_alu instid0(VALU_DEP_3) | instskip(SKIP_1) | instid1(VALU_DEP_2)
	v_mul_lo_u32 v1, v4, v7
	v_add_co_u32 v4, vcc_lo, v61, s10
	v_add3_u32 v3, v1, v3, v5
	v_add_co_ci_u32_e32 v5, vcc_lo, s11, v62, vcc_lo
	global_store_b64 v[4:5], v[2:3], off
	s_or_b32 exec_lo, exec_lo, s5
	s_and_saveexec_b32 s2, s3
	s_cbranch_execz .LBB3_21
.LBB3_26:                               ;   in Loop: Header=BB3_4 Depth=1
	s_waitcnt vmcnt(0)
	v_mul_lo_u32 v3, v18, s6
	v_mul_lo_u32 v4, v17, s7
	v_mad_u64_u32 v[1:2], null, v17, s6, 0
	s_delay_alu instid0(VALU_DEP_1) | instskip(NEXT) | instid1(VALU_DEP_2)
	v_add3_u32 v4, v2, v4, v3
	v_mul_lo_u32 v5, v1, v14
	v_mad_u64_u32 v[2:3], null, v1, v13, v[15:16]
	s_delay_alu instid0(VALU_DEP_3) | instskip(SKIP_1) | instid1(VALU_DEP_2)
	v_mul_lo_u32 v1, v4, v13
	v_add_co_u32 v4, vcc_lo, v50, s10
	v_add3_u32 v3, v1, v3, v5
	v_add_co_ci_u32_e32 v5, vcc_lo, s11, v51, vcc_lo
	global_store_b64 v[4:5], v[2:3], off
	s_or_b32 exec_lo, exec_lo, s2
	s_and_saveexec_b32 s2, s4
	s_cbranch_execz .LBB3_3
.LBB3_27:                               ;   in Loop: Header=BB3_4 Depth=1
	s_waitcnt vmcnt(0)
	v_mul_lo_u32 v3, v24, s6
	v_mul_lo_u32 v4, v23, s7
	v_mad_u64_u32 v[1:2], null, v23, s6, 0
	s_delay_alu instid0(VALU_DEP_1) | instskip(NEXT) | instid1(VALU_DEP_2)
	v_add3_u32 v4, v2, v4, v3
	v_mul_lo_u32 v5, v1, v20
	v_mad_u64_u32 v[2:3], null, v1, v19, v[21:22]
	s_delay_alu instid0(VALU_DEP_3) | instskip(SKIP_1) | instid1(VALU_DEP_2)
	v_mul_lo_u32 v1, v4, v19
	v_add_co_u32 v4, vcc_lo, v39, s10
	v_add3_u32 v3, v1, v3, v5
	v_add_co_ci_u32_e32 v5, vcc_lo, s11, v40, vcc_lo
	global_store_b64 v[4:5], v[2:3], off
	s_branch .LBB3_3
.LBB3_28:
	s_mov_b32 s12, 0
.LBB3_29:
	s_delay_alu instid0(SALU_CYCLE_1)
	s_and_not1_b32 vcc_lo, exec_lo, s12
	s_cbranch_vccnz .LBB3_33
; %bb.30:
	s_waitcnt vmcnt(0)
	v_dual_mov_b32 v2, 0 :: v_dual_lshlrev_b32 v1, 2, v0
	s_mov_b32 s2, 0
	s_mov_b32 s3, exec_lo
	s_delay_alu instid0(VALU_DEP_1)
	v_cmpx_gt_i64_e64 s[8:9], v[1:2]
	s_cbranch_execz .LBB3_33
; %bb.31:
	s_load_b32 s0, s[0:1], 0xc04
	s_waitcnt lgkmcnt(0)
	s_and_b32 s0, s0, 0xffff
	s_delay_alu instid0(SALU_CYCLE_1)
	v_add_lshl_u32 v1, v0, s0, 2
	v_lshlrev_b32_e32 v0, 5, v0
	s_lshl_b32 s3, s0, 2
	s_lshl_b32 s4, s0, 5
.LBB3_32:                               ; =>This Inner Loop Header: Depth=1
	s_delay_alu instid0(VALU_DEP_1) | instskip(NEXT) | instid1(VALU_DEP_1)
	v_add_co_u32 v23, s0, s18, v0
	v_add_co_ci_u32_e64 v24, null, s19, 0, s0
	v_add_co_u32 v7, s0, s20, v0
	s_delay_alu instid0(VALU_DEP_1) | instskip(SKIP_1) | instid1(VALU_DEP_1)
	v_add_co_ci_u32_e64 v8, null, s21, 0, s0
	v_add_co_u32 v19, s0, s22, v0
	v_add_co_ci_u32_e64 v20, null, s23, 0, s0
	s_clause 0x1
	global_load_b128 v[3:6], v[7:8], off
	global_load_b128 v[7:10], v[7:8], off offset:16
	global_load_b128 v[11:14], v[19:20], off
	global_load_b128 v[15:18], v[23:24], off
	global_load_b128 v[19:22], v[19:20], off offset:16
	global_load_b128 v[23:26], v[23:24], off offset:16
	v_cmp_le_i64_e32 vcc_lo, s[8:9], v[1:2]
	v_cmp_lt_u64_e64 s0, 0xffff, v[1:2]
	v_add_co_u32 v27, s1, s24, v0
	s_delay_alu instid0(VALU_DEP_1) | instskip(SKIP_1) | instid1(VALU_DEP_4)
	v_add_co_ci_u32_e64 v28, null, s25, 0, s1
	v_add_co_u32 v1, s1, v1, s3
	s_or_b32 s0, vcc_lo, s0
	s_add_u32 s18, s18, s4
	s_addc_u32 s19, s19, 0
	s_add_u32 s24, s24, s4
	s_addc_u32 s25, s25, 0
	;; [unrolled: 2-line block ×3, first 2 shown]
	s_add_u32 s22, s22, s4
	v_add_co_ci_u32_e64 v2, s1, 0, v2, s1
	s_addc_u32 s23, s23, 0
	s_and_b32 s0, exec_lo, s0
	s_delay_alu instid0(SALU_CYCLE_1)
	s_or_b32 s2, s0, s2
	s_waitcnt vmcnt(5)
	v_mul_lo_u32 v4, v4, s6
	v_mul_lo_u32 v37, v3, s7
	v_mad_u64_u32 v[29:30], null, v3, s6, 0
	v_mul_lo_u32 v6, v6, s6
	v_mul_lo_u32 v38, v5, s7
	v_mad_u64_u32 v[31:32], null, v5, s6, 0
	s_waitcnt vmcnt(4)
	v_mul_lo_u32 v8, v8, s6
	v_mul_lo_u32 v39, v7, s7
	v_mad_u64_u32 v[33:34], null, v7, s6, 0
	v_mul_lo_u32 v10, v10, s6
	v_mul_lo_u32 v40, v9, s7
	v_mad_u64_u32 v[35:36], null, v9, s6, 0
	v_add3_u32 v30, v30, v37, v4
	s_waitcnt vmcnt(2)
	v_mad_u64_u32 v[3:4], null, v29, v11, v[15:16]
	v_add3_u32 v15, v32, v38, v6
	v_mad_u64_u32 v[5:6], null, v31, v13, v[17:18]
	v_add3_u32 v16, v34, v39, v8
	v_add3_u32 v18, v36, v40, v10
	v_mul_lo_u32 v12, v29, v12
	v_mul_lo_u32 v14, v31, v14
	;; [unrolled: 1-line block ×4, first 2 shown]
	s_waitcnt vmcnt(1)
	v_mul_lo_u32 v17, v33, v20
	s_waitcnt vmcnt(0)
	v_mad_u64_u32 v[7:8], null, v33, v19, v[23:24]
	v_mul_lo_u32 v20, v35, v22
	v_mad_u64_u32 v[9:10], null, v35, v21, v[25:26]
	v_mul_lo_u32 v15, v16, v19
	v_mul_lo_u32 v16, v18, v21
	v_add3_u32 v4, v11, v4, v12
	v_add3_u32 v6, v13, v6, v14
	s_delay_alu instid0(VALU_DEP_4) | instskip(NEXT) | instid1(VALU_DEP_4)
	v_add3_u32 v8, v15, v8, v17
	v_add3_u32 v10, v16, v10, v20
	s_clause 0x1
	global_store_b128 v[27:28], v[3:6], off
	global_store_b128 v[27:28], v[7:10], off offset:16
	s_and_not1_b32 exec_lo, exec_lo, s2
	s_cbranch_execnz .LBB3_32
.LBB3_33:
	s_nop 0
	s_sendmsg sendmsg(MSG_DEALLOC_VGPRS)
	s_endpgm
	.section	.rodata,"a",@progbits
	.p2align	6, 0x0
	.amdhsa_kernel _ZN2at6native12_GLOBAL__N_125multi_tensor_apply_kernelINS1_18TensorListMetadataILi4EEENS1_24PointwiseOpScalarFunctorIlLi4ELi3ELi3EEEJSt10multipliesIlElEEEvT_T0_DpT1_
		.amdhsa_group_segment_fixed_size 0
		.amdhsa_private_segment_fixed_size 0
		.amdhsa_kernarg_size 3320
		.amdhsa_user_sgpr_count 15
		.amdhsa_user_sgpr_dispatch_ptr 0
		.amdhsa_user_sgpr_queue_ptr 0
		.amdhsa_user_sgpr_kernarg_segment_ptr 1
		.amdhsa_user_sgpr_dispatch_id 0
		.amdhsa_user_sgpr_private_segment_size 0
		.amdhsa_wavefront_size32 1
		.amdhsa_uses_dynamic_stack 0
		.amdhsa_enable_private_segment 0
		.amdhsa_system_sgpr_workgroup_id_x 1
		.amdhsa_system_sgpr_workgroup_id_y 0
		.amdhsa_system_sgpr_workgroup_id_z 0
		.amdhsa_system_sgpr_workgroup_info 0
		.amdhsa_system_vgpr_workitem_id 0
		.amdhsa_next_free_vgpr 66
		.amdhsa_next_free_sgpr 30
		.amdhsa_reserve_vcc 1
		.amdhsa_float_round_mode_32 0
		.amdhsa_float_round_mode_16_64 0
		.amdhsa_float_denorm_mode_32 3
		.amdhsa_float_denorm_mode_16_64 3
		.amdhsa_dx10_clamp 1
		.amdhsa_ieee_mode 1
		.amdhsa_fp16_overflow 0
		.amdhsa_workgroup_processor_mode 1
		.amdhsa_memory_ordered 1
		.amdhsa_forward_progress 0
		.amdhsa_shared_vgpr_count 0
		.amdhsa_exception_fp_ieee_invalid_op 0
		.amdhsa_exception_fp_denorm_src 0
		.amdhsa_exception_fp_ieee_div_zero 0
		.amdhsa_exception_fp_ieee_overflow 0
		.amdhsa_exception_fp_ieee_underflow 0
		.amdhsa_exception_fp_ieee_inexact 0
		.amdhsa_exception_int_div_zero 0
	.end_amdhsa_kernel
	.section	.text._ZN2at6native12_GLOBAL__N_125multi_tensor_apply_kernelINS1_18TensorListMetadataILi4EEENS1_24PointwiseOpScalarFunctorIlLi4ELi3ELi3EEEJSt10multipliesIlElEEEvT_T0_DpT1_,"axG",@progbits,_ZN2at6native12_GLOBAL__N_125multi_tensor_apply_kernelINS1_18TensorListMetadataILi4EEENS1_24PointwiseOpScalarFunctorIlLi4ELi3ELi3EEEJSt10multipliesIlElEEEvT_T0_DpT1_,comdat
.Lfunc_end3:
	.size	_ZN2at6native12_GLOBAL__N_125multi_tensor_apply_kernelINS1_18TensorListMetadataILi4EEENS1_24PointwiseOpScalarFunctorIlLi4ELi3ELi3EEEJSt10multipliesIlElEEEvT_T0_DpT1_, .Lfunc_end3-_ZN2at6native12_GLOBAL__N_125multi_tensor_apply_kernelINS1_18TensorListMetadataILi4EEENS1_24PointwiseOpScalarFunctorIlLi4ELi3ELi3EEEJSt10multipliesIlElEEEvT_T0_DpT1_
                                        ; -- End function
	.section	.AMDGPU.csdata,"",@progbits
; Kernel info:
; codeLenInByte = 2696
; NumSgprs: 32
; NumVgprs: 66
; ScratchSize: 0
; MemoryBound: 0
; FloatMode: 240
; IeeeMode: 1
; LDSByteSize: 0 bytes/workgroup (compile time only)
; SGPRBlocks: 3
; VGPRBlocks: 8
; NumSGPRsForWavesPerEU: 32
; NumVGPRsForWavesPerEU: 66
; Occupancy: 16
; WaveLimiterHint : 0
; COMPUTE_PGM_RSRC2:SCRATCH_EN: 0
; COMPUTE_PGM_RSRC2:USER_SGPR: 15
; COMPUTE_PGM_RSRC2:TRAP_HANDLER: 0
; COMPUTE_PGM_RSRC2:TGID_X_EN: 1
; COMPUTE_PGM_RSRC2:TGID_Y_EN: 0
; COMPUTE_PGM_RSRC2:TGID_Z_EN: 0
; COMPUTE_PGM_RSRC2:TIDIG_COMP_CNT: 0
	.section	.text._ZN2at6native12_GLOBAL__N_125multi_tensor_apply_kernelINS1_18TensorListMetadataILi4EEENS1_24PointwiseOpScalarFunctorIsLi4ELi3ELi3EEEJSt10multipliesIsEsEEEvT_T0_DpT1_,"axG",@progbits,_ZN2at6native12_GLOBAL__N_125multi_tensor_apply_kernelINS1_18TensorListMetadataILi4EEENS1_24PointwiseOpScalarFunctorIsLi4ELi3ELi3EEEJSt10multipliesIsEsEEEvT_T0_DpT1_,comdat
	.globl	_ZN2at6native12_GLOBAL__N_125multi_tensor_apply_kernelINS1_18TensorListMetadataILi4EEENS1_24PointwiseOpScalarFunctorIsLi4ELi3ELi3EEEJSt10multipliesIsEsEEEvT_T0_DpT1_ ; -- Begin function _ZN2at6native12_GLOBAL__N_125multi_tensor_apply_kernelINS1_18TensorListMetadataILi4EEENS1_24PointwiseOpScalarFunctorIsLi4ELi3ELi3EEEJSt10multipliesIsEsEEEvT_T0_DpT1_
	.p2align	8
	.type	_ZN2at6native12_GLOBAL__N_125multi_tensor_apply_kernelINS1_18TensorListMetadataILi4EEENS1_24PointwiseOpScalarFunctorIsLi4ELi3ELi3EEEJSt10multipliesIsEsEEEvT_T0_DpT1_,@function
_ZN2at6native12_GLOBAL__N_125multi_tensor_apply_kernelINS1_18TensorListMetadataILi4EEENS1_24PointwiseOpScalarFunctorIsLi4ELi3ELi3EEEJSt10multipliesIsEsEEEvT_T0_DpT1_: ; @_ZN2at6native12_GLOBAL__N_125multi_tensor_apply_kernelINS1_18TensorListMetadataILi4EEENS1_24PointwiseOpScalarFunctorIsLi4ELi3ELi3EEEJSt10multipliesIsEsEEEvT_T0_DpT1_
; %bb.0:
	v_mov_b32_e32 v1, s15
	s_mul_i32 s4, s15, 3
	s_mul_hi_u32 s3, s15, 3
	s_mov_b32 s19, 0
	s_load_b32 s2, s[0:1], 0xbe8
	global_load_u8 v1, v1, s[0:1] offset:1440
	s_waitcnt lgkmcnt(0)
	s_lshr_b32 s22, s2, 16
	s_add_u32 s2, s0, s15
	s_mov_b32 s15, s19
	s_addc_u32 s5, s1, 0
	s_add_u32 s2, s2, s4
	s_addc_u32 s3, s5, s3
	s_load_b32 s2, s[2:3], 0x6e0
	s_waitcnt vmcnt(0)
	v_readfirstlane_b32 s4, v1
	s_delay_alu instid0(VALU_DEP_1)
	s_lshl_b32 s3, s4, 3
	s_clause 0x4
	s_load_b64 s[6:7], s[0:1], s3 offset:0x120
	s_load_b64 s[8:9], s[0:1], s3 offset:0x0
	;; [unrolled: 1-line block ×5, first 2 shown]
	s_waitcnt lgkmcnt(0)
	s_ashr_i32 s3, s2, 31
	s_delay_alu instid0(SALU_CYCLE_1) | instskip(NEXT) | instid1(SALU_CYCLE_1)
	s_lshl_b64 s[16:17], s[2:3], 17
	s_add_u32 s14, s6, s16
	s_and_b32 s18, s8, 7
	s_and_b32 s14, s14, 7
	s_delay_alu instid0(SALU_CYCLE_1) | instskip(SKIP_2) | instid1(SALU_CYCLE_1)
	s_cmp_eq_u64 s[14:15], 0
	s_cselect_b32 s14, -1, 0
	s_add_u32 s15, s10, s16
	s_or_b32 s15, s12, s15
	s_delay_alu instid0(SALU_CYCLE_1) | instskip(NEXT) | instid1(SALU_CYCLE_1)
	s_and_b32 s15, s15, 7
	s_cmp_eq_u32 s15, 0
	s_cselect_b32 s15, -1, 0
	s_lshl_b64 s[2:3], s[2:3], 16
	s_and_b32 s20, s15, s14
	s_sub_u32 s14, s4, s2
	s_subb_u32 s15, s5, s3
	s_and_b32 s2, s4, 3
	s_mov_b32 s3, s19
	s_delay_alu instid0(SALU_CYCLE_1) | instskip(NEXT) | instid1(SALU_CYCLE_1)
	s_or_b64 s[2:3], s[18:19], s[2:3]
	s_cmp_eq_u64 s[2:3], 0
	s_cselect_b32 s2, -1, 0
	s_delay_alu instid0(SALU_CYCLE_1) | instskip(NEXT) | instid1(SALU_CYCLE_1)
	s_and_b32 s2, s20, s2
	s_and_b32 vcc_lo, exec_lo, s2
	s_mov_b32 s2, -1
	s_cbranch_vccnz .LBB4_29
; %bb.1:
	v_cmp_lt_i64_e64 s2, s[14:15], 1
	s_delay_alu instid0(VALU_DEP_1)
	s_and_b32 vcc_lo, exec_lo, s2
	s_cbranch_vccnz .LBB4_28
; %bb.2:
	s_load_b32 s2, s[0:1], 0xbfc
	v_dual_mov_b32 v18, 0 :: v_dual_lshlrev_b32 v17, 1, v0
	v_cmp_gt_u64_e64 s3, 0x10000, s[14:15]
	s_mov_b64 s[20:21], 0
	s_delay_alu instid0(VALU_DEP_2) | instskip(NEXT) | instid1(VALU_DEP_1)
	v_add_co_u32 v1, s4, s8, v17
	v_add_co_ci_u32_e64 v2, null, s9, 0, s4
	v_add_co_u32 v3, s4, s6, v17
	s_delay_alu instid0(VALU_DEP_1) | instskip(SKIP_1) | instid1(VALU_DEP_1)
	v_add_co_ci_u32_e64 v4, null, s7, 0, s4
	v_add_co_u32 v5, s4, s10, v17
	v_add_co_ci_u32_e64 v6, null, s11, 0, s4
	v_add_co_u32 v7, s4, s12, v17
	s_waitcnt lgkmcnt(0)
	s_and_b32 s2, s2, 0xffff
	s_and_b32 s3, s3, exec_lo
	v_mad_u64_u32 v[15:16], null, s2, 6, v[17:18]
	v_add_co_ci_u32_e64 v8, null, s13, 0, s4
	s_cselect_b32 s19, s15, 0
	s_cselect_b32 s18, s14, 0x10000
	s_mul_i32 s4, s2, 3
	s_lshl_b32 s23, s2, 2
	s_delay_alu instid0(VALU_DEP_2) | instskip(NEXT) | instid1(VALU_DEP_3)
	v_add_co_u32 v9, vcc_lo, s8, v15
	v_add_co_ci_u32_e32 v10, vcc_lo, s9, v16, vcc_lo
	v_add_co_u32 v11, vcc_lo, s6, v15
	v_add_co_u32 v26, s5, s23, v17
	v_add_co_u32 v17, s4, s4, v0
	v_add_co_ci_u32_e32 v12, vcc_lo, s7, v16, vcc_lo
	v_add_co_ci_u32_e64 v18, null, 0, 0, s4
	v_add_co_u32 v25, s4, v0, s2
	v_add_co_u32 v13, vcc_lo, s10, v15
	v_add_co_ci_u32_e32 v14, vcc_lo, s11, v16, vcc_lo
	v_add_co_u32 v15, vcc_lo, s12, v15
	v_add_co_ci_u32_e64 v27, null, 0, 0, s5
	v_lshlrev_b32_e32 v37, 1, v25
	s_lshl_b32 s3, s2, 1
	v_add_co_ci_u32_e32 v16, vcc_lo, s13, v16, vcc_lo
	v_add_co_u32 v19, vcc_lo, s8, v26
	v_add_co_u32 v29, s3, s3, v0
	v_add_co_ci_u32_e32 v20, vcc_lo, s9, v27, vcc_lo
	v_add_co_u32 v21, vcc_lo, s6, v26
	v_add_co_ci_u32_e64 v30, null, 0, 0, s3
	v_add_co_u32 v31, s3, s8, v37
	v_add_co_ci_u32_e32 v22, vcc_lo, s7, v27, vcc_lo
	v_add_co_ci_u32_e64 v32, null, s9, 0, s3
	v_add_co_u32 v33, s3, s6, v37
	v_add_co_u32 v23, vcc_lo, s10, v26
	v_add_co_ci_u32_e64 v34, null, s7, 0, s3
	v_add_co_u32 v35, s3, s10, v37
	v_add_co_ci_u32_e32 v24, vcc_lo, s11, v27, vcc_lo
	v_add_co_u32 v26, vcc_lo, s12, v26
	v_add_co_ci_u32_e64 v36, null, s11, 0, s3
	v_add_co_u32 v37, s3, s12, v37
	v_add_co_ci_u32_e32 v27, vcc_lo, s13, v27, vcc_lo
	v_add_co_ci_u32_e64 v28, null, 0, 0, s4
	v_add_co_ci_u32_e64 v38, null, s13, 0, s3
	s_lshl_b32 s24, s2, 3
	s_branch .LBB4_4
.LBB4_3:                                ;   in Loop: Header=BB4_4 Depth=1
	s_or_b32 exec_lo, exec_lo, s2
	v_add_co_u32 v1, vcc_lo, v1, s24
	v_add_co_ci_u32_e32 v2, vcc_lo, 0, v2, vcc_lo
	v_add_co_u32 v3, vcc_lo, v3, s24
	v_add_co_ci_u32_e32 v4, vcc_lo, 0, v4, vcc_lo
	;; [unrolled: 2-line block ×13, first 2 shown]
	s_add_u32 s20, s20, s23
	v_add_co_u32 v33, vcc_lo, v33, s24
	s_addc_u32 s21, s21, 0
	v_add_co_ci_u32_e32 v34, vcc_lo, 0, v34, vcc_lo
	v_cmp_lt_i64_e64 s2, s[20:21], s[14:15]
	v_cmp_gt_u64_e64 s3, 0x10000, s[20:21]
	v_add_co_u32 v35, vcc_lo, v35, s24
	v_add_co_ci_u32_e32 v36, vcc_lo, 0, v36, vcc_lo
	v_add_co_u32 v37, vcc_lo, v37, s24
	v_add_co_ci_u32_e32 v38, vcc_lo, 0, v38, vcc_lo
	s_and_b32 s2, s2, s3
	s_delay_alu instid0(SALU_CYCLE_1)
	s_and_b32 vcc_lo, exec_lo, s2
	s_cbranch_vccz .LBB4_28
.LBB4_4:                                ; =>This Inner Loop Header: Depth=1
	s_waitcnt vmcnt(1)
	v_add_co_u32 v39, s2, v0, s20
	s_waitcnt vmcnt(0)
	v_add_co_ci_u32_e64 v40, null, 0, s21, s2
	s_delay_alu instid0(VALU_DEP_1)
	v_cmp_gt_u64_e32 vcc_lo, s[18:19], v[39:40]
	v_dual_mov_b32 v39, 0 :: v_dual_mov_b32 v40, 0
	s_and_saveexec_b32 s3, vcc_lo
	s_cbranch_execz .LBB4_6
; %bb.5:                                ;   in Loop: Header=BB4_4 Depth=1
	v_add_co_u32 v39, s2, v1, s16
	s_delay_alu instid0(VALU_DEP_1) | instskip(SKIP_1) | instid1(VALU_DEP_1)
	v_add_co_ci_u32_e64 v40, s2, s17, v2, s2
	v_add_co_u32 v41, s2, v3, s16
	v_add_co_ci_u32_e64 v42, s2, s17, v4, s2
	global_load_u16 v39, v[39:40], off
	global_load_u16 v40, v[41:42], off
.LBB4_6:                                ;   in Loop: Header=BB4_4 Depth=1
	s_or_b32 exec_lo, exec_lo, s3
	v_dual_mov_b32 v41, 0 :: v_dual_mov_b32 v42, 0
	s_and_saveexec_b32 s3, vcc_lo
	s_cbranch_execz .LBB4_8
; %bb.7:                                ;   in Loop: Header=BB4_4 Depth=1
	v_add_co_u32 v42, s2, v5, s16
	s_delay_alu instid0(VALU_DEP_1)
	v_add_co_ci_u32_e64 v43, s2, s17, v6, s2
	global_load_u16 v42, v[42:43], off
.LBB4_8:                                ;   in Loop: Header=BB4_4 Depth=1
	s_or_b32 exec_lo, exec_lo, s3
	v_add_co_u32 v43, s2, v25, s20
	s_delay_alu instid0(VALU_DEP_1) | instskip(NEXT) | instid1(VALU_DEP_1)
	v_add_co_ci_u32_e64 v44, s2, s21, v28, s2
	v_cmp_gt_u64_e64 s2, s[18:19], v[43:44]
	v_mov_b32_e32 v43, 0
	s_delay_alu instid0(VALU_DEP_2)
	s_and_saveexec_b32 s4, s2
	s_cbranch_execz .LBB4_10
; %bb.9:                                ;   in Loop: Header=BB4_4 Depth=1
	v_add_co_u32 v43, s3, v31, s16
	s_delay_alu instid0(VALU_DEP_1) | instskip(SKIP_1) | instid1(VALU_DEP_1)
	v_add_co_ci_u32_e64 v44, s3, s17, v32, s3
	v_add_co_u32 v45, s3, v33, s16
	v_add_co_ci_u32_e64 v46, s3, s17, v34, s3
	global_load_u16 v41, v[43:44], off
	global_load_u16 v43, v[45:46], off
.LBB4_10:                               ;   in Loop: Header=BB4_4 Depth=1
	s_or_b32 exec_lo, exec_lo, s4
	v_dual_mov_b32 v44, 0 :: v_dual_mov_b32 v45, 0
	s_and_saveexec_b32 s4, s2
	s_cbranch_execz .LBB4_12
; %bb.11:                               ;   in Loop: Header=BB4_4 Depth=1
	v_add_co_u32 v45, s3, v35, s16
	s_delay_alu instid0(VALU_DEP_1)
	v_add_co_ci_u32_e64 v46, s3, s17, v36, s3
	global_load_u16 v45, v[45:46], off
.LBB4_12:                               ;   in Loop: Header=BB4_4 Depth=1
	s_or_b32 exec_lo, exec_lo, s4
	v_add_co_u32 v46, s3, v29, s20
	s_delay_alu instid0(VALU_DEP_1) | instskip(NEXT) | instid1(VALU_DEP_1)
	v_add_co_ci_u32_e64 v47, s3, s21, v30, s3
	v_cmp_gt_u64_e64 s3, s[18:19], v[46:47]
	v_mov_b32_e32 v46, 0
	s_delay_alu instid0(VALU_DEP_2)
	s_and_saveexec_b32 s5, s3
	s_cbranch_execz .LBB4_14
; %bb.13:                               ;   in Loop: Header=BB4_4 Depth=1
	v_add_co_u32 v46, s4, v19, s16
	s_delay_alu instid0(VALU_DEP_1) | instskip(SKIP_1) | instid1(VALU_DEP_1)
	v_add_co_ci_u32_e64 v47, s4, s17, v20, s4
	v_add_co_u32 v48, s4, v21, s16
	v_add_co_ci_u32_e64 v49, s4, s17, v22, s4
	global_load_u16 v44, v[46:47], off
	global_load_u16 v46, v[48:49], off
.LBB4_14:                               ;   in Loop: Header=BB4_4 Depth=1
	s_or_b32 exec_lo, exec_lo, s5
	v_dual_mov_b32 v47, 0 :: v_dual_mov_b32 v48, 0
	s_and_saveexec_b32 s5, s3
	s_cbranch_execz .LBB4_16
; %bb.15:                               ;   in Loop: Header=BB4_4 Depth=1
	v_add_co_u32 v48, s4, v23, s16
	s_delay_alu instid0(VALU_DEP_1)
	v_add_co_ci_u32_e64 v49, s4, s17, v24, s4
	global_load_u16 v48, v[48:49], off
.LBB4_16:                               ;   in Loop: Header=BB4_4 Depth=1
	s_or_b32 exec_lo, exec_lo, s5
	v_add_co_u32 v49, s4, v17, s20
	s_delay_alu instid0(VALU_DEP_1) | instskip(NEXT) | instid1(VALU_DEP_1)
	v_add_co_ci_u32_e64 v50, s4, s21, v18, s4
	v_cmp_gt_u64_e64 s4, s[18:19], v[49:50]
	v_mov_b32_e32 v49, 0
	s_delay_alu instid0(VALU_DEP_2)
	s_and_saveexec_b32 s25, s4
	s_cbranch_execnz .LBB4_22
; %bb.17:                               ;   in Loop: Header=BB4_4 Depth=1
	s_or_b32 exec_lo, exec_lo, s25
	v_mov_b32_e32 v50, 0
	s_and_saveexec_b32 s25, s4
	s_cbranch_execnz .LBB4_23
.LBB4_18:                               ;   in Loop: Header=BB4_4 Depth=1
	s_or_b32 exec_lo, exec_lo, s25
	s_and_saveexec_b32 s5, vcc_lo
	s_cbranch_execnz .LBB4_24
.LBB4_19:                               ;   in Loop: Header=BB4_4 Depth=1
	s_or_b32 exec_lo, exec_lo, s5
	s_and_saveexec_b32 s5, s2
	s_cbranch_execnz .LBB4_25
.LBB4_20:                               ;   in Loop: Header=BB4_4 Depth=1
	s_or_b32 exec_lo, exec_lo, s5
	s_and_saveexec_b32 s2, s3
	s_cbranch_execnz .LBB4_26
.LBB4_21:                               ;   in Loop: Header=BB4_4 Depth=1
	s_or_b32 exec_lo, exec_lo, s2
	s_and_saveexec_b32 s2, s4
	s_cbranch_execz .LBB4_3
	s_branch .LBB4_27
.LBB4_22:                               ;   in Loop: Header=BB4_4 Depth=1
	v_add_co_u32 v49, s5, v9, s16
	s_delay_alu instid0(VALU_DEP_1) | instskip(SKIP_1) | instid1(VALU_DEP_1)
	v_add_co_ci_u32_e64 v50, s5, s17, v10, s5
	v_add_co_u32 v51, s5, v11, s16
	v_add_co_ci_u32_e64 v52, s5, s17, v12, s5
	global_load_u16 v47, v[49:50], off
	global_load_u16 v49, v[51:52], off
	s_or_b32 exec_lo, exec_lo, s25
	v_mov_b32_e32 v50, 0
	s_and_saveexec_b32 s25, s4
	s_cbranch_execz .LBB4_18
.LBB4_23:                               ;   in Loop: Header=BB4_4 Depth=1
	v_add_co_u32 v50, s5, v13, s16
	s_delay_alu instid0(VALU_DEP_1)
	v_add_co_ci_u32_e64 v51, s5, s17, v14, s5
	global_load_u16 v50, v[50:51], off
	s_or_b32 exec_lo, exec_lo, s25
	s_and_saveexec_b32 s5, vcc_lo
	s_cbranch_execz .LBB4_19
.LBB4_24:                               ;   in Loop: Header=BB4_4 Depth=1
	s_waitcnt vmcnt(0)
	v_mul_lo_u16 v40, v40, s22
	s_delay_alu instid0(VALU_DEP_1)
	v_mad_u16 v42, v40, v42, v39
	v_add_co_u32 v39, vcc_lo, v7, s16
	v_add_co_ci_u32_e32 v40, vcc_lo, s17, v8, vcc_lo
	global_store_b16 v[39:40], v42, off
	s_or_b32 exec_lo, exec_lo, s5
	s_and_saveexec_b32 s5, s2
	s_cbranch_execz .LBB4_20
.LBB4_25:                               ;   in Loop: Header=BB4_4 Depth=1
	s_waitcnt vmcnt(0)
	v_mul_lo_u16 v39, v43, s22
	s_delay_alu instid0(VALU_DEP_1)
	v_mad_u16 v41, v39, v45, v41
	v_add_co_u32 v39, vcc_lo, v37, s16
	v_add_co_ci_u32_e32 v40, vcc_lo, s17, v38, vcc_lo
	global_store_b16 v[39:40], v41, off
	s_or_b32 exec_lo, exec_lo, s5
	s_and_saveexec_b32 s2, s3
	s_cbranch_execz .LBB4_21
.LBB4_26:                               ;   in Loop: Header=BB4_4 Depth=1
	s_waitcnt vmcnt(0)
	v_mul_lo_u16 v39, v46, s22
	s_delay_alu instid0(VALU_DEP_1)
	v_mad_u16 v41, v39, v48, v44
	v_add_co_u32 v39, vcc_lo, v26, s16
	v_add_co_ci_u32_e32 v40, vcc_lo, s17, v27, vcc_lo
	global_store_b16 v[39:40], v41, off
	s_or_b32 exec_lo, exec_lo, s2
	s_and_saveexec_b32 s2, s4
	s_cbranch_execz .LBB4_3
.LBB4_27:                               ;   in Loop: Header=BB4_4 Depth=1
	s_waitcnt vmcnt(0)
	v_mul_lo_u16 v39, v49, s22
	s_delay_alu instid0(VALU_DEP_1)
	v_mad_u16 v41, v39, v50, v47
	v_add_co_u32 v39, vcc_lo, v15, s16
	v_add_co_ci_u32_e32 v40, vcc_lo, s17, v16, vcc_lo
	global_store_b16 v[39:40], v41, off
	s_branch .LBB4_3
.LBB4_28:
	s_mov_b32 s2, 0
.LBB4_29:
	s_delay_alu instid0(SALU_CYCLE_1)
	s_and_not1_b32 vcc_lo, exec_lo, s2
	s_cbranch_vccnz .LBB4_33
; %bb.30:
	v_dual_mov_b32 v2, 0 :: v_dual_lshlrev_b32 v1, 2, v0
	s_mov_b32 s2, 0
	s_mov_b32 s3, exec_lo
	s_delay_alu instid0(VALU_DEP_1)
	v_cmpx_gt_i64_e64 s[14:15], v[1:2]
	s_cbranch_execz .LBB4_33
; %bb.31:
	s_load_b32 s0, s[0:1], 0xbfc
	v_lshlrev_b32_e32 v1, 3, v0
	s_delay_alu instid0(VALU_DEP_1) | instskip(NEXT) | instid1(VALU_DEP_1)
	v_add_co_u32 v3, s1, s16, v1
	v_add_co_ci_u32_e64 v4, null, s17, 0, s1
	s_waitcnt lgkmcnt(0)
	s_and_b32 s0, s0, 0xffff
	s_delay_alu instid0(SALU_CYCLE_1)
	v_add_lshl_u32 v1, v0, s0, 2
	s_lshl_b32 s3, s0, 3
	s_lshl_b32 s4, s0, 2
.LBB4_32:                               ; =>This Inner Loop Header: Depth=1
	v_add_co_u32 v5, vcc_lo, s8, v3
	v_add_co_ci_u32_e32 v6, vcc_lo, s9, v4, vcc_lo
	v_add_co_u32 v7, vcc_lo, s6, v3
	v_add_co_ci_u32_e32 v8, vcc_lo, s7, v4, vcc_lo
	;; [unrolled: 2-line block ×3, first 2 shown]
	global_load_b64 v[7:8], v[7:8], off
	global_load_b64 v[5:6], v[5:6], off
	;; [unrolled: 1-line block ×3, first 2 shown]
	v_add_co_u32 v11, vcc_lo, s12, v3
	v_add_co_ci_u32_e32 v12, vcc_lo, s13, v4, vcc_lo
	v_cmp_le_i64_e32 vcc_lo, s[14:15], v[1:2]
	v_cmp_lt_u64_e64 s0, 0xffff, v[1:2]
	v_add_co_u32 v3, s1, v3, s3
	s_delay_alu instid0(VALU_DEP_1) | instskip(SKIP_1) | instid1(VALU_DEP_4)
	v_add_co_ci_u32_e64 v4, s1, 0, v4, s1
	v_add_co_u32 v1, s1, v1, s4
	s_or_b32 s0, vcc_lo, s0
	v_add_co_ci_u32_e64 v2, s1, 0, v2, s1
	s_and_b32 s0, exec_lo, s0
	s_delay_alu instid0(SALU_CYCLE_1)
	s_or_b32 s2, s0, s2
	s_waitcnt vmcnt(2)
	v_mul_lo_u16 v0, v7, s22
	v_lshrrev_b32_e32 v7, 16, v7
	s_waitcnt vmcnt(1)
	v_lshrrev_b32_e32 v13, 16, v5
	s_waitcnt vmcnt(0)
	v_lshrrev_b32_e32 v14, 16, v9
	v_mul_lo_u16 v15, v8, s22
	v_lshrrev_b32_e32 v8, 16, v8
	v_mul_lo_u16 v7, v7, s22
	v_lshrrev_b32_e32 v16, 16, v6
	v_lshrrev_b32_e32 v17, 16, v10
	v_mad_u16 v0, v0, v9, v5
	v_mul_lo_u16 v5, v8, s22
	v_mad_u16 v7, v7, v14, v13
	v_mad_u16 v6, v15, v10, v6
	s_delay_alu instid0(VALU_DEP_4) | instskip(NEXT) | instid1(VALU_DEP_4)
	v_and_b32_e32 v0, 0xffff, v0
	v_mad_u16 v5, v5, v17, v16
	s_delay_alu instid0(VALU_DEP_4) | instskip(NEXT) | instid1(VALU_DEP_4)
	v_lshlrev_b32_e32 v7, 16, v7
	v_and_b32_e32 v6, 0xffff, v6
	s_delay_alu instid0(VALU_DEP_3) | instskip(NEXT) | instid1(VALU_DEP_3)
	v_lshlrev_b32_e32 v5, 16, v5
	v_or_b32_e32 v0, v7, v0
	s_delay_alu instid0(VALU_DEP_2) | instskip(NEXT) | instid1(VALU_DEP_2)
	v_or3_b32 v6, 0, v6, v5
	v_or3_b32 v5, v0, 0, 0
	global_store_b64 v[11:12], v[5:6], off
	s_and_not1_b32 exec_lo, exec_lo, s2
	s_cbranch_execnz .LBB4_32
.LBB4_33:
	s_nop 0
	s_sendmsg sendmsg(MSG_DEALLOC_VGPRS)
	s_endpgm
	.section	.rodata,"a",@progbits
	.p2align	6, 0x0
	.amdhsa_kernel _ZN2at6native12_GLOBAL__N_125multi_tensor_apply_kernelINS1_18TensorListMetadataILi4EEENS1_24PointwiseOpScalarFunctorIsLi4ELi3ELi3EEEJSt10multipliesIsEsEEEvT_T0_DpT1_
		.amdhsa_group_segment_fixed_size 0
		.amdhsa_private_segment_fixed_size 0
		.amdhsa_kernarg_size 3312
		.amdhsa_user_sgpr_count 15
		.amdhsa_user_sgpr_dispatch_ptr 0
		.amdhsa_user_sgpr_queue_ptr 0
		.amdhsa_user_sgpr_kernarg_segment_ptr 1
		.amdhsa_user_sgpr_dispatch_id 0
		.amdhsa_user_sgpr_private_segment_size 0
		.amdhsa_wavefront_size32 1
		.amdhsa_uses_dynamic_stack 0
		.amdhsa_enable_private_segment 0
		.amdhsa_system_sgpr_workgroup_id_x 1
		.amdhsa_system_sgpr_workgroup_id_y 0
		.amdhsa_system_sgpr_workgroup_id_z 0
		.amdhsa_system_sgpr_workgroup_info 0
		.amdhsa_system_vgpr_workitem_id 0
		.amdhsa_next_free_vgpr 53
		.amdhsa_next_free_sgpr 26
		.amdhsa_reserve_vcc 1
		.amdhsa_float_round_mode_32 0
		.amdhsa_float_round_mode_16_64 0
		.amdhsa_float_denorm_mode_32 3
		.amdhsa_float_denorm_mode_16_64 3
		.amdhsa_dx10_clamp 1
		.amdhsa_ieee_mode 1
		.amdhsa_fp16_overflow 0
		.amdhsa_workgroup_processor_mode 1
		.amdhsa_memory_ordered 1
		.amdhsa_forward_progress 0
		.amdhsa_shared_vgpr_count 0
		.amdhsa_exception_fp_ieee_invalid_op 0
		.amdhsa_exception_fp_denorm_src 0
		.amdhsa_exception_fp_ieee_div_zero 0
		.amdhsa_exception_fp_ieee_overflow 0
		.amdhsa_exception_fp_ieee_underflow 0
		.amdhsa_exception_fp_ieee_inexact 0
		.amdhsa_exception_int_div_zero 0
	.end_amdhsa_kernel
	.section	.text._ZN2at6native12_GLOBAL__N_125multi_tensor_apply_kernelINS1_18TensorListMetadataILi4EEENS1_24PointwiseOpScalarFunctorIsLi4ELi3ELi3EEEJSt10multipliesIsEsEEEvT_T0_DpT1_,"axG",@progbits,_ZN2at6native12_GLOBAL__N_125multi_tensor_apply_kernelINS1_18TensorListMetadataILi4EEENS1_24PointwiseOpScalarFunctorIsLi4ELi3ELi3EEEJSt10multipliesIsEsEEEvT_T0_DpT1_,comdat
.Lfunc_end4:
	.size	_ZN2at6native12_GLOBAL__N_125multi_tensor_apply_kernelINS1_18TensorListMetadataILi4EEENS1_24PointwiseOpScalarFunctorIsLi4ELi3ELi3EEEJSt10multipliesIsEsEEEvT_T0_DpT1_, .Lfunc_end4-_ZN2at6native12_GLOBAL__N_125multi_tensor_apply_kernelINS1_18TensorListMetadataILi4EEENS1_24PointwiseOpScalarFunctorIsLi4ELi3ELi3EEEJSt10multipliesIsEsEEEvT_T0_DpT1_
                                        ; -- End function
	.section	.AMDGPU.csdata,"",@progbits
; Kernel info:
; codeLenInByte = 2228
; NumSgprs: 28
; NumVgprs: 53
; ScratchSize: 0
; MemoryBound: 0
; FloatMode: 240
; IeeeMode: 1
; LDSByteSize: 0 bytes/workgroup (compile time only)
; SGPRBlocks: 3
; VGPRBlocks: 6
; NumSGPRsForWavesPerEU: 28
; NumVGPRsForWavesPerEU: 53
; Occupancy: 16
; WaveLimiterHint : 0
; COMPUTE_PGM_RSRC2:SCRATCH_EN: 0
; COMPUTE_PGM_RSRC2:USER_SGPR: 15
; COMPUTE_PGM_RSRC2:TRAP_HANDLER: 0
; COMPUTE_PGM_RSRC2:TGID_X_EN: 1
; COMPUTE_PGM_RSRC2:TGID_Y_EN: 0
; COMPUTE_PGM_RSRC2:TGID_Z_EN: 0
; COMPUTE_PGM_RSRC2:TIDIG_COMP_CNT: 0
	.section	.text._ZN2at6native12_GLOBAL__N_125multi_tensor_apply_kernelINS1_18TensorListMetadataILi4EEENS1_24PointwiseOpScalarFunctorIdLi4ELi3ELi3EEEJSt10multipliesIdEdEEEvT_T0_DpT1_,"axG",@progbits,_ZN2at6native12_GLOBAL__N_125multi_tensor_apply_kernelINS1_18TensorListMetadataILi4EEENS1_24PointwiseOpScalarFunctorIdLi4ELi3ELi3EEEJSt10multipliesIdEdEEEvT_T0_DpT1_,comdat
	.globl	_ZN2at6native12_GLOBAL__N_125multi_tensor_apply_kernelINS1_18TensorListMetadataILi4EEENS1_24PointwiseOpScalarFunctorIdLi4ELi3ELi3EEEJSt10multipliesIdEdEEEvT_T0_DpT1_ ; -- Begin function _ZN2at6native12_GLOBAL__N_125multi_tensor_apply_kernelINS1_18TensorListMetadataILi4EEENS1_24PointwiseOpScalarFunctorIdLi4ELi3ELi3EEEJSt10multipliesIdEdEEEvT_T0_DpT1_
	.p2align	8
	.type	_ZN2at6native12_GLOBAL__N_125multi_tensor_apply_kernelINS1_18TensorListMetadataILi4EEENS1_24PointwiseOpScalarFunctorIdLi4ELi3ELi3EEEJSt10multipliesIdEdEEEvT_T0_DpT1_,@function
_ZN2at6native12_GLOBAL__N_125multi_tensor_apply_kernelINS1_18TensorListMetadataILi4EEENS1_24PointwiseOpScalarFunctorIdLi4ELi3ELi3EEEJSt10multipliesIdEdEEEvT_T0_DpT1_: ; @_ZN2at6native12_GLOBAL__N_125multi_tensor_apply_kernelINS1_18TensorListMetadataILi4EEENS1_24PointwiseOpScalarFunctorIdLi4ELi3ELi3EEEJSt10multipliesIdEdEEEvT_T0_DpT1_
; %bb.0:
	v_mov_b32_e32 v1, s15
	s_add_u32 s2, s0, s15
	s_mul_hi_u32 s3, s15, 3
	s_mul_i32 s15, s15, 3
	s_addc_u32 s4, s1, 0
	global_load_u8 v1, v1, s[0:1] offset:1440
	s_add_u32 s2, s2, s15
	s_addc_u32 s3, s4, s3
	s_mov_b32 s13, 0
	s_load_b32 s8, s[2:3], 0x6e0
	s_mov_b32 s7, s13
	s_waitcnt lgkmcnt(0)
	s_ashr_i32 s9, s8, 31
	s_delay_alu instid0(SALU_CYCLE_1) | instskip(SKIP_2) | instid1(VALU_DEP_1)
	s_lshl_b64 s[10:11], s[8:9], 19
	s_waitcnt vmcnt(0)
	v_readfirstlane_b32 s2, v1
	s_lshl_b32 s6, s2, 3
	s_clause 0x4
	s_load_b64 s[2:3], s[0:1], s6 offset:0x0
	s_load_b64 s[4:5], s[0:1], s6 offset:0x120
	;; [unrolled: 1-line block ×5, first 2 shown]
	s_waitcnt lgkmcnt(0)
	s_add_u32 s18, s2, s10
	s_addc_u32 s19, s3, s11
	s_and_b32 s12, s18, 31
	s_add_u32 s20, s4, s10
	s_addc_u32 s21, s5, s11
	s_and_b32 s6, s20, 31
	s_delay_alu instid0(SALU_CYCLE_1)
	s_cmp_eq_u64 s[6:7], 0
	s_cselect_b32 s28, -1, 0
	s_add_u32 s22, s14, s10
	s_addc_u32 s23, s15, s11
	s_add_u32 s24, s16, s10
	s_addc_u32 s25, s17, s11
	s_or_b32 s6, s24, s22
	s_delay_alu instid0(SALU_CYCLE_1) | instskip(NEXT) | instid1(SALU_CYCLE_1)
	s_and_b32 s6, s6, 31
	s_cmp_eq_u32 s6, 0
	s_load_b64 s[6:7], s[0:1], 0xbf0
	s_cselect_b32 s29, -1, 0
	s_lshl_b64 s[8:9], s[8:9], 16
	s_and_b32 s28, s29, s28
	s_sub_u32 s8, s26, s8
	s_subb_u32 s9, s27, s9
	s_and_b32 s26, s26, 3
	s_mov_b32 s27, s13
	s_delay_alu instid0(SALU_CYCLE_1) | instskip(NEXT) | instid1(SALU_CYCLE_1)
	s_or_b64 s[12:13], s[12:13], s[26:27]
	s_cmp_eq_u64 s[12:13], 0
	s_cselect_b32 s12, -1, 0
	s_delay_alu instid0(SALU_CYCLE_1) | instskip(NEXT) | instid1(SALU_CYCLE_1)
	s_and_b32 s12, s28, s12
	s_and_b32 vcc_lo, exec_lo, s12
	s_mov_b32 s12, -1
	s_cbranch_vccnz .LBB5_45
; %bb.1:
	v_cmp_lt_i64_e64 s12, s[8:9], 1
	s_delay_alu instid0(VALU_DEP_1)
	s_and_b32 vcc_lo, exec_lo, s12
	s_cbranch_vccnz .LBB5_44
; %bb.2:
	s_load_b32 s12, s[0:1], 0xc04
	v_dual_mov_b32 v2, 0 :: v_dual_lshlrev_b32 v1, 3, v0
	v_cmp_gt_u64_e64 s13, 0x10000, s[8:9]
	s_waitcnt lgkmcnt(0)
	v_cmp_neq_f64_e64 s26, s[6:7], 1.0
	s_delay_alu instid0(VALU_DEP_3) | instskip(NEXT) | instid1(VALU_DEP_1)
	v_add_co_u32 v27, s27, s2, v1
	v_add_co_ci_u32_e64 v28, null, s3, 0, s27
	v_add_co_u32 v29, s27, s4, v1
	s_delay_alu instid0(VALU_DEP_1) | instskip(SKIP_1) | instid1(VALU_DEP_1)
	v_add_co_ci_u32_e64 v30, null, s5, 0, s27
	v_add_co_u32 v31, s27, s14, v1
	v_add_co_ci_u32_e64 v32, null, s15, 0, s27
	s_and_b32 s27, s12, 0xffff
	v_add_co_u32 v33, s12, s16, v1
	v_mad_u64_u32 v[3:4], null, s27, 24, v[1:2]
	v_add_co_ci_u32_e64 v34, null, s17, 0, s12
	s_and_b32 s12, s13, exec_lo
	s_cselect_b32 s13, s9, 0
	s_cselect_b32 s12, s8, 0x10000
	s_lshl_b32 s30, s27, 4
	s_delay_alu instid0(VALU_DEP_2) | instskip(NEXT) | instid1(VALU_DEP_3)
	v_add_co_u32 v35, vcc_lo, s2, v3
	v_add_co_ci_u32_e32 v36, vcc_lo, s3, v4, vcc_lo
	v_add_co_u32 v37, vcc_lo, s4, v3
	v_add_co_ci_u32_e32 v38, vcc_lo, s5, v4, vcc_lo
	v_add_co_u32 v39, vcc_lo, s14, v3
	v_add_co_u32 v1, s30, s30, v1
	v_add_co_ci_u32_e32 v40, vcc_lo, s15, v4, vcc_lo
	v_add_co_u32 v41, vcc_lo, s16, v3
	v_add_co_ci_u32_e64 v2, null, 0, 0, s30
	v_add_co_ci_u32_e32 v42, vcc_lo, s17, v4, vcc_lo
	s_mul_i32 s29, s27, 3
	v_add_co_u32 v45, vcc_lo, s2, v1
	v_add_co_u32 v43, s29, s29, v0
	v_add_co_ci_u32_e32 v46, vcc_lo, s3, v2, vcc_lo
	v_add_co_u32 v47, vcc_lo, s4, v1
	v_add_co_ci_u32_e64 v44, null, 0, 0, s29
	v_add_co_u32 v51, s29, v0, s27
	v_add_co_ci_u32_e32 v48, vcc_lo, s5, v2, vcc_lo
	v_add_co_u32 v49, vcc_lo, s14, v1
	v_add_co_ci_u32_e32 v50, vcc_lo, s15, v2, vcc_lo
	v_add_co_u32 v52, vcc_lo, s16, v1
	v_lshlrev_b32_e32 v1, 3, v51
	s_lshl_b32 s28, s27, 1
	v_add_co_ci_u32_e32 v53, vcc_lo, s17, v2, vcc_lo
	v_add_co_u32 v55, s28, s28, v0
	s_delay_alu instid0(VALU_DEP_3) | instskip(NEXT) | instid1(VALU_DEP_1)
	v_add_co_u32 v57, s2, s2, v1
	v_add_co_ci_u32_e64 v58, null, s3, 0, s2
	v_add_co_u32 v59, s2, s4, v1
	s_delay_alu instid0(VALU_DEP_1) | instskip(SKIP_1) | instid1(VALU_DEP_1)
	v_add_co_ci_u32_e64 v60, null, s5, 0, s2
	v_add_co_u32 v61, s2, s14, v1
	v_add_co_ci_u32_e64 v62, null, s15, 0, s2
	v_add_co_u32 v63, s2, s16, v1
	v_add_co_ci_u32_e64 v54, null, 0, 0, s29
	v_add_co_ci_u32_e64 v56, null, 0, 0, s28
	;; [unrolled: 1-line block ×3, first 2 shown]
	s_lshl_b32 s16, s27, 2
	s_lshl_b32 s17, s27, 5
	s_mov_b64 s[14:15], 0
	s_branch .LBB5_4
.LBB5_3:                                ;   in Loop: Header=BB5_4 Depth=1
	s_or_b32 exec_lo, exec_lo, s2
	v_add_co_u32 v27, vcc_lo, v27, s17
	v_add_co_ci_u32_e32 v28, vcc_lo, 0, v28, vcc_lo
	v_add_co_u32 v29, vcc_lo, v29, s17
	v_add_co_ci_u32_e32 v30, vcc_lo, 0, v30, vcc_lo
	;; [unrolled: 2-line block ×13, first 2 shown]
	s_add_u32 s14, s14, s16
	v_add_co_u32 v59, vcc_lo, v59, s17
	s_addc_u32 s15, s15, 0
	v_add_co_ci_u32_e32 v60, vcc_lo, 0, v60, vcc_lo
	v_cmp_ge_i64_e64 s2, s[14:15], s[8:9]
	v_cmp_lt_u64_e64 s3, 0xffff, s[14:15]
	v_add_co_u32 v61, vcc_lo, v61, s17
	v_add_co_ci_u32_e32 v62, vcc_lo, 0, v62, vcc_lo
	v_add_co_u32 v63, vcc_lo, v63, s17
	v_add_co_ci_u32_e32 v64, vcc_lo, 0, v64, vcc_lo
	s_or_b32 s2, s2, s3
	s_delay_alu instid0(SALU_CYCLE_1)
	s_and_b32 vcc_lo, exec_lo, s2
	s_cbranch_vccnz .LBB5_44
.LBB5_4:                                ; =>This Inner Loop Header: Depth=1
	s_waitcnt vmcnt(1)
	v_add_co_u32 v3, s2, v0, s14
	s_delay_alu instid0(VALU_DEP_1) | instskip(SKIP_3) | instid1(VALU_DEP_3)
	v_add_co_ci_u32_e64 v4, null, 0, s15, s2
	s_waitcnt vmcnt(0)
	v_mov_b32_e32 v1, 0
	v_mov_b32_e32 v2, 0
	v_cmp_gt_u64_e64 s2, s[12:13], v[3:4]
	s_delay_alu instid0(VALU_DEP_2) | instskip(SKIP_1) | instid1(VALU_DEP_3)
	v_dual_mov_b32 v4, v2 :: v_dual_mov_b32 v3, v1
	v_dual_mov_b32 v6, v2 :: v_dual_mov_b32 v5, v1
	s_and_saveexec_b32 s3, s2
	s_cbranch_execz .LBB5_6
; %bb.5:                                ;   in Loop: Header=BB5_4 Depth=1
	v_add_co_u32 v3, vcc_lo, v27, s10
	v_add_co_ci_u32_e32 v4, vcc_lo, s11, v28, vcc_lo
	v_add_co_u32 v5, vcc_lo, v29, s10
	v_add_co_ci_u32_e32 v6, vcc_lo, s11, v30, vcc_lo
	global_load_b64 v[3:4], v[3:4], off
	global_load_b64 v[5:6], v[5:6], off
.LBB5_6:                                ;   in Loop: Header=BB5_4 Depth=1
	s_or_b32 exec_lo, exec_lo, s3
	s_and_saveexec_b32 s3, s2
	s_cbranch_execz .LBB5_8
; %bb.7:                                ;   in Loop: Header=BB5_4 Depth=1
	v_add_co_u32 v1, vcc_lo, v31, s10
	v_add_co_ci_u32_e32 v2, vcc_lo, s11, v32, vcc_lo
	global_load_b64 v[1:2], v[1:2], off
.LBB5_8:                                ;   in Loop: Header=BB5_4 Depth=1
	s_or_b32 exec_lo, exec_lo, s3
	v_add_co_u32 v9, vcc_lo, v51, s14
	v_add_co_ci_u32_e32 v10, vcc_lo, s15, v54, vcc_lo
	v_mov_b32_e32 v7, 0
	v_mov_b32_e32 v8, 0
	s_delay_alu instid0(VALU_DEP_3) | instskip(NEXT) | instid1(VALU_DEP_2)
	v_cmp_gt_u64_e64 s3, s[12:13], v[9:10]
	v_dual_mov_b32 v10, v8 :: v_dual_mov_b32 v9, v7
	v_dual_mov_b32 v12, v8 :: v_dual_mov_b32 v11, v7
	s_delay_alu instid0(VALU_DEP_3)
	s_and_saveexec_b32 s4, s3
	s_cbranch_execz .LBB5_10
; %bb.9:                                ;   in Loop: Header=BB5_4 Depth=1
	v_add_co_u32 v9, vcc_lo, v57, s10
	v_add_co_ci_u32_e32 v10, vcc_lo, s11, v58, vcc_lo
	v_add_co_u32 v11, vcc_lo, v59, s10
	v_add_co_ci_u32_e32 v12, vcc_lo, s11, v60, vcc_lo
	global_load_b64 v[9:10], v[9:10], off
	global_load_b64 v[11:12], v[11:12], off
.LBB5_10:                               ;   in Loop: Header=BB5_4 Depth=1
	s_or_b32 exec_lo, exec_lo, s4
	s_and_saveexec_b32 s4, s3
	s_cbranch_execz .LBB5_12
; %bb.11:                               ;   in Loop: Header=BB5_4 Depth=1
	v_add_co_u32 v7, vcc_lo, v61, s10
	v_add_co_ci_u32_e32 v8, vcc_lo, s11, v62, vcc_lo
	global_load_b64 v[7:8], v[7:8], off
.LBB5_12:                               ;   in Loop: Header=BB5_4 Depth=1
	s_or_b32 exec_lo, exec_lo, s4
	v_add_co_u32 v15, vcc_lo, v55, s14
	v_add_co_ci_u32_e32 v16, vcc_lo, s15, v56, vcc_lo
	v_mov_b32_e32 v13, 0
	v_mov_b32_e32 v14, 0
	s_delay_alu instid0(VALU_DEP_3) | instskip(NEXT) | instid1(VALU_DEP_2)
	v_cmp_gt_u64_e64 s4, s[12:13], v[15:16]
	v_dual_mov_b32 v16, v14 :: v_dual_mov_b32 v15, v13
	v_dual_mov_b32 v18, v14 :: v_dual_mov_b32 v17, v13
	s_delay_alu instid0(VALU_DEP_3)
	s_and_saveexec_b32 s5, s4
	s_cbranch_execz .LBB5_14
; %bb.13:                               ;   in Loop: Header=BB5_4 Depth=1
	v_add_co_u32 v15, vcc_lo, v45, s10
	v_add_co_ci_u32_e32 v16, vcc_lo, s11, v46, vcc_lo
	v_add_co_u32 v17, vcc_lo, v47, s10
	v_add_co_ci_u32_e32 v18, vcc_lo, s11, v48, vcc_lo
	global_load_b64 v[15:16], v[15:16], off
	global_load_b64 v[17:18], v[17:18], off
.LBB5_14:                               ;   in Loop: Header=BB5_4 Depth=1
	s_or_b32 exec_lo, exec_lo, s5
	s_and_saveexec_b32 s5, s4
	s_cbranch_execz .LBB5_16
; %bb.15:                               ;   in Loop: Header=BB5_4 Depth=1
	v_add_co_u32 v13, vcc_lo, v49, s10
	v_add_co_ci_u32_e32 v14, vcc_lo, s11, v50, vcc_lo
	global_load_b64 v[13:14], v[13:14], off
.LBB5_16:                               ;   in Loop: Header=BB5_4 Depth=1
	s_or_b32 exec_lo, exec_lo, s5
	v_add_co_u32 v21, vcc_lo, v43, s14
	v_add_co_ci_u32_e32 v22, vcc_lo, s15, v44, vcc_lo
	v_mov_b32_e32 v19, 0
	v_mov_b32_e32 v20, 0
	s_delay_alu instid0(VALU_DEP_3) | instskip(NEXT) | instid1(VALU_DEP_2)
	v_cmp_gt_u64_e64 s5, s[12:13], v[21:22]
	v_dual_mov_b32 v22, v20 :: v_dual_mov_b32 v21, v19
	v_dual_mov_b32 v24, v20 :: v_dual_mov_b32 v23, v19
	s_delay_alu instid0(VALU_DEP_3)
	s_and_saveexec_b32 s27, s5
	s_cbranch_execnz .LBB5_34
; %bb.17:                               ;   in Loop: Header=BB5_4 Depth=1
	s_or_b32 exec_lo, exec_lo, s27
	s_and_saveexec_b32 s27, s5
	s_cbranch_execnz .LBB5_35
.LBB5_18:                               ;   in Loop: Header=BB5_4 Depth=1
	s_or_b32 exec_lo, exec_lo, s27
	s_delay_alu instid0(SALU_CYCLE_1)
	s_and_b32 vcc_lo, exec_lo, s26
	s_cbranch_vccz .LBB5_36
.LBB5_19:                               ;   in Loop: Header=BB5_4 Depth=1
	s_waitcnt vmcnt(0)
	v_mul_f64 v[25:26], v[5:6], v[1:2]
	s_delay_alu instid0(VALU_DEP_1)
	v_fma_f64 v[25:26], s[6:7], v[25:26], v[3:4]
	s_cbranch_execnz .LBB5_21
.LBB5_20:                               ;   in Loop: Header=BB5_4 Depth=1
	s_waitcnt vmcnt(0)
	v_fma_f64 v[25:26], v[5:6], v[1:2], v[3:4]
.LBB5_21:                               ;   in Loop: Header=BB5_4 Depth=1
	s_and_not1_b32 vcc_lo, exec_lo, s26
	s_cbranch_vccnz .LBB5_41
; %bb.22:                               ;   in Loop: Header=BB5_4 Depth=1
	s_waitcnt vmcnt(0)
	v_mul_f64 v[1:2], v[11:12], v[7:8]
	s_delay_alu instid0(VALU_DEP_1)
	v_fma_f64 v[1:2], s[6:7], v[1:2], v[9:10]
	s_cbranch_execnz .LBB5_24
.LBB5_23:                               ;   in Loop: Header=BB5_4 Depth=1
	s_waitcnt vmcnt(0)
	v_fma_f64 v[1:2], v[11:12], v[7:8], v[9:10]
.LBB5_24:                               ;   in Loop: Header=BB5_4 Depth=1
	s_and_not1_b32 vcc_lo, exec_lo, s26
	s_cbranch_vccnz .LBB5_42
; %bb.25:                               ;   in Loop: Header=BB5_4 Depth=1
	s_waitcnt vmcnt(0)
	v_mul_f64 v[3:4], v[17:18], v[13:14]
	s_delay_alu instid0(VALU_DEP_1)
	v_fma_f64 v[3:4], s[6:7], v[3:4], v[15:16]
	s_cbranch_execnz .LBB5_27
.LBB5_26:                               ;   in Loop: Header=BB5_4 Depth=1
	s_waitcnt vmcnt(0)
	v_fma_f64 v[3:4], v[17:18], v[13:14], v[15:16]
.LBB5_27:                               ;   in Loop: Header=BB5_4 Depth=1
	s_and_not1_b32 vcc_lo, exec_lo, s26
	s_cbranch_vccnz .LBB5_43
; %bb.28:                               ;   in Loop: Header=BB5_4 Depth=1
	s_waitcnt vmcnt(0)
	v_mul_f64 v[5:6], v[23:24], v[19:20]
	s_delay_alu instid0(VALU_DEP_1)
	v_fma_f64 v[5:6], s[6:7], v[5:6], v[21:22]
	s_cbranch_execnz .LBB5_30
.LBB5_29:                               ;   in Loop: Header=BB5_4 Depth=1
	s_waitcnt vmcnt(0)
	v_fma_f64 v[5:6], v[23:24], v[19:20], v[21:22]
.LBB5_30:                               ;   in Loop: Header=BB5_4 Depth=1
	s_and_saveexec_b32 s27, s2
	s_delay_alu instid0(SALU_CYCLE_1)
	s_xor_b32 s2, exec_lo, s27
	s_cbranch_execnz .LBB5_37
; %bb.31:                               ;   in Loop: Header=BB5_4 Depth=1
	s_or_b32 exec_lo, exec_lo, s2
	s_and_saveexec_b32 s2, s3
	s_cbranch_execnz .LBB5_38
.LBB5_32:                               ;   in Loop: Header=BB5_4 Depth=1
	s_or_b32 exec_lo, exec_lo, s2
	s_and_saveexec_b32 s2, s4
	s_cbranch_execnz .LBB5_39
.LBB5_33:                               ;   in Loop: Header=BB5_4 Depth=1
	s_or_b32 exec_lo, exec_lo, s2
	s_and_saveexec_b32 s2, s5
	s_cbranch_execz .LBB5_3
	s_branch .LBB5_40
.LBB5_34:                               ;   in Loop: Header=BB5_4 Depth=1
	v_add_co_u32 v21, vcc_lo, v35, s10
	v_add_co_ci_u32_e32 v22, vcc_lo, s11, v36, vcc_lo
	v_add_co_u32 v23, vcc_lo, v37, s10
	v_add_co_ci_u32_e32 v24, vcc_lo, s11, v38, vcc_lo
	global_load_b64 v[21:22], v[21:22], off
	global_load_b64 v[23:24], v[23:24], off
	s_or_b32 exec_lo, exec_lo, s27
	s_and_saveexec_b32 s27, s5
	s_cbranch_execz .LBB5_18
.LBB5_35:                               ;   in Loop: Header=BB5_4 Depth=1
	v_add_co_u32 v19, vcc_lo, v39, s10
	v_add_co_ci_u32_e32 v20, vcc_lo, s11, v40, vcc_lo
	global_load_b64 v[19:20], v[19:20], off
	s_or_b32 exec_lo, exec_lo, s27
	s_delay_alu instid0(SALU_CYCLE_1)
	s_and_b32 vcc_lo, exec_lo, s26
	s_cbranch_vccnz .LBB5_19
.LBB5_36:                               ;   in Loop: Header=BB5_4 Depth=1
                                        ; implicit-def: $vgpr25_vgpr26
	s_branch .LBB5_20
.LBB5_37:                               ;   in Loop: Header=BB5_4 Depth=1
	s_waitcnt vmcnt(0)
	v_add_co_u32 v7, vcc_lo, v33, s10
	v_add_co_ci_u32_e32 v8, vcc_lo, s11, v34, vcc_lo
	global_store_b64 v[7:8], v[25:26], off
	s_or_b32 exec_lo, exec_lo, s2
	s_and_saveexec_b32 s2, s3
	s_cbranch_execz .LBB5_32
.LBB5_38:                               ;   in Loop: Header=BB5_4 Depth=1
	s_waitcnt vmcnt(0)
	v_add_co_u32 v7, vcc_lo, v63, s10
	v_add_co_ci_u32_e32 v8, vcc_lo, s11, v64, vcc_lo
	global_store_b64 v[7:8], v[1:2], off
	s_or_b32 exec_lo, exec_lo, s2
	s_and_saveexec_b32 s2, s4
	s_cbranch_execz .LBB5_33
.LBB5_39:                               ;   in Loop: Header=BB5_4 Depth=1
	s_waitcnt vmcnt(0)
	v_add_co_u32 v1, vcc_lo, v52, s10
	v_add_co_ci_u32_e32 v2, vcc_lo, s11, v53, vcc_lo
	global_store_b64 v[1:2], v[3:4], off
	s_or_b32 exec_lo, exec_lo, s2
	s_and_saveexec_b32 s2, s5
	s_cbranch_execz .LBB5_3
.LBB5_40:                               ;   in Loop: Header=BB5_4 Depth=1
	s_waitcnt vmcnt(0)
	v_add_co_u32 v1, vcc_lo, v41, s10
	v_add_co_ci_u32_e32 v2, vcc_lo, s11, v42, vcc_lo
	global_store_b64 v[1:2], v[5:6], off
	s_branch .LBB5_3
.LBB5_41:                               ;   in Loop: Header=BB5_4 Depth=1
                                        ; implicit-def: $vgpr1_vgpr2
	s_branch .LBB5_23
.LBB5_42:                               ;   in Loop: Header=BB5_4 Depth=1
                                        ; implicit-def: $vgpr3_vgpr4
	s_branch .LBB5_26
.LBB5_43:                               ;   in Loop: Header=BB5_4 Depth=1
                                        ; implicit-def: $vgpr5_vgpr6
	s_branch .LBB5_29
.LBB5_44:
	s_mov_b32 s12, 0
.LBB5_45:
	s_delay_alu instid0(SALU_CYCLE_1)
	s_and_not1_b32 vcc_lo, exec_lo, s12
	s_cbranch_vccnz .LBB5_65
; %bb.46:
	v_dual_mov_b32 v29, 0 :: v_dual_lshlrev_b32 v28, 2, v0
	s_mov_b32 s2, 0
	s_mov_b32 s3, exec_lo
	s_delay_alu instid0(VALU_DEP_1)
	v_cmpx_gt_i64_e64 s[8:9], v[28:29]
	s_cbranch_execz .LBB5_65
; %bb.47:
	s_load_b32 s0, s[0:1], 0xc04
	s_waitcnt lgkmcnt(0)
	v_cmp_neq_f64_e64 s1, s[6:7], 1.0
	v_lshlrev_b32_e32 v30, 5, v0
	s_and_b32 s0, s0, 0xffff
	s_delay_alu instid0(SALU_CYCLE_1)
	v_add_lshl_u32 v28, v0, s0, 2
	s_lshl_b32 s3, s0, 2
	s_lshl_b32 s4, s0, 5
	s_branch .LBB5_49
.LBB5_48:                               ;   in Loop: Header=BB5_49 Depth=1
	v_cmp_le_i64_e32 vcc_lo, s[8:9], v[28:29]
	v_cmp_lt_u64_e64 s0, 0xffff, v[28:29]
	s_waitcnt vmcnt(5)
	v_add_co_u32 v4, s5, s24, v30
	s_delay_alu instid0(VALU_DEP_1)
	v_add_co_ci_u32_e64 v5, null, s25, 0, s5
	global_store_b128 v[4:5], v[0:3], off
	s_waitcnt vmcnt(4)
	global_store_b128 v[4:5], v[16:19], off offset:16
	s_or_b32 s0, vcc_lo, s0
	s_add_u32 s18, s18, s4
	s_addc_u32 s19, s19, 0
	s_add_u32 s24, s24, s4
	s_addc_u32 s25, s25, 0
	s_add_u32 s20, s20, s4
	v_add_co_u32 v28, vcc_lo, v28, s3
	s_addc_u32 s21, s21, 0
	s_add_u32 s22, s22, s4
	v_add_co_ci_u32_e32 v29, vcc_lo, 0, v29, vcc_lo
	s_addc_u32 s23, s23, 0
	s_and_b32 s0, exec_lo, s0
	s_delay_alu instid0(SALU_CYCLE_1) | instskip(NEXT) | instid1(SALU_CYCLE_1)
	s_or_b32 s2, s0, s2
	s_and_not1_b32 exec_lo, exec_lo, s2
	s_cbranch_execz .LBB5_65
.LBB5_49:                               ; =>This Inner Loop Header: Depth=1
	v_add_co_u32 v0, s0, s18, v30
	s_waitcnt vmcnt(0)
	v_add_co_ci_u32_e64 v1, null, s19, 0, s0
	v_add_co_u32 v2, s0, s20, v30
	s_delay_alu instid0(VALU_DEP_1) | instskip(SKIP_1) | instid1(VALU_DEP_1)
	v_add_co_ci_u32_e64 v3, null, s21, 0, s0
	v_add_co_u32 v24, s0, s22, v30
	v_add_co_ci_u32_e64 v25, null, s23, 0, s0
	s_clause 0x1
	global_load_b128 v[4:7], v[0:1], off offset:16
	global_load_b128 v[16:19], v[0:1], off
	s_clause 0x1
	global_load_b128 v[8:11], v[2:3], off offset:16
	global_load_b128 v[20:23], v[2:3], off
	;; [unrolled: 3-line block ×3, first 2 shown]
	s_and_b32 vcc_lo, exec_lo, s1
	s_cbranch_vccz .LBB5_60
; %bb.50:                               ;   in Loop: Header=BB5_49 Depth=1
	s_waitcnt vmcnt(0)
	v_mul_f64 v[0:1], v[20:21], v[24:25]
	s_delay_alu instid0(VALU_DEP_1)
	v_fma_f64 v[0:1], s[6:7], v[0:1], v[16:17]
	s_cbranch_execnz .LBB5_52
.LBB5_51:                               ;   in Loop: Header=BB5_49 Depth=1
	s_waitcnt vmcnt(0)
	v_fma_f64 v[0:1], v[20:21], v[24:25], v[16:17]
.LBB5_52:                               ;   in Loop: Header=BB5_49 Depth=1
	s_and_not1_b32 vcc_lo, exec_lo, s1
	s_cbranch_vccnz .LBB5_61
; %bb.53:                               ;   in Loop: Header=BB5_49 Depth=1
	s_waitcnt vmcnt(0)
	v_mul_f64 v[2:3], v[22:23], v[26:27]
	s_delay_alu instid0(VALU_DEP_1)
	v_fma_f64 v[2:3], s[6:7], v[2:3], v[18:19]
	s_cbranch_execnz .LBB5_55
.LBB5_54:                               ;   in Loop: Header=BB5_49 Depth=1
	s_waitcnt vmcnt(0)
	v_fma_f64 v[2:3], v[22:23], v[26:27], v[18:19]
.LBB5_55:                               ;   in Loop: Header=BB5_49 Depth=1
	s_and_not1_b32 vcc_lo, exec_lo, s1
	s_cbranch_vccnz .LBB5_62
; %bb.56:                               ;   in Loop: Header=BB5_49 Depth=1
	s_waitcnt vmcnt(1)
	v_mul_f64 v[16:17], v[8:9], v[12:13]
	s_delay_alu instid0(VALU_DEP_1)
	v_fma_f64 v[16:17], s[6:7], v[16:17], v[4:5]
	s_cbranch_execnz .LBB5_58
.LBB5_57:                               ;   in Loop: Header=BB5_49 Depth=1
	s_waitcnt vmcnt(1)
	v_fma_f64 v[16:17], v[8:9], v[12:13], v[4:5]
.LBB5_58:                               ;   in Loop: Header=BB5_49 Depth=1
	s_and_not1_b32 vcc_lo, exec_lo, s1
	s_cbranch_vccnz .LBB5_63
; %bb.59:                               ;   in Loop: Header=BB5_49 Depth=1
	s_waitcnt vmcnt(1)
	v_mul_f64 v[4:5], v[10:11], v[14:15]
	s_delay_alu instid0(VALU_DEP_1)
	v_fma_f64 v[18:19], s[6:7], v[4:5], v[6:7]
	s_cbranch_execnz .LBB5_48
	s_branch .LBB5_64
.LBB5_60:                               ;   in Loop: Header=BB5_49 Depth=1
                                        ; implicit-def: $vgpr0_vgpr1
	s_branch .LBB5_51
.LBB5_61:                               ;   in Loop: Header=BB5_49 Depth=1
	s_branch .LBB5_54
.LBB5_62:                               ;   in Loop: Header=BB5_49 Depth=1
                                        ; implicit-def: $vgpr16_vgpr17
	s_branch .LBB5_57
.LBB5_63:                               ;   in Loop: Header=BB5_49 Depth=1
.LBB5_64:                               ;   in Loop: Header=BB5_49 Depth=1
	s_waitcnt vmcnt(1)
	v_fma_f64 v[18:19], v[10:11], v[14:15], v[6:7]
	s_branch .LBB5_48
.LBB5_65:
	s_nop 0
	s_sendmsg sendmsg(MSG_DEALLOC_VGPRS)
	s_endpgm
	.section	.rodata,"a",@progbits
	.p2align	6, 0x0
	.amdhsa_kernel _ZN2at6native12_GLOBAL__N_125multi_tensor_apply_kernelINS1_18TensorListMetadataILi4EEENS1_24PointwiseOpScalarFunctorIdLi4ELi3ELi3EEEJSt10multipliesIdEdEEEvT_T0_DpT1_
		.amdhsa_group_segment_fixed_size 0
		.amdhsa_private_segment_fixed_size 0
		.amdhsa_kernarg_size 3320
		.amdhsa_user_sgpr_count 15
		.amdhsa_user_sgpr_dispatch_ptr 0
		.amdhsa_user_sgpr_queue_ptr 0
		.amdhsa_user_sgpr_kernarg_segment_ptr 1
		.amdhsa_user_sgpr_dispatch_id 0
		.amdhsa_user_sgpr_private_segment_size 0
		.amdhsa_wavefront_size32 1
		.amdhsa_uses_dynamic_stack 0
		.amdhsa_enable_private_segment 0
		.amdhsa_system_sgpr_workgroup_id_x 1
		.amdhsa_system_sgpr_workgroup_id_y 0
		.amdhsa_system_sgpr_workgroup_id_z 0
		.amdhsa_system_sgpr_workgroup_info 0
		.amdhsa_system_vgpr_workitem_id 0
		.amdhsa_next_free_vgpr 65
		.amdhsa_next_free_sgpr 31
		.amdhsa_reserve_vcc 1
		.amdhsa_float_round_mode_32 0
		.amdhsa_float_round_mode_16_64 0
		.amdhsa_float_denorm_mode_32 3
		.amdhsa_float_denorm_mode_16_64 3
		.amdhsa_dx10_clamp 1
		.amdhsa_ieee_mode 1
		.amdhsa_fp16_overflow 0
		.amdhsa_workgroup_processor_mode 1
		.amdhsa_memory_ordered 1
		.amdhsa_forward_progress 0
		.amdhsa_shared_vgpr_count 0
		.amdhsa_exception_fp_ieee_invalid_op 0
		.amdhsa_exception_fp_denorm_src 0
		.amdhsa_exception_fp_ieee_div_zero 0
		.amdhsa_exception_fp_ieee_overflow 0
		.amdhsa_exception_fp_ieee_underflow 0
		.amdhsa_exception_fp_ieee_inexact 0
		.amdhsa_exception_int_div_zero 0
	.end_amdhsa_kernel
	.section	.text._ZN2at6native12_GLOBAL__N_125multi_tensor_apply_kernelINS1_18TensorListMetadataILi4EEENS1_24PointwiseOpScalarFunctorIdLi4ELi3ELi3EEEJSt10multipliesIdEdEEEvT_T0_DpT1_,"axG",@progbits,_ZN2at6native12_GLOBAL__N_125multi_tensor_apply_kernelINS1_18TensorListMetadataILi4EEENS1_24PointwiseOpScalarFunctorIdLi4ELi3ELi3EEEJSt10multipliesIdEdEEEvT_T0_DpT1_,comdat
.Lfunc_end5:
	.size	_ZN2at6native12_GLOBAL__N_125multi_tensor_apply_kernelINS1_18TensorListMetadataILi4EEENS1_24PointwiseOpScalarFunctorIdLi4ELi3ELi3EEEJSt10multipliesIdEdEEEvT_T0_DpT1_, .Lfunc_end5-_ZN2at6native12_GLOBAL__N_125multi_tensor_apply_kernelINS1_18TensorListMetadataILi4EEENS1_24PointwiseOpScalarFunctorIdLi4ELi3ELi3EEEJSt10multipliesIdEdEEEvT_T0_DpT1_
                                        ; -- End function
	.section	.AMDGPU.csdata,"",@progbits
; Kernel info:
; codeLenInByte = 2500
; NumSgprs: 33
; NumVgprs: 65
; ScratchSize: 0
; MemoryBound: 1
; FloatMode: 240
; IeeeMode: 1
; LDSByteSize: 0 bytes/workgroup (compile time only)
; SGPRBlocks: 4
; VGPRBlocks: 8
; NumSGPRsForWavesPerEU: 33
; NumVGPRsForWavesPerEU: 65
; Occupancy: 16
; WaveLimiterHint : 0
; COMPUTE_PGM_RSRC2:SCRATCH_EN: 0
; COMPUTE_PGM_RSRC2:USER_SGPR: 15
; COMPUTE_PGM_RSRC2:TRAP_HANDLER: 0
; COMPUTE_PGM_RSRC2:TGID_X_EN: 1
; COMPUTE_PGM_RSRC2:TGID_Y_EN: 0
; COMPUTE_PGM_RSRC2:TGID_Z_EN: 0
; COMPUTE_PGM_RSRC2:TIDIG_COMP_CNT: 0
	.section	.text._ZN2at6native12_GLOBAL__N_125multi_tensor_apply_kernelINS1_18TensorListMetadataILi4EEENS1_24PointwiseOpScalarFunctorIfLi4ELi3ELi3EEEJSt10multipliesIfEfEEEvT_T0_DpT1_,"axG",@progbits,_ZN2at6native12_GLOBAL__N_125multi_tensor_apply_kernelINS1_18TensorListMetadataILi4EEENS1_24PointwiseOpScalarFunctorIfLi4ELi3ELi3EEEJSt10multipliesIfEfEEEvT_T0_DpT1_,comdat
	.globl	_ZN2at6native12_GLOBAL__N_125multi_tensor_apply_kernelINS1_18TensorListMetadataILi4EEENS1_24PointwiseOpScalarFunctorIfLi4ELi3ELi3EEEJSt10multipliesIfEfEEEvT_T0_DpT1_ ; -- Begin function _ZN2at6native12_GLOBAL__N_125multi_tensor_apply_kernelINS1_18TensorListMetadataILi4EEENS1_24PointwiseOpScalarFunctorIfLi4ELi3ELi3EEEJSt10multipliesIfEfEEEvT_T0_DpT1_
	.p2align	8
	.type	_ZN2at6native12_GLOBAL__N_125multi_tensor_apply_kernelINS1_18TensorListMetadataILi4EEENS1_24PointwiseOpScalarFunctorIfLi4ELi3ELi3EEEJSt10multipliesIfEfEEEvT_T0_DpT1_,@function
_ZN2at6native12_GLOBAL__N_125multi_tensor_apply_kernelINS1_18TensorListMetadataILi4EEENS1_24PointwiseOpScalarFunctorIfLi4ELi3ELi3EEEJSt10multipliesIfEfEEEvT_T0_DpT1_: ; @_ZN2at6native12_GLOBAL__N_125multi_tensor_apply_kernelINS1_18TensorListMetadataILi4EEENS1_24PointwiseOpScalarFunctorIfLi4ELi3ELi3EEEJSt10multipliesIfEfEEEvT_T0_DpT1_
; %bb.0:
	v_mov_b32_e32 v1, s15
	s_add_u32 s2, s0, s15
	s_mul_hi_u32 s3, s15, 3
	s_mul_i32 s15, s15, 3
	s_addc_u32 s4, s1, 0
	global_load_u8 v1, v1, s[0:1] offset:1440
	s_add_u32 s2, s2, s15
	s_addc_u32 s3, s4, s3
	s_mov_b32 s11, 0
	s_load_b32 s6, s[2:3], 0x6e0
	s_mov_b32 s21, s11
	s_waitcnt lgkmcnt(0)
	s_ashr_i32 s7, s6, 31
	s_delay_alu instid0(SALU_CYCLE_1) | instskip(SKIP_2) | instid1(VALU_DEP_1)
	s_lshl_b64 s[8:9], s[6:7], 18
	s_waitcnt vmcnt(0)
	v_readfirstlane_b32 s2, v1
	s_lshl_b32 s10, s2, 3
	s_clause 0x4
	s_load_b64 s[2:3], s[0:1], s10 offset:0x0
	s_load_b64 s[4:5], s[0:1], s10 offset:0x120
	;; [unrolled: 1-line block ×5, first 2 shown]
	s_waitcnt lgkmcnt(0)
	s_add_u32 s16, s2, s8
	s_addc_u32 s17, s3, s9
	s_and_b32 s10, s16, 15
	s_add_u32 s18, s4, s8
	s_addc_u32 s19, s5, s9
	s_and_b32 s20, s18, 15
	s_delay_alu instid0(SALU_CYCLE_1)
	s_cmp_eq_u64 s[20:21], 0
	s_cselect_b32 s25, -1, 0
	s_add_u32 s20, s12, s8
	s_addc_u32 s21, s13, s9
	s_add_u32 s22, s14, s8
	s_addc_u32 s23, s15, s9
	s_or_b32 s24, s22, s20
	s_delay_alu instid0(SALU_CYCLE_1) | instskip(NEXT) | instid1(SALU_CYCLE_1)
	s_and_b32 s24, s24, 15
	s_cmp_eq_u32 s24, 0
	s_load_b32 s24, s[0:1], 0xbec
	s_cselect_b32 s28, -1, 0
	s_lshl_b64 s[6:7], s[6:7], 16
	s_and_b32 s25, s28, s25
	s_sub_u32 s6, s26, s6
	s_subb_u32 s7, s27, s7
	s_and_b32 s26, s26, 3
	s_mov_b32 s27, s11
	s_delay_alu instid0(SALU_CYCLE_1) | instskip(NEXT) | instid1(SALU_CYCLE_1)
	s_or_b64 s[10:11], s[10:11], s[26:27]
	s_cmp_eq_u64 s[10:11], 0
	s_cselect_b32 s10, -1, 0
	s_delay_alu instid0(SALU_CYCLE_1) | instskip(NEXT) | instid1(SALU_CYCLE_1)
	s_and_b32 s10, s25, s10
	s_and_b32 vcc_lo, exec_lo, s10
	s_mov_b32 s10, -1
	s_cbranch_vccnz .LBB6_45
; %bb.1:
	v_cmp_lt_i64_e64 s10, s[6:7], 1
	s_delay_alu instid0(VALU_DEP_1)
	s_and_b32 vcc_lo, exec_lo, s10
	s_cbranch_vccnz .LBB6_44
; %bb.2:
	s_load_b32 s10, s[0:1], 0xbfc
	v_dual_mov_b32 v18, 0 :: v_dual_lshlrev_b32 v17, 2, v0
	v_cmp_gt_u64_e64 s11, 0x10000, s[6:7]
	s_waitcnt lgkmcnt(0)
	v_cmp_neq_f32_e64 s25, s24, 1.0
	s_delay_alu instid0(VALU_DEP_3) | instskip(NEXT) | instid1(VALU_DEP_1)
	v_add_co_u32 v1, s26, s2, v17
	v_add_co_ci_u32_e64 v2, null, s3, 0, s26
	v_add_co_u32 v3, s26, s4, v17
	s_delay_alu instid0(VALU_DEP_1) | instskip(SKIP_1) | instid1(VALU_DEP_1)
	v_add_co_ci_u32_e64 v4, null, s5, 0, s26
	v_add_co_u32 v5, s26, s12, v17
	v_add_co_ci_u32_e64 v6, null, s13, 0, s26
	s_and_b32 s26, s10, 0xffff
	v_add_co_u32 v7, s10, s14, v17
	v_mad_u64_u32 v[15:16], null, s26, 12, v[17:18]
	v_add_co_ci_u32_e64 v8, null, s15, 0, s10
	s_and_b32 s10, s11, exec_lo
	s_cselect_b32 s11, s7, 0
	s_cselect_b32 s10, s6, 0x10000
	s_mul_i32 s28, s26, 3
	s_delay_alu instid0(VALU_DEP_2)
	v_add_co_u32 v9, vcc_lo, s2, v15
	s_lshl_b32 s29, s26, 3
	v_add_co_ci_u32_e32 v10, vcc_lo, s3, v16, vcc_lo
	v_add_co_u32 v11, vcc_lo, s4, v15
	v_add_co_u32 v26, s29, s29, v17
	v_add_co_u32 v17, s28, s28, v0
	v_add_co_ci_u32_e32 v12, vcc_lo, s5, v16, vcc_lo
	v_add_co_ci_u32_e64 v18, null, 0, 0, s28
	v_add_co_u32 v25, s28, v0, s26
	v_add_co_u32 v13, vcc_lo, s12, v15
	v_add_co_ci_u32_e32 v14, vcc_lo, s13, v16, vcc_lo
	v_add_co_u32 v15, vcc_lo, s14, v15
	v_add_co_ci_u32_e64 v27, null, 0, 0, s29
	v_lshlrev_b32_e32 v37, 2, v25
	v_add_co_ci_u32_e32 v16, vcc_lo, s15, v16, vcc_lo
	v_add_co_u32 v19, vcc_lo, s2, v26
	s_delay_alu instid0(VALU_DEP_4)
	v_add_co_ci_u32_e32 v20, vcc_lo, s3, v27, vcc_lo
	v_add_co_u32 v21, vcc_lo, s4, v26
	v_add_co_u32 v31, s2, s2, v37
	v_add_co_ci_u32_e32 v22, vcc_lo, s5, v27, vcc_lo
	v_add_co_ci_u32_e64 v32, null, s3, 0, s2
	v_add_co_u32 v33, s2, s4, v37
	v_add_co_u32 v23, vcc_lo, s12, v26
	s_lshl_b32 s27, s26, 1
	v_add_co_ci_u32_e64 v34, null, s5, 0, s2
	v_add_co_u32 v35, s2, s12, v37
	v_add_co_ci_u32_e32 v24, vcc_lo, s13, v27, vcc_lo
	v_add_co_u32 v26, vcc_lo, s14, v26
	v_add_co_u32 v29, s27, s27, v0
	v_add_co_ci_u32_e64 v36, null, s13, 0, s2
	v_add_co_u32 v37, s2, s14, v37
	v_add_co_ci_u32_e32 v27, vcc_lo, s15, v27, vcc_lo
	v_add_co_ci_u32_e64 v28, null, 0, 0, s28
	v_add_co_ci_u32_e64 v30, null, 0, 0, s27
	;; [unrolled: 1-line block ×3, first 2 shown]
	s_lshl_b32 s14, s26, 2
	s_lshl_b32 s15, s26, 4
	s_mov_b64 s[12:13], 0
	s_branch .LBB6_4
.LBB6_3:                                ;   in Loop: Header=BB6_4 Depth=1
	s_or_b32 exec_lo, exec_lo, s2
	v_add_co_u32 v1, vcc_lo, v1, s15
	v_add_co_ci_u32_e32 v2, vcc_lo, 0, v2, vcc_lo
	v_add_co_u32 v3, vcc_lo, v3, s15
	v_add_co_ci_u32_e32 v4, vcc_lo, 0, v4, vcc_lo
	;; [unrolled: 2-line block ×13, first 2 shown]
	s_add_u32 s12, s12, s14
	v_add_co_u32 v33, vcc_lo, v33, s15
	s_addc_u32 s13, s13, 0
	v_add_co_ci_u32_e32 v34, vcc_lo, 0, v34, vcc_lo
	v_cmp_ge_i64_e64 s2, s[12:13], s[6:7]
	v_cmp_lt_u64_e64 s3, 0xffff, s[12:13]
	v_add_co_u32 v35, vcc_lo, v35, s15
	v_add_co_ci_u32_e32 v36, vcc_lo, 0, v36, vcc_lo
	v_add_co_u32 v37, vcc_lo, v37, s15
	v_add_co_ci_u32_e32 v38, vcc_lo, 0, v38, vcc_lo
	s_or_b32 s2, s2, s3
	s_delay_alu instid0(SALU_CYCLE_1)
	s_and_b32 vcc_lo, exec_lo, s2
	s_cbranch_vccnz .LBB6_44
.LBB6_4:                                ; =>This Inner Loop Header: Depth=1
	s_waitcnt vmcnt(1)
	v_add_co_u32 v39, s2, v0, s12
	s_delay_alu instid0(VALU_DEP_1) | instskip(SKIP_2) | instid1(VALU_DEP_2)
	v_add_co_ci_u32_e64 v40, null, 0, s13, s2
	s_waitcnt vmcnt(0)
	v_mov_b32_e32 v41, 0
	v_cmp_gt_u64_e64 s2, s[10:11], v[39:40]
	v_mov_b32_e32 v40, 0
	s_delay_alu instid0(VALU_DEP_2)
	s_and_saveexec_b32 s3, s2
	s_cbranch_execz .LBB6_6
; %bb.5:                                ;   in Loop: Header=BB6_4 Depth=1
	v_add_co_u32 v39, vcc_lo, v1, s8
	v_add_co_ci_u32_e32 v40, vcc_lo, s9, v2, vcc_lo
	v_add_co_u32 v41, vcc_lo, v3, s8
	v_add_co_ci_u32_e32 v42, vcc_lo, s9, v4, vcc_lo
	global_load_b32 v40, v[39:40], off
	global_load_b32 v41, v[41:42], off
.LBB6_6:                                ;   in Loop: Header=BB6_4 Depth=1
	s_or_b32 exec_lo, exec_lo, s3
	v_dual_mov_b32 v39, 0 :: v_dual_mov_b32 v44, 0
	s_and_saveexec_b32 s3, s2
	s_cbranch_execz .LBB6_8
; %bb.7:                                ;   in Loop: Header=BB6_4 Depth=1
	v_add_co_u32 v42, vcc_lo, v5, s8
	v_add_co_ci_u32_e32 v43, vcc_lo, s9, v6, vcc_lo
	global_load_b32 v44, v[42:43], off
.LBB6_8:                                ;   in Loop: Header=BB6_4 Depth=1
	s_or_b32 exec_lo, exec_lo, s3
	v_add_co_u32 v42, vcc_lo, v25, s12
	v_add_co_ci_u32_e32 v43, vcc_lo, s13, v28, vcc_lo
	s_delay_alu instid0(VALU_DEP_1) | instskip(SKIP_1) | instid1(VALU_DEP_2)
	v_cmp_gt_u64_e64 s3, s[10:11], v[42:43]
	v_mov_b32_e32 v43, 0
	s_and_saveexec_b32 s4, s3
	s_cbranch_execz .LBB6_10
; %bb.9:                                ;   in Loop: Header=BB6_4 Depth=1
	v_add_co_u32 v42, vcc_lo, v31, s8
	v_add_co_ci_u32_e32 v43, vcc_lo, s9, v32, vcc_lo
	v_add_co_u32 v45, vcc_lo, v33, s8
	v_add_co_ci_u32_e32 v46, vcc_lo, s9, v34, vcc_lo
	global_load_b32 v39, v[42:43], off
	global_load_b32 v43, v[45:46], off
.LBB6_10:                               ;   in Loop: Header=BB6_4 Depth=1
	s_or_b32 exec_lo, exec_lo, s4
	v_dual_mov_b32 v42, 0 :: v_dual_mov_b32 v47, 0
	s_and_saveexec_b32 s4, s3
	s_cbranch_execz .LBB6_12
; %bb.11:                               ;   in Loop: Header=BB6_4 Depth=1
	v_add_co_u32 v45, vcc_lo, v35, s8
	v_add_co_ci_u32_e32 v46, vcc_lo, s9, v36, vcc_lo
	global_load_b32 v47, v[45:46], off
.LBB6_12:                               ;   in Loop: Header=BB6_4 Depth=1
	s_or_b32 exec_lo, exec_lo, s4
	v_add_co_u32 v45, vcc_lo, v29, s12
	v_add_co_ci_u32_e32 v46, vcc_lo, s13, v30, vcc_lo
	s_delay_alu instid0(VALU_DEP_1) | instskip(SKIP_1) | instid1(VALU_DEP_2)
	v_cmp_gt_u64_e64 s4, s[10:11], v[45:46]
	v_mov_b32_e32 v46, 0
	s_and_saveexec_b32 s5, s4
	s_cbranch_execz .LBB6_14
; %bb.13:                               ;   in Loop: Header=BB6_4 Depth=1
	v_add_co_u32 v45, vcc_lo, v19, s8
	v_add_co_ci_u32_e32 v46, vcc_lo, s9, v20, vcc_lo
	v_add_co_u32 v48, vcc_lo, v21, s8
	v_add_co_ci_u32_e32 v49, vcc_lo, s9, v22, vcc_lo
	global_load_b32 v42, v[45:46], off
	global_load_b32 v46, v[48:49], off
.LBB6_14:                               ;   in Loop: Header=BB6_4 Depth=1
	s_or_b32 exec_lo, exec_lo, s5
	v_mov_b32_e32 v45, 0
	v_mov_b32_e32 v49, 0
	s_and_saveexec_b32 s5, s4
	s_cbranch_execz .LBB6_16
; %bb.15:                               ;   in Loop: Header=BB6_4 Depth=1
	v_add_co_u32 v48, vcc_lo, v23, s8
	v_add_co_ci_u32_e32 v49, vcc_lo, s9, v24, vcc_lo
	global_load_b32 v49, v[48:49], off
.LBB6_16:                               ;   in Loop: Header=BB6_4 Depth=1
	s_or_b32 exec_lo, exec_lo, s5
	v_add_co_u32 v50, vcc_lo, v17, s12
	v_add_co_ci_u32_e32 v51, vcc_lo, s13, v18, vcc_lo
	v_mov_b32_e32 v48, 0
	s_delay_alu instid0(VALU_DEP_2) | instskip(NEXT) | instid1(VALU_DEP_1)
	v_cmp_gt_u64_e64 s5, s[10:11], v[50:51]
	s_and_saveexec_b32 s26, s5
	s_cbranch_execnz .LBB6_34
; %bb.17:                               ;   in Loop: Header=BB6_4 Depth=1
	s_or_b32 exec_lo, exec_lo, s26
	v_mov_b32_e32 v50, 0
	s_and_saveexec_b32 s26, s5
	s_cbranch_execnz .LBB6_35
.LBB6_18:                               ;   in Loop: Header=BB6_4 Depth=1
	s_or_b32 exec_lo, exec_lo, s26
	s_delay_alu instid0(SALU_CYCLE_1)
	s_and_b32 vcc_lo, exec_lo, s25
	s_cbranch_vccz .LBB6_36
.LBB6_19:                               ;   in Loop: Header=BB6_4 Depth=1
	s_waitcnt vmcnt(0)
	v_mul_f32_e32 v51, v41, v44
	s_delay_alu instid0(VALU_DEP_1)
	v_fma_f32 v51, s24, v51, v40
	s_cbranch_execnz .LBB6_21
.LBB6_20:                               ;   in Loop: Header=BB6_4 Depth=1
	s_waitcnt vmcnt(0)
	v_fmac_f32_e32 v40, v41, v44
	s_delay_alu instid0(VALU_DEP_1)
	v_mov_b32_e32 v51, v40
.LBB6_21:                               ;   in Loop: Header=BB6_4 Depth=1
	s_and_not1_b32 vcc_lo, exec_lo, s25
	s_cbranch_vccnz .LBB6_41
; %bb.22:                               ;   in Loop: Header=BB6_4 Depth=1
	s_waitcnt vmcnt(0)
	v_mul_f32_e32 v40, v43, v47
	s_delay_alu instid0(VALU_DEP_1)
	v_fma_f32 v40, s24, v40, v39
	s_cbranch_execnz .LBB6_24
.LBB6_23:                               ;   in Loop: Header=BB6_4 Depth=1
	s_waitcnt vmcnt(0)
	v_fmac_f32_e32 v39, v43, v47
	s_delay_alu instid0(VALU_DEP_1)
	v_mov_b32_e32 v40, v39
.LBB6_24:                               ;   in Loop: Header=BB6_4 Depth=1
	s_and_not1_b32 vcc_lo, exec_lo, s25
	s_cbranch_vccnz .LBB6_42
; %bb.25:                               ;   in Loop: Header=BB6_4 Depth=1
	s_waitcnt vmcnt(0)
	v_mul_f32_e32 v39, v46, v49
	s_delay_alu instid0(VALU_DEP_1)
	v_fma_f32 v39, s24, v39, v42
	s_cbranch_execnz .LBB6_27
.LBB6_26:                               ;   in Loop: Header=BB6_4 Depth=1
	s_waitcnt vmcnt(0)
	v_fmac_f32_e32 v42, v46, v49
	s_delay_alu instid0(VALU_DEP_1)
	v_mov_b32_e32 v39, v42
.LBB6_27:                               ;   in Loop: Header=BB6_4 Depth=1
	s_and_not1_b32 vcc_lo, exec_lo, s25
	s_cbranch_vccnz .LBB6_43
; %bb.28:                               ;   in Loop: Header=BB6_4 Depth=1
	s_waitcnt vmcnt(0)
	v_mul_f32_e32 v41, v48, v50
	s_delay_alu instid0(VALU_DEP_1)
	v_fma_f32 v41, s24, v41, v45
	s_cbranch_execnz .LBB6_30
.LBB6_29:                               ;   in Loop: Header=BB6_4 Depth=1
	s_waitcnt vmcnt(0)
	v_fmac_f32_e32 v45, v48, v50
	s_delay_alu instid0(VALU_DEP_1)
	v_mov_b32_e32 v41, v45
.LBB6_30:                               ;   in Loop: Header=BB6_4 Depth=1
	s_and_saveexec_b32 s26, s2
	s_delay_alu instid0(SALU_CYCLE_1)
	s_xor_b32 s2, exec_lo, s26
	s_cbranch_execnz .LBB6_37
; %bb.31:                               ;   in Loop: Header=BB6_4 Depth=1
	s_or_b32 exec_lo, exec_lo, s2
	s_and_saveexec_b32 s2, s3
	s_cbranch_execnz .LBB6_38
.LBB6_32:                               ;   in Loop: Header=BB6_4 Depth=1
	s_or_b32 exec_lo, exec_lo, s2
	s_and_saveexec_b32 s2, s4
	s_cbranch_execnz .LBB6_39
.LBB6_33:                               ;   in Loop: Header=BB6_4 Depth=1
	s_or_b32 exec_lo, exec_lo, s2
	s_and_saveexec_b32 s2, s5
	s_cbranch_execz .LBB6_3
	s_branch .LBB6_40
.LBB6_34:                               ;   in Loop: Header=BB6_4 Depth=1
	v_add_co_u32 v50, vcc_lo, v9, s8
	v_add_co_ci_u32_e32 v51, vcc_lo, s9, v10, vcc_lo
	v_add_co_u32 v52, vcc_lo, v11, s8
	v_add_co_ci_u32_e32 v53, vcc_lo, s9, v12, vcc_lo
	global_load_b32 v45, v[50:51], off
	global_load_b32 v48, v[52:53], off
	s_or_b32 exec_lo, exec_lo, s26
	v_mov_b32_e32 v50, 0
	s_and_saveexec_b32 s26, s5
	s_cbranch_execz .LBB6_18
.LBB6_35:                               ;   in Loop: Header=BB6_4 Depth=1
	v_add_co_u32 v50, vcc_lo, v13, s8
	v_add_co_ci_u32_e32 v51, vcc_lo, s9, v14, vcc_lo
	global_load_b32 v50, v[50:51], off
	s_or_b32 exec_lo, exec_lo, s26
	s_delay_alu instid0(SALU_CYCLE_1)
	s_and_b32 vcc_lo, exec_lo, s25
	s_cbranch_vccnz .LBB6_19
.LBB6_36:                               ;   in Loop: Header=BB6_4 Depth=1
                                        ; implicit-def: $vgpr51
	s_branch .LBB6_20
.LBB6_37:                               ;   in Loop: Header=BB6_4 Depth=1
	s_waitcnt vmcnt(1)
	v_add_co_u32 v42, vcc_lo, v7, s8
	s_waitcnt vmcnt(0)
	v_add_co_ci_u32_e32 v43, vcc_lo, s9, v8, vcc_lo
	global_store_b32 v[42:43], v51, off
	s_or_b32 exec_lo, exec_lo, s2
	s_and_saveexec_b32 s2, s3
	s_cbranch_execz .LBB6_32
.LBB6_38:                               ;   in Loop: Header=BB6_4 Depth=1
	s_waitcnt vmcnt(1)
	v_add_co_u32 v42, vcc_lo, v37, s8
	s_waitcnt vmcnt(0)
	v_add_co_ci_u32_e32 v43, vcc_lo, s9, v38, vcc_lo
	global_store_b32 v[42:43], v40, off
	s_or_b32 exec_lo, exec_lo, s2
	s_and_saveexec_b32 s2, s4
	s_cbranch_execz .LBB6_33
.LBB6_39:                               ;   in Loop: Header=BB6_4 Depth=1
	s_waitcnt vmcnt(1)
	v_add_co_u32 v42, vcc_lo, v26, s8
	s_waitcnt vmcnt(0)
	v_add_co_ci_u32_e32 v43, vcc_lo, s9, v27, vcc_lo
	global_store_b32 v[42:43], v39, off
	s_or_b32 exec_lo, exec_lo, s2
	s_and_saveexec_b32 s2, s5
	s_cbranch_execz .LBB6_3
.LBB6_40:                               ;   in Loop: Header=BB6_4 Depth=1
	s_waitcnt vmcnt(1)
	v_add_co_u32 v39, vcc_lo, v15, s8
	v_add_co_ci_u32_e32 v40, vcc_lo, s9, v16, vcc_lo
	s_waitcnt vmcnt(0)
	global_store_b32 v[39:40], v41, off
	s_branch .LBB6_3
.LBB6_41:                               ;   in Loop: Header=BB6_4 Depth=1
                                        ; implicit-def: $vgpr40
	s_branch .LBB6_23
.LBB6_42:                               ;   in Loop: Header=BB6_4 Depth=1
                                        ; implicit-def: $vgpr39
	s_branch .LBB6_26
.LBB6_43:                               ;   in Loop: Header=BB6_4 Depth=1
                                        ; implicit-def: $vgpr41
	s_branch .LBB6_29
.LBB6_44:
	s_mov_b32 s10, 0
.LBB6_45:
	s_delay_alu instid0(SALU_CYCLE_1)
	s_and_not1_b32 vcc_lo, exec_lo, s10
	s_cbranch_vccnz .LBB6_65
; %bb.46:
	v_dual_mov_b32 v14, 0 :: v_dual_lshlrev_b32 v13, 2, v0
	s_mov_b32 s2, 0
	s_mov_b32 s3, exec_lo
	s_delay_alu instid0(VALU_DEP_1)
	v_cmpx_gt_i64_e64 s[6:7], v[13:14]
	s_cbranch_execz .LBB6_65
; %bb.47:
	s_load_b32 s0, s[0:1], 0xbfc
	v_lshlrev_b32_e32 v15, 4, v0
	s_waitcnt lgkmcnt(0)
	v_cmp_neq_f32_e64 s1, s24, 1.0
	s_and_b32 s0, s0, 0xffff
	s_delay_alu instid0(SALU_CYCLE_1)
	v_add_lshl_u32 v13, v0, s0, 2
	s_lshl_b32 s3, s0, 2
	s_lshl_b32 s4, s0, 4
	s_branch .LBB6_49
.LBB6_48:                               ;   in Loop: Header=BB6_49 Depth=1
	v_cmp_le_i64_e32 vcc_lo, s[6:7], v[13:14]
	v_cmp_lt_u64_e64 s0, 0xffff, v[13:14]
	s_waitcnt vmcnt(2)
	v_add_co_u32 v4, s5, s22, v15
	s_waitcnt vmcnt(1)
	v_add_co_ci_u32_e64 v5, null, s23, 0, s5
	s_delay_alu instid0(VALU_DEP_3)
	s_or_b32 s0, vcc_lo, s0
	s_add_u32 s16, s16, s4
	s_addc_u32 s17, s17, 0
	s_add_u32 s22, s22, s4
	s_addc_u32 s23, s23, 0
	s_add_u32 s18, s18, s4
	v_add_co_u32 v13, vcc_lo, v13, s3
	s_addc_u32 s19, s19, 0
	s_add_u32 s20, s20, s4
	v_add_co_ci_u32_e32 v14, vcc_lo, 0, v14, vcc_lo
	s_addc_u32 s21, s21, 0
	s_and_b32 s0, exec_lo, s0
	global_store_b128 v[4:5], v[0:3], off
	s_or_b32 s2, s0, s2
	s_delay_alu instid0(SALU_CYCLE_1)
	s_and_not1_b32 exec_lo, exec_lo, s2
	s_cbranch_execz .LBB6_65
.LBB6_49:                               ; =>This Inner Loop Header: Depth=1
	v_add_co_u32 v0, s0, s16, v15
	s_delay_alu instid0(VALU_DEP_1) | instskip(SKIP_1) | instid1(VALU_DEP_1)
	v_add_co_ci_u32_e64 v1, null, s17, 0, s0
	v_add_co_u32 v5, s0, s18, v15
	v_add_co_ci_u32_e64 v6, null, s19, 0, s0
	s_waitcnt vmcnt(0)
	v_add_co_u32 v9, s0, s20, v15
	s_delay_alu instid0(VALU_DEP_1)
	v_add_co_ci_u32_e64 v10, null, s21, 0, s0
	global_load_b128 v[1:4], v[0:1], off
	global_load_b128 v[5:8], v[5:6], off
	;; [unrolled: 1-line block ×3, first 2 shown]
	s_and_b32 vcc_lo, exec_lo, s1
	s_cbranch_vccz .LBB6_60
; %bb.50:                               ;   in Loop: Header=BB6_49 Depth=1
	s_waitcnt vmcnt(0)
	v_mul_f32_e32 v0, v5, v9
	s_delay_alu instid0(VALU_DEP_1)
	v_fma_f32 v0, s24, v0, v1
	s_cbranch_execnz .LBB6_52
.LBB6_51:                               ;   in Loop: Header=BB6_49 Depth=1
	s_waitcnt vmcnt(0)
	v_fma_f32 v0, v5, v9, v1
.LBB6_52:                               ;   in Loop: Header=BB6_49 Depth=1
	s_and_not1_b32 vcc_lo, exec_lo, s1
	s_cbranch_vccnz .LBB6_61
; %bb.53:                               ;   in Loop: Header=BB6_49 Depth=1
	s_waitcnt vmcnt(0)
	v_mul_f32_e32 v1, v6, v10
	s_delay_alu instid0(VALU_DEP_1)
	v_fma_f32 v1, s24, v1, v2
	s_cbranch_execnz .LBB6_55
.LBB6_54:                               ;   in Loop: Header=BB6_49 Depth=1
	s_waitcnt vmcnt(0)
	v_fma_f32 v1, v6, v10, v2
.LBB6_55:                               ;   in Loop: Header=BB6_49 Depth=1
	s_and_not1_b32 vcc_lo, exec_lo, s1
	s_cbranch_vccnz .LBB6_62
; %bb.56:                               ;   in Loop: Header=BB6_49 Depth=1
	s_waitcnt vmcnt(0)
	v_mul_f32_e32 v2, v7, v11
	s_delay_alu instid0(VALU_DEP_1)
	v_fma_f32 v2, s24, v2, v3
	s_cbranch_execnz .LBB6_58
.LBB6_57:                               ;   in Loop: Header=BB6_49 Depth=1
	s_waitcnt vmcnt(0)
	v_fma_f32 v2, v7, v11, v3
.LBB6_58:                               ;   in Loop: Header=BB6_49 Depth=1
	s_and_not1_b32 vcc_lo, exec_lo, s1
	s_cbranch_vccnz .LBB6_63
; %bb.59:                               ;   in Loop: Header=BB6_49 Depth=1
	s_waitcnt vmcnt(0)
	v_mul_f32_e32 v3, v8, v12
	s_delay_alu instid0(VALU_DEP_1)
	v_fma_f32 v3, s24, v3, v4
	s_cbranch_execnz .LBB6_48
	s_branch .LBB6_64
.LBB6_60:                               ;   in Loop: Header=BB6_49 Depth=1
                                        ; implicit-def: $vgpr0
	s_branch .LBB6_51
.LBB6_61:                               ;   in Loop: Header=BB6_49 Depth=1
	s_branch .LBB6_54
.LBB6_62:                               ;   in Loop: Header=BB6_49 Depth=1
	s_branch .LBB6_57
.LBB6_63:                               ;   in Loop: Header=BB6_49 Depth=1
.LBB6_64:                               ;   in Loop: Header=BB6_49 Depth=1
	s_waitcnt vmcnt(0)
	v_fmac_f32_e32 v4, v8, v12
	s_delay_alu instid0(VALU_DEP_1)
	v_mov_b32_e32 v3, v4
	s_branch .LBB6_48
.LBB6_65:
	s_nop 0
	s_sendmsg sendmsg(MSG_DEALLOC_VGPRS)
	s_endpgm
	.section	.rodata,"a",@progbits
	.p2align	6, 0x0
	.amdhsa_kernel _ZN2at6native12_GLOBAL__N_125multi_tensor_apply_kernelINS1_18TensorListMetadataILi4EEENS1_24PointwiseOpScalarFunctorIfLi4ELi3ELi3EEEJSt10multipliesIfEfEEEvT_T0_DpT1_
		.amdhsa_group_segment_fixed_size 0
		.amdhsa_private_segment_fixed_size 0
		.amdhsa_kernarg_size 3312
		.amdhsa_user_sgpr_count 15
		.amdhsa_user_sgpr_dispatch_ptr 0
		.amdhsa_user_sgpr_queue_ptr 0
		.amdhsa_user_sgpr_kernarg_segment_ptr 1
		.amdhsa_user_sgpr_dispatch_id 0
		.amdhsa_user_sgpr_private_segment_size 0
		.amdhsa_wavefront_size32 1
		.amdhsa_uses_dynamic_stack 0
		.amdhsa_enable_private_segment 0
		.amdhsa_system_sgpr_workgroup_id_x 1
		.amdhsa_system_sgpr_workgroup_id_y 0
		.amdhsa_system_sgpr_workgroup_id_z 0
		.amdhsa_system_sgpr_workgroup_info 0
		.amdhsa_system_vgpr_workitem_id 0
		.amdhsa_next_free_vgpr 54
		.amdhsa_next_free_sgpr 30
		.amdhsa_reserve_vcc 1
		.amdhsa_float_round_mode_32 0
		.amdhsa_float_round_mode_16_64 0
		.amdhsa_float_denorm_mode_32 3
		.amdhsa_float_denorm_mode_16_64 3
		.amdhsa_dx10_clamp 1
		.amdhsa_ieee_mode 1
		.amdhsa_fp16_overflow 0
		.amdhsa_workgroup_processor_mode 1
		.amdhsa_memory_ordered 1
		.amdhsa_forward_progress 0
		.amdhsa_shared_vgpr_count 0
		.amdhsa_exception_fp_ieee_invalid_op 0
		.amdhsa_exception_fp_denorm_src 0
		.amdhsa_exception_fp_ieee_div_zero 0
		.amdhsa_exception_fp_ieee_overflow 0
		.amdhsa_exception_fp_ieee_underflow 0
		.amdhsa_exception_fp_ieee_inexact 0
		.amdhsa_exception_int_div_zero 0
	.end_amdhsa_kernel
	.section	.text._ZN2at6native12_GLOBAL__N_125multi_tensor_apply_kernelINS1_18TensorListMetadataILi4EEENS1_24PointwiseOpScalarFunctorIfLi4ELi3ELi3EEEJSt10multipliesIfEfEEEvT_T0_DpT1_,"axG",@progbits,_ZN2at6native12_GLOBAL__N_125multi_tensor_apply_kernelINS1_18TensorListMetadataILi4EEENS1_24PointwiseOpScalarFunctorIfLi4ELi3ELi3EEEJSt10multipliesIfEfEEEvT_T0_DpT1_,comdat
.Lfunc_end6:
	.size	_ZN2at6native12_GLOBAL__N_125multi_tensor_apply_kernelINS1_18TensorListMetadataILi4EEENS1_24PointwiseOpScalarFunctorIfLi4ELi3ELi3EEEJSt10multipliesIfEfEEEvT_T0_DpT1_, .Lfunc_end6-_ZN2at6native12_GLOBAL__N_125multi_tensor_apply_kernelINS1_18TensorListMetadataILi4EEENS1_24PointwiseOpScalarFunctorIfLi4ELi3ELi3EEEJSt10multipliesIfEfEEEvT_T0_DpT1_
                                        ; -- End function
	.section	.AMDGPU.csdata,"",@progbits
; Kernel info:
; codeLenInByte = 2404
; NumSgprs: 32
; NumVgprs: 54
; ScratchSize: 0
; MemoryBound: 1
; FloatMode: 240
; IeeeMode: 1
; LDSByteSize: 0 bytes/workgroup (compile time only)
; SGPRBlocks: 3
; VGPRBlocks: 6
; NumSGPRsForWavesPerEU: 32
; NumVGPRsForWavesPerEU: 54
; Occupancy: 16
; WaveLimiterHint : 0
; COMPUTE_PGM_RSRC2:SCRATCH_EN: 0
; COMPUTE_PGM_RSRC2:USER_SGPR: 15
; COMPUTE_PGM_RSRC2:TRAP_HANDLER: 0
; COMPUTE_PGM_RSRC2:TGID_X_EN: 1
; COMPUTE_PGM_RSRC2:TGID_Y_EN: 0
; COMPUTE_PGM_RSRC2:TGID_Z_EN: 0
; COMPUTE_PGM_RSRC2:TIDIG_COMP_CNT: 0
	.section	.text._ZN2at6native12_GLOBAL__N_125multi_tensor_apply_kernelINS1_18TensorListMetadataILi4EEENS1_24PointwiseOpScalarFunctorIN3c107complexIdEELi4ELi3ELi3EEEJSt10multipliesIS8_ES8_EEEvT_T0_DpT1_,"axG",@progbits,_ZN2at6native12_GLOBAL__N_125multi_tensor_apply_kernelINS1_18TensorListMetadataILi4EEENS1_24PointwiseOpScalarFunctorIN3c107complexIdEELi4ELi3ELi3EEEJSt10multipliesIS8_ES8_EEEvT_T0_DpT1_,comdat
	.globl	_ZN2at6native12_GLOBAL__N_125multi_tensor_apply_kernelINS1_18TensorListMetadataILi4EEENS1_24PointwiseOpScalarFunctorIN3c107complexIdEELi4ELi3ELi3EEEJSt10multipliesIS8_ES8_EEEvT_T0_DpT1_ ; -- Begin function _ZN2at6native12_GLOBAL__N_125multi_tensor_apply_kernelINS1_18TensorListMetadataILi4EEENS1_24PointwiseOpScalarFunctorIN3c107complexIdEELi4ELi3ELi3EEEJSt10multipliesIS8_ES8_EEEvT_T0_DpT1_
	.p2align	8
	.type	_ZN2at6native12_GLOBAL__N_125multi_tensor_apply_kernelINS1_18TensorListMetadataILi4EEENS1_24PointwiseOpScalarFunctorIN3c107complexIdEELi4ELi3ELi3EEEJSt10multipliesIS8_ES8_EEEvT_T0_DpT1_,@function
_ZN2at6native12_GLOBAL__N_125multi_tensor_apply_kernelINS1_18TensorListMetadataILi4EEENS1_24PointwiseOpScalarFunctorIN3c107complexIdEELi4ELi3ELi3EEEJSt10multipliesIS8_ES8_EEEvT_T0_DpT1_: ; @_ZN2at6native12_GLOBAL__N_125multi_tensor_apply_kernelINS1_18TensorListMetadataILi4EEENS1_24PointwiseOpScalarFunctorIN3c107complexIdEELi4ELi3ELi3EEEJSt10multipliesIS8_ES8_EEEvT_T0_DpT1_
; %bb.0:
	v_mov_b32_e32 v1, s15
	s_add_u32 s2, s0, s15
	s_mul_hi_u32 s3, s15, 3
	s_mul_i32 s15, s15, 3
	s_addc_u32 s4, s1, 0
	global_load_u8 v1, v1, s[0:1] offset:1440
	s_add_u32 s2, s2, s15
	s_addc_u32 s3, s4, s3
	s_load_b32 s6, s[2:3], 0x6e0
	s_waitcnt lgkmcnt(0)
	s_ashr_i32 s7, s6, 31
	s_delay_alu instid0(SALU_CYCLE_1) | instskip(SKIP_2) | instid1(VALU_DEP_1)
	s_lshl_b64 s[12:13], s[6:7], 20
	s_waitcnt vmcnt(0)
	v_readfirstlane_b32 s2, v1
	s_lshl_b32 s8, s2, 3
	s_clause 0x4
	s_load_b64 s[2:3], s[0:1], s8 offset:0x0
	s_load_b64 s[4:5], s[0:1], s8 offset:0x120
	;; [unrolled: 1-line block ×5, first 2 shown]
	s_waitcnt lgkmcnt(0)
	s_add_u32 s22, s2, s12
	s_addc_u32 s23, s3, s13
	s_add_u32 s24, s4, s12
	s_addc_u32 s25, s5, s13
	s_and_b32 s16, s24, 63
	s_add_u32 s26, s18, s12
	s_addc_u32 s27, s19, s13
	s_add_u32 s28, s20, s12
	s_addc_u32 s29, s21, s13
	s_or_b32 s8, s28, s26
	s_delay_alu instid0(SALU_CYCLE_1)
	s_and_b32 s17, s8, 63
	s_load_b128 s[8:11], s[0:1], 0xbf0
	s_cmp_eq_u32 s17, 0
	s_mov_b32 s17, 0
	s_cselect_b32 s33, -1, 0
	s_and_b32 s30, s22, 63
	s_cmp_eq_u64 s[16:17], 0
	s_mov_b32 s31, s17
	s_cselect_b32 s16, -1, 0
	s_lshl_b64 s[6:7], s[6:7], 16
	s_and_b32 s33, s33, s16
	s_sub_u32 s6, s14, s6
	s_subb_u32 s7, s15, s7
	s_and_b32 s16, s14, 3
	s_delay_alu instid0(SALU_CYCLE_1) | instskip(NEXT) | instid1(SALU_CYCLE_1)
	s_or_b64 s[14:15], s[30:31], s[16:17]
	s_cmp_eq_u64 s[14:15], 0
	s_cselect_b32 s14, -1, 0
	s_delay_alu instid0(SALU_CYCLE_1) | instskip(NEXT) | instid1(SALU_CYCLE_1)
	s_and_b32 s14, s33, s14
	s_and_b32 vcc_lo, exec_lo, s14
	s_mov_b32 s14, -1
	s_cbranch_vccnz .LBB7_37
; %bb.1:
	v_cmp_lt_i64_e64 s14, s[6:7], 1
	s_delay_alu instid0(VALU_DEP_1)
	s_and_b32 vcc_lo, exec_lo, s14
	s_cbranch_vccnz .LBB7_36
; %bb.2:
	s_waitcnt lgkmcnt(0)
	v_cmp_neq_f64_e64 s14, s[8:9], 1.0
	v_cmp_neq_f64_e64 s34, s[10:11], 0
	s_load_b32 s16, s[0:1], 0xc0c
	v_dual_mov_b32 v1, 0 :: v_dual_lshlrev_b32 v6, 4, v0
	v_cmp_gt_u64_e64 s17, 0x10000, s[6:7]
	s_mov_b32 s15, 0
	s_delay_alu instid0(VALU_DEP_2) | instskip(NEXT) | instid1(VALU_DEP_3)
	v_or_b32_e32 v2, 8, v6
	v_mov_b32_e32 v3, v1
	v_dual_mov_b32 v50, v1 :: v_dual_mov_b32 v49, v0
	s_delay_alu instid0(VALU_DEP_3) | instskip(NEXT) | instid1(VALU_DEP_1)
	v_add_co_u32 v53, s30, s4, v2
	v_add_co_ci_u32_e64 v54, null, s5, 0, s30
	v_add_co_u32 v55, s30, s2, v2
	s_delay_alu instid0(VALU_DEP_1) | instskip(SKIP_1) | instid1(VALU_DEP_1)
	v_add_co_ci_u32_e64 v56, null, s3, 0, s30
	v_add_co_u32 v57, s30, s18, v2
	v_add_co_ci_u32_e64 v58, null, s19, 0, s30
	s_waitcnt lgkmcnt(0)
	s_and_b32 s30, s16, 0xffff
	s_and_b32 s16, s17, exec_lo
	v_mad_u64_u32 v[4:5], null, s30, 48, v[2:3]
	v_add_lshl_u32 v7, v0, s30, 4
	s_cselect_b32 s17, s7, 0
	s_cselect_b32 s16, s6, 0x10000
	s_lshl_b32 s31, s30, 1
	s_mul_i32 s33, s30, 3
	v_add_co_u32 v59, s35, s20, v7
	s_delay_alu instid0(VALU_DEP_3) | instskip(SKIP_3) | instid1(VALU_DEP_1)
	v_add_co_u32 v67, vcc_lo, s4, v4
	v_add_co_ci_u32_e32 v68, vcc_lo, s5, v5, vcc_lo
	s_or_b32 s34, s14, s34
	v_add_co_u32 v63, s14, s20, v2
	v_add_co_ci_u32_e64 v64, null, s21, 0, s14
	v_add_co_u32 v65, s14, s2, v7
	s_delay_alu instid0(VALU_DEP_1) | instskip(SKIP_1) | instid1(VALU_DEP_1)
	v_add_co_ci_u32_e64 v66, null, s3, 0, s14
	v_add_co_u32 v69, s14, s4, v7
	v_add_co_ci_u32_e64 v70, null, s5, 0, s14
	s_lshl_b32 s14, s30, 5
	v_add_co_u32 v71, vcc_lo, s2, v4
	v_add_co_u32 v2, s14, s14, v6
	v_add_co_ci_u32_e32 v72, vcc_lo, s3, v5, vcc_lo
	v_add_co_ci_u32_e64 v3, null, 0, 0, s14
	v_add_co_u32 v73, vcc_lo, s18, v4
	v_add_co_ci_u32_e32 v74, vcc_lo, s19, v5, vcc_lo
	v_add_co_u32 v75, vcc_lo, s20, v2
	s_delay_alu instid0(VALU_DEP_4)
	v_add_co_ci_u32_e32 v76, vcc_lo, s21, v3, vcc_lo
	v_add_co_u32 v77, vcc_lo, s20, v4
	v_or_b32_e32 v4, 8, v2
	v_add_co_ci_u32_e32 v78, vcc_lo, s21, v5, vcc_lo
	v_add_co_u32 v79, vcc_lo, s18, v2
	v_add_co_ci_u32_e32 v80, vcc_lo, s19, v3, vcc_lo
	s_delay_alu instid0(VALU_DEP_4)
	v_add_co_u32 v81, vcc_lo, s4, v4
	v_add_co_ci_u32_e32 v82, vcc_lo, s5, v3, vcc_lo
	v_add_co_ci_u32_e64 v60, null, s21, 0, s35
	v_add_co_u32 v61, s35, s18, v7
	v_add_co_u32 v83, vcc_lo, s2, v4
	v_add_co_ci_u32_e64 v62, null, s19, 0, s35
	v_add_co_ci_u32_e32 v84, vcc_lo, s3, v3, vcc_lo
	s_lshl_b32 s14, s30, 2
	s_lshl_b32 s20, s30, 6
	s_mov_b64 s[18:19], s[14:15]
	s_branch .LBB7_4
.LBB7_3:                                ;   in Loop: Header=BB7_4 Depth=1
	s_or_b32 exec_lo, exec_lo, s2
	v_add_co_u32 v49, vcc_lo, v49, s14
	v_add_co_ci_u32_e32 v50, vcc_lo, 0, v50, vcc_lo
	v_add_co_u32 v53, vcc_lo, v53, s20
	v_add_co_ci_u32_e32 v54, vcc_lo, 0, v54, vcc_lo
	;; [unrolled: 2-line block ×15, first 2 shown]
	v_cmp_ge_i64_e64 s2, s[18:19], s[6:7]
	v_cmp_lt_u64_e64 s3, 0xffff, s[18:19]
	v_add_co_u32 v81, vcc_lo, v81, s20
	v_add_co_ci_u32_e32 v82, vcc_lo, 0, v82, vcc_lo
	v_add_co_u32 v83, vcc_lo, v83, s20
	v_add_co_ci_u32_e32 v84, vcc_lo, 0, v84, vcc_lo
	s_or_b32 s2, s2, s3
	s_add_u32 s18, s18, s14
	s_addc_u32 s19, s19, 0
	s_and_b32 vcc_lo, exec_lo, s2
	s_cbranch_vccnz .LBB7_36
.LBB7_4:                                ; =>This Inner Loop Header: Depth=1
	v_mov_b32_e32 v11, 0
	v_mov_b32_e32 v12, 0
	v_cmp_gt_u64_e64 s2, s[16:17], v[49:50]
	s_delay_alu instid0(VALU_DEP_3) | instskip(NEXT) | instid1(VALU_DEP_3)
	v_mov_b32_e32 v3, v11
	v_dual_mov_b32 v1, v11 :: v_dual_mov_b32 v2, v12
	v_dual_mov_b32 v16, v12 :: v_dual_mov_b32 v15, v11
	;; [unrolled: 1-line block ×3, first 2 shown]
	v_mov_b32_e32 v4, v12
	s_and_saveexec_b32 s3, s2
	s_cbranch_execz .LBB7_6
; %bb.5:                                ;   in Loop: Header=BB7_4 Depth=1
	v_add_co_u32 v1, vcc_lo, v55, s12
	v_add_co_ci_u32_e32 v2, vcc_lo, s13, v56, vcc_lo
	v_add_co_u32 v5, vcc_lo, v53, s12
	v_add_co_ci_u32_e32 v6, vcc_lo, s13, v54, vcc_lo
	global_load_b128 v[1:4], v[1:2], off offset:-8
	global_load_b128 v[13:16], v[5:6], off offset:-8
.LBB7_6:                                ;   in Loop: Header=BB7_4 Depth=1
	s_or_b32 exec_lo, exec_lo, s3
	v_dual_mov_b32 v9, v11 :: v_dual_mov_b32 v10, v12
	s_and_saveexec_b32 s3, s2
	s_cbranch_execz .LBB7_8
; %bb.7:                                ;   in Loop: Header=BB7_4 Depth=1
	v_add_co_u32 v5, vcc_lo, v57, s12
	v_add_co_ci_u32_e32 v6, vcc_lo, s13, v58, vcc_lo
	global_load_b128 v[9:12], v[5:6], off offset:-8
.LBB7_8:                                ;   in Loop: Header=BB7_4 Depth=1
	s_or_b32 exec_lo, exec_lo, s3
	v_add_co_u32 v5, vcc_lo, s30, v49
	v_add_co_ci_u32_e32 v6, vcc_lo, 0, v50, vcc_lo
	v_mov_b32_e32 v23, 0
	v_mov_b32_e32 v24, 0
	s_delay_alu instid0(VALU_DEP_2) | instskip(NEXT) | instid1(VALU_DEP_4)
	v_mov_b32_e32 v7, v23
	v_cmp_gt_u64_e64 s3, s[16:17], v[5:6]
	s_delay_alu instid0(VALU_DEP_3)
	v_dual_mov_b32 v5, v23 :: v_dual_mov_b32 v6, v24
	v_dual_mov_b32 v28, v24 :: v_dual_mov_b32 v27, v23
	;; [unrolled: 1-line block ×3, first 2 shown]
	v_mov_b32_e32 v8, v24
	s_and_saveexec_b32 s4, s3
	s_cbranch_execz .LBB7_10
; %bb.9:                                ;   in Loop: Header=BB7_4 Depth=1
	v_add_co_u32 v5, vcc_lo, v65, s12
	v_add_co_ci_u32_e32 v6, vcc_lo, s13, v66, vcc_lo
	v_add_co_u32 v17, vcc_lo, v69, s12
	v_add_co_ci_u32_e32 v18, vcc_lo, s13, v70, vcc_lo
	global_load_b128 v[5:8], v[5:6], off
	global_load_b128 v[25:28], v[17:18], off
.LBB7_10:                               ;   in Loop: Header=BB7_4 Depth=1
	s_or_b32 exec_lo, exec_lo, s4
	v_dual_mov_b32 v21, v23 :: v_dual_mov_b32 v22, v24
	s_and_saveexec_b32 s4, s3
	s_cbranch_execz .LBB7_12
; %bb.11:                               ;   in Loop: Header=BB7_4 Depth=1
	v_add_co_u32 v17, vcc_lo, v61, s12
	v_add_co_ci_u32_e32 v18, vcc_lo, s13, v62, vcc_lo
	global_load_b128 v[21:24], v[17:18], off
.LBB7_12:                               ;   in Loop: Header=BB7_4 Depth=1
	s_or_b32 exec_lo, exec_lo, s4
	v_add_co_u32 v17, vcc_lo, s31, v49
	v_add_co_ci_u32_e32 v18, vcc_lo, 0, v50, vcc_lo
	v_mov_b32_e32 v35, 0
	v_mov_b32_e32 v36, 0
	s_delay_alu instid0(VALU_DEP_2) | instskip(NEXT) | instid1(VALU_DEP_4)
	v_mov_b32_e32 v19, v35
	v_cmp_gt_u64_e64 s4, s[16:17], v[17:18]
	s_delay_alu instid0(VALU_DEP_3)
	v_dual_mov_b32 v17, v35 :: v_dual_mov_b32 v18, v36
	v_dual_mov_b32 v40, v36 :: v_dual_mov_b32 v39, v35
	;; [unrolled: 1-line block ×3, first 2 shown]
	v_mov_b32_e32 v20, v36
	s_and_saveexec_b32 s5, s4
	s_cbranch_execz .LBB7_14
; %bb.13:                               ;   in Loop: Header=BB7_4 Depth=1
	v_add_co_u32 v17, vcc_lo, v83, s12
	v_add_co_ci_u32_e32 v18, vcc_lo, s13, v84, vcc_lo
	v_add_co_u32 v29, vcc_lo, v81, s12
	v_add_co_ci_u32_e32 v30, vcc_lo, s13, v82, vcc_lo
	global_load_b128 v[17:20], v[17:18], off offset:-8
	global_load_b128 v[37:40], v[29:30], off offset:-8
.LBB7_14:                               ;   in Loop: Header=BB7_4 Depth=1
	s_or_b32 exec_lo, exec_lo, s5
	v_dual_mov_b32 v33, v35 :: v_dual_mov_b32 v34, v36
	s_and_saveexec_b32 s5, s4
	s_cbranch_execz .LBB7_16
; %bb.15:                               ;   in Loop: Header=BB7_4 Depth=1
	v_add_co_u32 v29, vcc_lo, v79, s12
	v_add_co_ci_u32_e32 v30, vcc_lo, s13, v80, vcc_lo
	global_load_b128 v[33:36], v[29:30], off
.LBB7_16:                               ;   in Loop: Header=BB7_4 Depth=1
	s_or_b32 exec_lo, exec_lo, s5
	v_add_co_u32 v29, vcc_lo, s33, v49
	v_add_co_ci_u32_e32 v30, vcc_lo, 0, v50, vcc_lo
	v_mov_b32_e32 v43, 0
	v_mov_b32_e32 v44, 0
	s_delay_alu instid0(VALU_DEP_2) | instskip(NEXT) | instid1(VALU_DEP_4)
	v_mov_b32_e32 v31, v43
	v_cmp_gt_u64_e64 s5, s[16:17], v[29:30]
	s_delay_alu instid0(VALU_DEP_3)
	v_dual_mov_b32 v29, v43 :: v_dual_mov_b32 v30, v44
	v_dual_mov_b32 v48, v44 :: v_dual_mov_b32 v47, v43
	;; [unrolled: 1-line block ×3, first 2 shown]
	v_mov_b32_e32 v32, v44
	s_and_saveexec_b32 s15, s5
	s_cbranch_execz .LBB7_18
; %bb.17:                               ;   in Loop: Header=BB7_4 Depth=1
	v_add_co_u32 v29, vcc_lo, v71, s12
	v_add_co_ci_u32_e32 v30, vcc_lo, s13, v72, vcc_lo
	v_add_co_u32 v41, vcc_lo, v67, s12
	v_add_co_ci_u32_e32 v42, vcc_lo, s13, v68, vcc_lo
	global_load_b128 v[29:32], v[29:30], off offset:-8
	global_load_b128 v[45:48], v[41:42], off offset:-8
.LBB7_18:                               ;   in Loop: Header=BB7_4 Depth=1
	s_or_b32 exec_lo, exec_lo, s15
	v_dual_mov_b32 v41, v43 :: v_dual_mov_b32 v42, v44
	s_and_saveexec_b32 s15, s5
	s_cbranch_execz .LBB7_20
; %bb.19:                               ;   in Loop: Header=BB7_4 Depth=1
	v_add_co_u32 v41, vcc_lo, v73, s12
	v_add_co_ci_u32_e32 v42, vcc_lo, s13, v74, vcc_lo
	global_load_b128 v[41:44], v[41:42], off offset:-8
.LBB7_20:                               ;   in Loop: Header=BB7_4 Depth=1
	s_or_b32 exec_lo, exec_lo, s15
	s_waitcnt vmcnt(0)
	v_mul_f64 v[51:52], v[15:16], v[11:12]
	v_mul_f64 v[15:16], v[15:16], v[9:10]
	s_and_b32 vcc_lo, exec_lo, s34
	s_delay_alu instid0(VALU_DEP_2) | instskip(NEXT) | instid1(VALU_DEP_2)
	v_fma_f64 v[9:10], v[13:14], v[9:10], -v[51:52]
	v_fma_f64 v[51:52], v[13:14], v[11:12], v[15:16]
	s_cbranch_vccz .LBB7_22
; %bb.21:                               ;   in Loop: Header=BB7_4 Depth=1
	s_delay_alu instid0(VALU_DEP_1) | instskip(NEXT) | instid1(VALU_DEP_3)
	v_mul_f64 v[11:12], s[10:11], v[51:52]
	v_mul_f64 v[13:14], s[10:11], v[9:10]
	s_delay_alu instid0(VALU_DEP_2) | instskip(NEXT) | instid1(VALU_DEP_2)
	v_fma_f64 v[9:10], s[8:9], v[9:10], -v[11:12]
	v_fma_f64 v[51:52], s[8:9], v[51:52], v[13:14]
.LBB7_22:                               ;   in Loop: Header=BB7_4 Depth=1
	v_mul_f64 v[11:12], v[27:28], v[23:24]
	v_mul_f64 v[13:14], v[27:28], v[21:22]
	s_and_not1_b32 vcc_lo, exec_lo, s34
	s_delay_alu instid0(VALU_DEP_2) | instskip(NEXT) | instid1(VALU_DEP_2)
	v_fma_f64 v[11:12], v[25:26], v[21:22], -v[11:12]
	v_fma_f64 v[21:22], v[25:26], v[23:24], v[13:14]
	s_cbranch_vccnz .LBB7_24
; %bb.23:                               ;   in Loop: Header=BB7_4 Depth=1
	s_delay_alu instid0(VALU_DEP_1) | instskip(NEXT) | instid1(VALU_DEP_3)
	v_mul_f64 v[13:14], s[10:11], v[21:22]
	v_mul_f64 v[15:16], s[10:11], v[11:12]
	s_delay_alu instid0(VALU_DEP_2) | instskip(NEXT) | instid1(VALU_DEP_2)
	v_fma_f64 v[11:12], s[8:9], v[11:12], -v[13:14]
	v_fma_f64 v[21:22], s[8:9], v[21:22], v[15:16]
.LBB7_24:                               ;   in Loop: Header=BB7_4 Depth=1
	v_mul_f64 v[13:14], v[39:40], v[35:36]
	v_mul_f64 v[15:16], v[39:40], v[33:34]
	s_and_not1_b32 vcc_lo, exec_lo, s34
	s_delay_alu instid0(VALU_DEP_2) | instskip(NEXT) | instid1(VALU_DEP_2)
	v_fma_f64 v[13:14], v[37:38], v[33:34], -v[13:14]
	v_fma_f64 v[23:24], v[37:38], v[35:36], v[15:16]
	s_cbranch_vccnz .LBB7_26
; %bb.25:                               ;   in Loop: Header=BB7_4 Depth=1
	s_delay_alu instid0(VALU_DEP_1) | instskip(NEXT) | instid1(VALU_DEP_3)
	v_mul_f64 v[15:16], s[10:11], v[23:24]
	v_mul_f64 v[25:26], s[10:11], v[13:14]
	s_delay_alu instid0(VALU_DEP_2) | instskip(NEXT) | instid1(VALU_DEP_2)
	v_fma_f64 v[13:14], s[8:9], v[13:14], -v[15:16]
	v_fma_f64 v[23:24], s[8:9], v[23:24], v[25:26]
.LBB7_26:                               ;   in Loop: Header=BB7_4 Depth=1
	v_mul_f64 v[15:16], v[47:48], v[43:44]
	v_mul_f64 v[25:26], v[47:48], v[41:42]
	s_and_not1_b32 vcc_lo, exec_lo, s34
	s_delay_alu instid0(VALU_DEP_2) | instskip(NEXT) | instid1(VALU_DEP_2)
	v_fma_f64 v[15:16], v[45:46], v[41:42], -v[15:16]
	v_fma_f64 v[25:26], v[45:46], v[43:44], v[25:26]
	s_cbranch_vccz .LBB7_31
; %bb.27:                               ;   in Loop: Header=BB7_4 Depth=1
	s_and_saveexec_b32 s15, s2
	s_delay_alu instid0(SALU_CYCLE_1)
	s_xor_b32 s2, exec_lo, s15
	s_cbranch_execnz .LBB7_32
.LBB7_28:                               ;   in Loop: Header=BB7_4 Depth=1
	s_or_b32 exec_lo, exec_lo, s2
	s_and_saveexec_b32 s2, s3
	s_cbranch_execnz .LBB7_33
.LBB7_29:                               ;   in Loop: Header=BB7_4 Depth=1
	s_or_b32 exec_lo, exec_lo, s2
	s_and_saveexec_b32 s2, s4
	s_cbranch_execnz .LBB7_34
.LBB7_30:                               ;   in Loop: Header=BB7_4 Depth=1
	s_or_b32 exec_lo, exec_lo, s2
	s_and_saveexec_b32 s2, s5
	s_cbranch_execz .LBB7_3
	s_branch .LBB7_35
.LBB7_31:                               ;   in Loop: Header=BB7_4 Depth=1
	s_delay_alu instid0(VALU_DEP_1) | instskip(NEXT) | instid1(VALU_DEP_3)
	v_mul_f64 v[27:28], s[10:11], v[25:26]
	v_mul_f64 v[33:34], s[10:11], v[15:16]
	s_delay_alu instid0(VALU_DEP_2) | instskip(NEXT) | instid1(VALU_DEP_2)
	v_fma_f64 v[15:16], s[8:9], v[15:16], -v[27:28]
	v_fma_f64 v[25:26], s[8:9], v[25:26], v[33:34]
	s_and_saveexec_b32 s15, s2
	s_delay_alu instid0(SALU_CYCLE_1)
	s_xor_b32 s2, exec_lo, s15
	s_cbranch_execz .LBB7_28
.LBB7_32:                               ;   in Loop: Header=BB7_4 Depth=1
	v_add_f64 v[3:4], v[3:4], v[51:52]
	v_add_f64 v[1:2], v[1:2], v[9:10]
	v_add_co_u32 v9, vcc_lo, v63, s12
	v_add_co_ci_u32_e32 v10, vcc_lo, s13, v64, vcc_lo
	global_store_b128 v[9:10], v[1:4], off offset:-8
	s_or_b32 exec_lo, exec_lo, s2
	s_and_saveexec_b32 s2, s3
	s_cbranch_execz .LBB7_29
.LBB7_33:                               ;   in Loop: Header=BB7_4 Depth=1
	v_add_f64 v[3:4], v[7:8], v[21:22]
	v_add_f64 v[1:2], v[5:6], v[11:12]
	v_add_co_u32 v5, vcc_lo, v59, s12
	v_add_co_ci_u32_e32 v6, vcc_lo, s13, v60, vcc_lo
	global_store_b128 v[5:6], v[1:4], off
	s_or_b32 exec_lo, exec_lo, s2
	s_and_saveexec_b32 s2, s4
	s_cbranch_execz .LBB7_30
.LBB7_34:                               ;   in Loop: Header=BB7_4 Depth=1
	v_add_f64 v[3:4], v[19:20], v[23:24]
	v_add_f64 v[1:2], v[17:18], v[13:14]
	v_add_co_u32 v5, vcc_lo, v75, s12
	v_add_co_ci_u32_e32 v6, vcc_lo, s13, v76, vcc_lo
	global_store_b128 v[5:6], v[1:4], off
	s_or_b32 exec_lo, exec_lo, s2
	s_and_saveexec_b32 s2, s5
	s_cbranch_execz .LBB7_3
.LBB7_35:                               ;   in Loop: Header=BB7_4 Depth=1
	s_delay_alu instid0(VALU_DEP_1) | instskip(NEXT) | instid1(VALU_DEP_3)
	v_add_f64 v[3:4], v[31:32], v[25:26]
	v_add_f64 v[1:2], v[29:30], v[15:16]
	v_add_co_u32 v5, vcc_lo, v77, s12
	v_add_co_ci_u32_e32 v6, vcc_lo, s13, v78, vcc_lo
	global_store_b128 v[5:6], v[1:4], off offset:-8
	s_branch .LBB7_3
.LBB7_36:
	s_mov_b32 s14, 0
.LBB7_37:
	s_delay_alu instid0(SALU_CYCLE_1)
	s_and_not1_b32 vcc_lo, exec_lo, s14
	s_cbranch_vccnz .LBB7_49
; %bb.38:
	v_dual_mov_b32 v41, 0 :: v_dual_lshlrev_b32 v40, 2, v0
	s_mov_b32 s2, 0
	s_mov_b32 s3, exec_lo
	s_delay_alu instid0(VALU_DEP_1)
	v_cmpx_gt_i64_e64 s[6:7], v[40:41]
	s_cbranch_execz .LBB7_49
; %bb.39:
	s_waitcnt lgkmcnt(0)
	v_cmp_neq_f64_e64 s3, s[8:9], 1.0
	v_cmp_neq_f64_e64 s4, s[10:11], 0
	s_load_b32 s0, s[0:1], 0xc0c
	v_lshlrev_b32_e32 v46, 6, v0
	s_waitcnt lgkmcnt(0)
	s_and_b32 s0, s0, 0xffff
	s_delay_alu instid0(SALU_CYCLE_1) | instskip(NEXT) | instid1(VALU_DEP_3)
	v_add_lshl_u32 v40, v0, s0, 2
	s_or_b32 s1, s3, s4
	s_lshl_b32 s3, s0, 2
	s_lshl_b32 s4, s0, 6
	s_branch .LBB7_41
.LBB7_40:                               ;   in Loop: Header=BB7_41 Depth=1
	v_add_f64 v[10:11], v[10:11], v[44:45]
	v_add_f64 v[8:9], v[8:9], v[42:43]
	;; [unrolled: 1-line block ×8, first 2 shown]
	v_cmp_le_i64_e32 vcc_lo, s[6:7], v[40:41]
	v_cmp_lt_u64_e64 s0, 0xffff, v[40:41]
	v_add_co_u32 v16, s5, s28, v46
	s_delay_alu instid0(VALU_DEP_1)
	v_add_co_ci_u32_e64 v17, null, s29, 0, s5
	s_clause 0x3
	global_store_b128 v[16:17], v[8:11], off
	global_store_b128 v[16:17], v[4:7], off offset:16
	global_store_b128 v[16:17], v[12:15], off offset:32
	;; [unrolled: 1-line block ×3, first 2 shown]
	s_or_b32 s0, vcc_lo, s0
	s_add_u32 s22, s22, s4
	s_addc_u32 s23, s23, 0
	s_add_u32 s28, s28, s4
	s_addc_u32 s29, s29, 0
	;; [unrolled: 2-line block ×3, first 2 shown]
	v_add_co_u32 v40, vcc_lo, v40, s3
	s_add_u32 s26, s26, s4
	s_addc_u32 s27, s27, 0
	v_add_co_ci_u32_e32 v41, vcc_lo, 0, v41, vcc_lo
	s_and_b32 s0, exec_lo, s0
	s_delay_alu instid0(SALU_CYCLE_1) | instskip(NEXT) | instid1(SALU_CYCLE_1)
	s_or_b32 s2, s0, s2
	s_and_not1_b32 exec_lo, exec_lo, s2
	s_cbranch_execz .LBB7_49
.LBB7_41:                               ; =>This Inner Loop Header: Depth=1
	v_add_co_u32 v20, s0, s24, v46
	s_delay_alu instid0(VALU_DEP_1) | instskip(SKIP_1) | instid1(VALU_DEP_1)
	v_add_co_ci_u32_e64 v21, null, s25, 0, s0
	v_add_co_u32 v28, s0, s26, v46
	v_add_co_ci_u32_e64 v29, null, s27, 0, s0
	global_load_b128 v[42:45], v[20:21], off
	global_load_b128 v[47:50], v[28:29], off
	v_add_co_u32 v8, s0, s22, v46
	s_delay_alu instid0(VALU_DEP_1)
	v_add_co_ci_u32_e64 v9, null, s23, 0, s0
	global_load_b128 v[32:35], v[20:21], off offset:16
	global_load_b128 v[36:39], v[28:29], off offset:16
	s_clause 0x3
	global_load_b128 v[0:3], v[8:9], off offset:48
	global_load_b128 v[12:15], v[8:9], off offset:32
	;; [unrolled: 1-line block ×3, first 2 shown]
	global_load_b128 v[8:11], v[8:9], off
	s_clause 0x1
	global_load_b128 v[16:19], v[20:21], off offset:48
	global_load_b128 v[24:27], v[20:21], off offset:32
	s_clause 0x1
	global_load_b128 v[20:23], v[28:29], off offset:48
	global_load_b128 v[28:31], v[28:29], off offset:32
	s_and_not1_b32 vcc_lo, exec_lo, s1
	s_waitcnt vmcnt(10)
	v_mul_f64 v[51:52], v[44:45], v[49:50]
	v_mul_f64 v[49:50], v[42:43], v[49:50]
	s_delay_alu instid0(VALU_DEP_2) | instskip(NEXT) | instid1(VALU_DEP_2)
	v_fma_f64 v[42:43], v[42:43], v[47:48], -v[51:52]
	v_fma_f64 v[44:45], v[44:45], v[47:48], v[49:50]
	s_cbranch_vccnz .LBB7_43
; %bb.42:                               ;   in Loop: Header=BB7_41 Depth=1
	s_delay_alu instid0(VALU_DEP_1) | instskip(NEXT) | instid1(VALU_DEP_3)
	v_mul_f64 v[47:48], s[10:11], v[44:45]
	v_mul_f64 v[49:50], s[10:11], v[42:43]
	s_delay_alu instid0(VALU_DEP_2) | instskip(NEXT) | instid1(VALU_DEP_2)
	v_fma_f64 v[42:43], s[8:9], v[42:43], -v[47:48]
	v_fma_f64 v[44:45], s[8:9], v[44:45], v[49:50]
.LBB7_43:                               ;   in Loop: Header=BB7_41 Depth=1
	s_waitcnt vmcnt(8)
	v_mul_f64 v[47:48], v[34:35], v[38:39]
	v_mul_f64 v[38:39], v[32:33], v[38:39]
	s_and_not1_b32 vcc_lo, exec_lo, s1
	s_delay_alu instid0(VALU_DEP_2) | instskip(NEXT) | instid1(VALU_DEP_2)
	v_fma_f64 v[32:33], v[32:33], v[36:37], -v[47:48]
	v_fma_f64 v[34:35], v[34:35], v[36:37], v[38:39]
	s_cbranch_vccnz .LBB7_45
; %bb.44:                               ;   in Loop: Header=BB7_41 Depth=1
	s_delay_alu instid0(VALU_DEP_1) | instskip(NEXT) | instid1(VALU_DEP_3)
	v_mul_f64 v[36:37], s[10:11], v[34:35]
	v_mul_f64 v[38:39], s[10:11], v[32:33]
	s_delay_alu instid0(VALU_DEP_2) | instskip(NEXT) | instid1(VALU_DEP_2)
	v_fma_f64 v[32:33], s[8:9], v[32:33], -v[36:37]
	v_fma_f64 v[34:35], s[8:9], v[34:35], v[38:39]
.LBB7_45:                               ;   in Loop: Header=BB7_41 Depth=1
	s_waitcnt vmcnt(0)
	v_mul_f64 v[36:37], v[26:27], v[30:31]
	v_mul_f64 v[30:31], v[24:25], v[30:31]
	s_and_not1_b32 vcc_lo, exec_lo, s1
	s_delay_alu instid0(VALU_DEP_2) | instskip(NEXT) | instid1(VALU_DEP_2)
	v_fma_f64 v[24:25], v[24:25], v[28:29], -v[36:37]
	v_fma_f64 v[26:27], v[26:27], v[28:29], v[30:31]
	s_cbranch_vccnz .LBB7_47
; %bb.46:                               ;   in Loop: Header=BB7_41 Depth=1
	s_delay_alu instid0(VALU_DEP_1) | instskip(NEXT) | instid1(VALU_DEP_3)
	v_mul_f64 v[28:29], s[10:11], v[26:27]
	v_mul_f64 v[30:31], s[10:11], v[24:25]
	s_delay_alu instid0(VALU_DEP_2) | instskip(NEXT) | instid1(VALU_DEP_2)
	v_fma_f64 v[24:25], s[8:9], v[24:25], -v[28:29]
	v_fma_f64 v[26:27], s[8:9], v[26:27], v[30:31]
.LBB7_47:                               ;   in Loop: Header=BB7_41 Depth=1
	v_mul_f64 v[28:29], v[18:19], v[22:23]
	v_mul_f64 v[22:23], v[16:17], v[22:23]
	s_and_not1_b32 vcc_lo, exec_lo, s1
	s_delay_alu instid0(VALU_DEP_2) | instskip(NEXT) | instid1(VALU_DEP_2)
	v_fma_f64 v[16:17], v[16:17], v[20:21], -v[28:29]
	v_fma_f64 v[18:19], v[18:19], v[20:21], v[22:23]
	s_cbranch_vccnz .LBB7_40
; %bb.48:                               ;   in Loop: Header=BB7_41 Depth=1
	s_delay_alu instid0(VALU_DEP_1) | instskip(NEXT) | instid1(VALU_DEP_3)
	v_mul_f64 v[20:21], s[10:11], v[18:19]
	v_mul_f64 v[22:23], s[10:11], v[16:17]
	s_delay_alu instid0(VALU_DEP_2) | instskip(NEXT) | instid1(VALU_DEP_2)
	v_fma_f64 v[16:17], s[8:9], v[16:17], -v[20:21]
	v_fma_f64 v[18:19], s[8:9], v[18:19], v[22:23]
	s_branch .LBB7_40
.LBB7_49:
	s_nop 0
	s_sendmsg sendmsg(MSG_DEALLOC_VGPRS)
	s_endpgm
	.section	.rodata,"a",@progbits
	.p2align	6, 0x0
	.amdhsa_kernel _ZN2at6native12_GLOBAL__N_125multi_tensor_apply_kernelINS1_18TensorListMetadataILi4EEENS1_24PointwiseOpScalarFunctorIN3c107complexIdEELi4ELi3ELi3EEEJSt10multipliesIS8_ES8_EEEvT_T0_DpT1_
		.amdhsa_group_segment_fixed_size 0
		.amdhsa_private_segment_fixed_size 0
		.amdhsa_kernarg_size 3328
		.amdhsa_user_sgpr_count 15
		.amdhsa_user_sgpr_dispatch_ptr 0
		.amdhsa_user_sgpr_queue_ptr 0
		.amdhsa_user_sgpr_kernarg_segment_ptr 1
		.amdhsa_user_sgpr_dispatch_id 0
		.amdhsa_user_sgpr_private_segment_size 0
		.amdhsa_wavefront_size32 1
		.amdhsa_uses_dynamic_stack 0
		.amdhsa_enable_private_segment 0
		.amdhsa_system_sgpr_workgroup_id_x 1
		.amdhsa_system_sgpr_workgroup_id_y 0
		.amdhsa_system_sgpr_workgroup_id_z 0
		.amdhsa_system_sgpr_workgroup_info 0
		.amdhsa_system_vgpr_workitem_id 0
		.amdhsa_next_free_vgpr 85
		.amdhsa_next_free_sgpr 36
		.amdhsa_reserve_vcc 1
		.amdhsa_float_round_mode_32 0
		.amdhsa_float_round_mode_16_64 0
		.amdhsa_float_denorm_mode_32 3
		.amdhsa_float_denorm_mode_16_64 3
		.amdhsa_dx10_clamp 1
		.amdhsa_ieee_mode 1
		.amdhsa_fp16_overflow 0
		.amdhsa_workgroup_processor_mode 1
		.amdhsa_memory_ordered 1
		.amdhsa_forward_progress 0
		.amdhsa_shared_vgpr_count 0
		.amdhsa_exception_fp_ieee_invalid_op 0
		.amdhsa_exception_fp_denorm_src 0
		.amdhsa_exception_fp_ieee_div_zero 0
		.amdhsa_exception_fp_ieee_overflow 0
		.amdhsa_exception_fp_ieee_underflow 0
		.amdhsa_exception_fp_ieee_inexact 0
		.amdhsa_exception_int_div_zero 0
	.end_amdhsa_kernel
	.section	.text._ZN2at6native12_GLOBAL__N_125multi_tensor_apply_kernelINS1_18TensorListMetadataILi4EEENS1_24PointwiseOpScalarFunctorIN3c107complexIdEELi4ELi3ELi3EEEJSt10multipliesIS8_ES8_EEEvT_T0_DpT1_,"axG",@progbits,_ZN2at6native12_GLOBAL__N_125multi_tensor_apply_kernelINS1_18TensorListMetadataILi4EEENS1_24PointwiseOpScalarFunctorIN3c107complexIdEELi4ELi3ELi3EEEJSt10multipliesIS8_ES8_EEEvT_T0_DpT1_,comdat
.Lfunc_end7:
	.size	_ZN2at6native12_GLOBAL__N_125multi_tensor_apply_kernelINS1_18TensorListMetadataILi4EEENS1_24PointwiseOpScalarFunctorIN3c107complexIdEELi4ELi3ELi3EEEJSt10multipliesIS8_ES8_EEEvT_T0_DpT1_, .Lfunc_end7-_ZN2at6native12_GLOBAL__N_125multi_tensor_apply_kernelINS1_18TensorListMetadataILi4EEENS1_24PointwiseOpScalarFunctorIN3c107complexIdEELi4ELi3ELi3EEEJSt10multipliesIS8_ES8_EEEvT_T0_DpT1_
                                        ; -- End function
	.section	.AMDGPU.csdata,"",@progbits
; Kernel info:
; codeLenInByte = 3020
; NumSgprs: 38
; NumVgprs: 85
; ScratchSize: 0
; MemoryBound: 1
; FloatMode: 240
; IeeeMode: 1
; LDSByteSize: 0 bytes/workgroup (compile time only)
; SGPRBlocks: 4
; VGPRBlocks: 10
; NumSGPRsForWavesPerEU: 38
; NumVGPRsForWavesPerEU: 85
; Occupancy: 16
; WaveLimiterHint : 0
; COMPUTE_PGM_RSRC2:SCRATCH_EN: 0
; COMPUTE_PGM_RSRC2:USER_SGPR: 15
; COMPUTE_PGM_RSRC2:TRAP_HANDLER: 0
; COMPUTE_PGM_RSRC2:TGID_X_EN: 1
; COMPUTE_PGM_RSRC2:TGID_Y_EN: 0
; COMPUTE_PGM_RSRC2:TGID_Z_EN: 0
; COMPUTE_PGM_RSRC2:TIDIG_COMP_CNT: 0
	.section	.text._ZN2at6native12_GLOBAL__N_125multi_tensor_apply_kernelINS1_18TensorListMetadataILi4EEENS1_24PointwiseOpScalarFunctorIN3c107complexIfEELi4ELi3ELi3EEEJSt10multipliesIS8_ES8_EEEvT_T0_DpT1_,"axG",@progbits,_ZN2at6native12_GLOBAL__N_125multi_tensor_apply_kernelINS1_18TensorListMetadataILi4EEENS1_24PointwiseOpScalarFunctorIN3c107complexIfEELi4ELi3ELi3EEEJSt10multipliesIS8_ES8_EEEvT_T0_DpT1_,comdat
	.globl	_ZN2at6native12_GLOBAL__N_125multi_tensor_apply_kernelINS1_18TensorListMetadataILi4EEENS1_24PointwiseOpScalarFunctorIN3c107complexIfEELi4ELi3ELi3EEEJSt10multipliesIS8_ES8_EEEvT_T0_DpT1_ ; -- Begin function _ZN2at6native12_GLOBAL__N_125multi_tensor_apply_kernelINS1_18TensorListMetadataILi4EEENS1_24PointwiseOpScalarFunctorIN3c107complexIfEELi4ELi3ELi3EEEJSt10multipliesIS8_ES8_EEEvT_T0_DpT1_
	.p2align	8
	.type	_ZN2at6native12_GLOBAL__N_125multi_tensor_apply_kernelINS1_18TensorListMetadataILi4EEENS1_24PointwiseOpScalarFunctorIN3c107complexIfEELi4ELi3ELi3EEEJSt10multipliesIS8_ES8_EEEvT_T0_DpT1_,@function
_ZN2at6native12_GLOBAL__N_125multi_tensor_apply_kernelINS1_18TensorListMetadataILi4EEENS1_24PointwiseOpScalarFunctorIN3c107complexIfEELi4ELi3ELi3EEEJSt10multipliesIS8_ES8_EEEvT_T0_DpT1_: ; @_ZN2at6native12_GLOBAL__N_125multi_tensor_apply_kernelINS1_18TensorListMetadataILi4EEENS1_24PointwiseOpScalarFunctorIN3c107complexIfEELi4ELi3ELi3EEEJSt10multipliesIS8_ES8_EEEvT_T0_DpT1_
; %bb.0:
	v_mov_b32_e32 v1, s15
	s_add_u32 s2, s0, s15
	s_mul_hi_u32 s3, s15, 3
	s_mul_i32 s15, s15, 3
	s_addc_u32 s4, s1, 0
	global_load_u8 v1, v1, s[0:1] offset:1440
	s_add_u32 s2, s2, s15
	s_addc_u32 s3, s4, s3
	s_mov_b32 s17, 0
	s_load_b32 s2, s[2:3], 0x6e0
	s_mov_b32 s31, s17
	s_waitcnt vmcnt(0)
	v_readfirstlane_b32 s3, v1
	s_delay_alu instid0(VALU_DEP_1)
	s_lshl_b32 s8, s3, 3
	s_waitcnt lgkmcnt(0)
	s_ashr_i32 s3, s2, 31
	s_clause 0x3
	s_load_b64 s[4:5], s[0:1], s8 offset:0x0
	s_load_b64 s[6:7], s[0:1], s8 offset:0x120
	;; [unrolled: 1-line block ×4, first 2 shown]
	s_lshl_b64 s[12:13], s[2:3], 19
	s_load_b64 s[14:15], s[0:1], s8 offset:0x480
	s_waitcnt lgkmcnt(0)
	s_add_u32 s22, s4, s12
	s_addc_u32 s23, s5, s13
	s_add_u32 s24, s6, s12
	s_addc_u32 s25, s7, s13
	s_and_b32 s16, s24, 31
	s_add_u32 s26, s18, s12
	s_addc_u32 s27, s19, s13
	s_add_u32 s28, s20, s12
	s_addc_u32 s29, s21, s13
	s_or_b32 s8, s28, s26
	s_delay_alu instid0(SALU_CYCLE_1)
	s_and_b32 s10, s8, 31
	s_load_b64 s[8:9], s[0:1], 0xbf0
	s_cmp_eq_u32 s10, 0
	s_cselect_b32 s10, -1, 0
	s_and_b32 s30, s22, 31
	s_cmp_eq_u64 s[16:17], 0
	s_cselect_b32 s11, -1, 0
	s_lshl_b64 s[2:3], s[2:3], 16
	s_and_b32 s33, s10, s11
	s_sub_u32 s10, s14, s2
	s_subb_u32 s11, s15, s3
	s_and_b32 s16, s14, 3
	s_delay_alu instid0(SALU_CYCLE_1) | instskip(NEXT) | instid1(SALU_CYCLE_1)
	s_or_b64 s[2:3], s[30:31], s[16:17]
	s_cmp_eq_u64 s[2:3], 0
	s_cselect_b32 s2, -1, 0
	s_delay_alu instid0(SALU_CYCLE_1) | instskip(NEXT) | instid1(SALU_CYCLE_1)
	s_and_b32 s2, s33, s2
	s_and_b32 vcc_lo, exec_lo, s2
	s_mov_b32 s2, -1
	s_cbranch_vccnz .LBB8_29
; %bb.1:
	v_cmp_lt_i64_e64 s2, s[10:11], 1
	s_delay_alu instid0(VALU_DEP_1)
	s_and_b32 vcc_lo, exec_lo, s2
	s_cbranch_vccnz .LBB8_28
; %bb.2:
	s_load_b32 s2, s[0:1], 0xc04
	v_dual_mov_b32 v1, 0 :: v_dual_lshlrev_b32 v2, 3, v0
	v_cmp_gt_u64_e64 s3, 0x10000, s[10:11]
	s_waitcnt lgkmcnt(0)
	v_cmp_eq_f32_e64 s14, s8, 1.0
	s_mov_b32 s15, 0
	v_mov_b32_e32 v3, v1
	v_add_co_u32 v27, s16, s4, v2
	s_delay_alu instid0(VALU_DEP_1) | instskip(SKIP_1) | instid1(VALU_DEP_1)
	v_add_co_ci_u32_e64 v28, null, s5, 0, s16
	v_add_co_u32 v29, s16, s6, v2
	v_add_co_ci_u32_e64 v30, null, s7, 0, s16
	s_and_b32 s30, s2, 0xffff
	s_and_b32 s2, s3, exec_lo
	s_cselect_b32 s17, s11, 0
	s_cselect_b32 s16, s10, 0x10000
	s_and_b32 s2, s9, 0x7fffffff
	s_lshl_b32 s31, s30, 1
	s_cmp_eq_u32 s2, 0
	v_add_co_u32 v6, s2, v2, s20
	v_mad_u64_u32 v[4:5], null, s30, 24, v[2:3]
	v_add_co_ci_u32_e64 v7, null, 0, s21, s2
	s_delay_alu instid0(VALU_DEP_3) | instskip(SKIP_1) | instid1(VALU_DEP_3)
	v_add_co_u32 v33, vcc_lo, v6, 4
	v_add_co_u32 v31, s3, s18, v2
	v_add_co_ci_u32_e32 v34, vcc_lo, 0, v7, vcc_lo
	v_add_co_u32 v35, vcc_lo, s4, v4
	v_add_co_ci_u32_e32 v36, vcc_lo, s5, v5, vcc_lo
	v_add_co_u32 v37, vcc_lo, s6, v4
	;; [unrolled: 2-line block ×4, first 2 shown]
	s_cselect_b32 s2, -1, 0
	v_add_co_ci_u32_e64 v32, null, s19, 0, s3
	s_lshl_b32 s3, s30, 4
	v_add_co_ci_u32_e32 v4, vcc_lo, s21, v5, vcc_lo
	v_add_co_u32 v2, s3, s3, v2
	s_delay_alu instid0(VALU_DEP_1) | instskip(SKIP_1) | instid1(VALU_DEP_4)
	v_add_co_ci_u32_e64 v5, null, 0, 0, s3
	v_add_co_u32 v41, vcc_lo, v3, 4
	v_add_co_ci_u32_e32 v42, vcc_lo, 0, v4, vcc_lo
	s_delay_alu instid0(VALU_DEP_4) | instskip(NEXT) | instid1(VALU_DEP_4)
	v_add_co_u32 v43, vcc_lo, s4, v2
	v_add_co_ci_u32_e32 v44, vcc_lo, s5, v5, vcc_lo
	v_add_co_u32 v45, vcc_lo, s6, v2
	v_add_lshl_u32 v3, v0, s30, 3
	v_add_co_ci_u32_e32 v46, vcc_lo, s7, v5, vcc_lo
	v_add_co_u32 v47, vcc_lo, s18, v2
	v_add_co_ci_u32_e32 v48, vcc_lo, s19, v5, vcc_lo
	s_delay_alu instid0(VALU_DEP_4)
	v_add_co_u32 v49, s3, s20, v3
	v_add_co_u32 v2, vcc_lo, v2, s20
	v_add_co_ci_u32_e64 v50, null, s21, 0, s3
	v_add_co_u32 v53, s3, s4, v3
	v_add_co_ci_u32_e32 v4, vcc_lo, s21, v5, vcc_lo
	v_add_co_ci_u32_e64 v54, null, s5, 0, s3
	v_add_co_u32 v55, s3, s6, v3
	v_add_co_u32 v51, vcc_lo, v2, 4
	v_add_co_ci_u32_e64 v56, null, s7, 0, s3
	v_add_co_u32 v57, s3, s18, v3
	v_mov_b32_e32 v2, v1
	v_add_co_ci_u32_e32 v52, vcc_lo, 0, v4, vcc_lo
	v_add_co_ci_u32_e64 v58, null, s19, 0, s3
	v_mov_b32_e32 v1, v0
	s_and_b32 s2, s14, s2
	s_lshl_b32 s14, s30, 2
	s_mul_i32 s33, s30, 3
	s_lshl_b32 s7, s30, 5
	s_mov_b64 s[18:19], s[14:15]
	s_branch .LBB8_4
.LBB8_3:                                ;   in Loop: Header=BB8_4 Depth=1
	s_or_b32 exec_lo, exec_lo, s3
	v_add_co_u32 v27, vcc_lo, v27, s7
	v_add_co_ci_u32_e32 v28, vcc_lo, 0, v28, vcc_lo
	v_add_co_u32 v29, vcc_lo, v29, s7
	v_add_co_ci_u32_e32 v30, vcc_lo, 0, v30, vcc_lo
	;; [unrolled: 2-line block ×15, first 2 shown]
	v_cmp_lt_i64_e64 s3, s[18:19], s[10:11]
	v_cmp_gt_u64_e64 s4, 0x10000, s[18:19]
	v_add_co_u32 v55, vcc_lo, v55, s7
	v_add_co_ci_u32_e32 v56, vcc_lo, 0, v56, vcc_lo
	v_add_co_u32 v57, vcc_lo, v57, s7
	v_add_co_ci_u32_e32 v58, vcc_lo, 0, v58, vcc_lo
	s_and_b32 s3, s3, s4
	s_add_u32 s18, s18, s14
	s_addc_u32 s19, s19, 0
	s_and_b32 vcc_lo, exec_lo, s3
	s_cbranch_vccz .LBB8_28
.LBB8_4:                                ; =>This Inner Loop Header: Depth=1
	v_cmp_gt_u64_e32 vcc_lo, s[16:17], v[1:2]
	s_waitcnt vmcnt(0)
	v_dual_mov_b32 v6, 0 :: v_dual_mov_b32 v5, 0
	v_dual_mov_b32 v4, 0 :: v_dual_mov_b32 v3, 0
	s_and_saveexec_b32 s4, vcc_lo
	s_cbranch_execz .LBB8_6
; %bb.5:                                ;   in Loop: Header=BB8_4 Depth=1
	v_add_co_u32 v3, s3, v27, s12
	s_delay_alu instid0(VALU_DEP_1) | instskip(SKIP_1) | instid1(VALU_DEP_1)
	v_add_co_ci_u32_e64 v4, s3, s13, v28, s3
	v_add_co_u32 v5, s3, v29, s12
	v_add_co_ci_u32_e64 v6, s3, s13, v30, s3
	global_load_b64 v[3:4], v[3:4], off
	global_load_b64 v[5:6], v[5:6], off
.LBB8_6:                                ;   in Loop: Header=BB8_4 Depth=1
	s_or_b32 exec_lo, exec_lo, s4
	v_dual_mov_b32 v8, 0 :: v_dual_mov_b32 v11, 0
	v_mov_b32_e32 v12, 0
	s_and_saveexec_b32 s4, vcc_lo
	s_cbranch_execz .LBB8_8
; %bb.7:                                ;   in Loop: Header=BB8_4 Depth=1
	v_add_co_u32 v9, s3, v31, s12
	s_delay_alu instid0(VALU_DEP_1)
	v_add_co_ci_u32_e64 v10, s3, s13, v32, s3
	global_load_b64 v[11:12], v[9:10], off
.LBB8_8:                                ;   in Loop: Header=BB8_4 Depth=1
	s_or_b32 exec_lo, exec_lo, s4
	v_add_co_u32 v9, s3, s30, v1
	s_delay_alu instid0(VALU_DEP_1) | instskip(SKIP_1) | instid1(VALU_DEP_2)
	v_add_co_ci_u32_e64 v10, s3, 0, v2, s3
	v_mov_b32_e32 v7, 0
	v_cmp_gt_u64_e64 s3, s[16:17], v[9:10]
	v_dual_mov_b32 v10, 0 :: v_dual_mov_b32 v9, 0
	s_delay_alu instid0(VALU_DEP_2)
	s_and_saveexec_b32 s5, s3
	s_cbranch_execz .LBB8_10
; %bb.9:                                ;   in Loop: Header=BB8_4 Depth=1
	v_add_co_u32 v7, s4, v53, s12
	s_delay_alu instid0(VALU_DEP_1) | instskip(SKIP_1) | instid1(VALU_DEP_1)
	v_add_co_ci_u32_e64 v8, s4, s13, v54, s4
	v_add_co_u32 v13, s4, v55, s12
	v_add_co_ci_u32_e64 v14, s4, s13, v56, s4
	global_load_b64 v[9:10], v[7:8], off
	global_load_b64 v[7:8], v[13:14], off
.LBB8_10:                               ;   in Loop: Header=BB8_4 Depth=1
	s_or_b32 exec_lo, exec_lo, s5
	v_dual_mov_b32 v14, 0 :: v_dual_mov_b32 v17, 0
	v_mov_b32_e32 v18, 0
	s_and_saveexec_b32 s5, s3
	s_cbranch_execz .LBB8_12
; %bb.11:                               ;   in Loop: Header=BB8_4 Depth=1
	v_add_co_u32 v15, s4, v57, s12
	s_delay_alu instid0(VALU_DEP_1)
	v_add_co_ci_u32_e64 v16, s4, s13, v58, s4
	global_load_b64 v[17:18], v[15:16], off
.LBB8_12:                               ;   in Loop: Header=BB8_4 Depth=1
	s_or_b32 exec_lo, exec_lo, s5
	v_add_co_u32 v15, s4, s31, v1
	s_delay_alu instid0(VALU_DEP_1) | instskip(SKIP_1) | instid1(VALU_DEP_2)
	v_add_co_ci_u32_e64 v16, s4, 0, v2, s4
	v_mov_b32_e32 v13, 0
	v_cmp_gt_u64_e64 s4, s[16:17], v[15:16]
	v_dual_mov_b32 v16, 0 :: v_dual_mov_b32 v15, 0
	s_delay_alu instid0(VALU_DEP_2)
	s_and_saveexec_b32 s6, s4
	s_cbranch_execz .LBB8_14
; %bb.13:                               ;   in Loop: Header=BB8_4 Depth=1
	v_add_co_u32 v13, s5, v43, s12
	s_delay_alu instid0(VALU_DEP_1) | instskip(SKIP_1) | instid1(VALU_DEP_1)
	v_add_co_ci_u32_e64 v14, s5, s13, v44, s5
	v_add_co_u32 v19, s5, v45, s12
	v_add_co_ci_u32_e64 v20, s5, s13, v46, s5
	global_load_b64 v[15:16], v[13:14], off
	global_load_b64 v[13:14], v[19:20], off
.LBB8_14:                               ;   in Loop: Header=BB8_4 Depth=1
	s_or_b32 exec_lo, exec_lo, s6
	v_dual_mov_b32 v20, 0 :: v_dual_mov_b32 v23, 0
	v_mov_b32_e32 v24, 0
	s_and_saveexec_b32 s6, s4
	s_cbranch_execz .LBB8_16
; %bb.15:                               ;   in Loop: Header=BB8_4 Depth=1
	v_add_co_u32 v21, s5, v47, s12
	s_delay_alu instid0(VALU_DEP_1)
	v_add_co_ci_u32_e64 v22, s5, s13, v48, s5
	global_load_b64 v[23:24], v[21:22], off
.LBB8_16:                               ;   in Loop: Header=BB8_4 Depth=1
	s_or_b32 exec_lo, exec_lo, s6
	v_add_co_u32 v21, s5, s33, v1
	s_delay_alu instid0(VALU_DEP_1) | instskip(SKIP_1) | instid1(VALU_DEP_2)
	v_add_co_ci_u32_e64 v22, s5, 0, v2, s5
	v_mov_b32_e32 v19, 0
	v_cmp_gt_u64_e64 s5, s[16:17], v[21:22]
	v_dual_mov_b32 v22, 0 :: v_dual_mov_b32 v21, 0
	s_delay_alu instid0(VALU_DEP_2)
	s_and_saveexec_b32 s15, s5
	s_cbranch_execz .LBB8_18
; %bb.17:                               ;   in Loop: Header=BB8_4 Depth=1
	v_add_co_u32 v19, s6, v35, s12
	s_delay_alu instid0(VALU_DEP_1) | instskip(SKIP_1) | instid1(VALU_DEP_1)
	v_add_co_ci_u32_e64 v20, s6, s13, v36, s6
	v_add_co_u32 v25, s6, v37, s12
	v_add_co_ci_u32_e64 v26, s6, s13, v38, s6
	global_load_b64 v[21:22], v[19:20], off
	global_load_b64 v[19:20], v[25:26], off
.LBB8_18:                               ;   in Loop: Header=BB8_4 Depth=1
	s_or_b32 exec_lo, exec_lo, s15
	v_dual_mov_b32 v26, 0 :: v_dual_mov_b32 v25, 0
	s_and_saveexec_b32 s15, s5
	s_cbranch_execnz .LBB8_23
; %bb.19:                               ;   in Loop: Header=BB8_4 Depth=1
	s_or_b32 exec_lo, exec_lo, s15
	s_and_saveexec_b32 s6, vcc_lo
	s_cbranch_execnz .LBB8_24
.LBB8_20:                               ;   in Loop: Header=BB8_4 Depth=1
	s_or_b32 exec_lo, exec_lo, s6
	s_and_saveexec_b32 s6, s3
	s_cbranch_execnz .LBB8_25
.LBB8_21:                               ;   in Loop: Header=BB8_4 Depth=1
	s_or_b32 exec_lo, exec_lo, s6
	s_and_saveexec_b32 s3, s4
	s_cbranch_execnz .LBB8_26
.LBB8_22:                               ;   in Loop: Header=BB8_4 Depth=1
	s_or_b32 exec_lo, exec_lo, s3
	s_and_saveexec_b32 s3, s5
	s_cbranch_execz .LBB8_3
	s_branch .LBB8_27
.LBB8_23:                               ;   in Loop: Header=BB8_4 Depth=1
	v_add_co_u32 v25, s6, v39, s12
	s_delay_alu instid0(VALU_DEP_1)
	v_add_co_ci_u32_e64 v26, s6, s13, v40, s6
	global_load_b64 v[25:26], v[25:26], off
	s_or_b32 exec_lo, exec_lo, s15
	s_and_saveexec_b32 s6, vcc_lo
	s_cbranch_execz .LBB8_20
.LBB8_24:                               ;   in Loop: Header=BB8_4 Depth=1
	s_waitcnt vmcnt(0)
	v_mul_f32_e32 v59, v6, v12
	v_mul_f32_e32 v6, v6, v11
	s_delay_alu instid0(VALU_DEP_1) | instskip(NEXT) | instid1(VALU_DEP_1)
	v_fmac_f32_e32 v6, v5, v12
	v_mul_f32_e32 v12, s9, v6
	s_delay_alu instid0(VALU_DEP_4) | instskip(NEXT) | instid1(VALU_DEP_1)
	v_fma_f32 v11, v5, v11, -v59
	v_mul_f32_e32 v5, s9, v11
	s_delay_alu instid0(VALU_DEP_3) | instskip(NEXT) | instid1(VALU_DEP_2)
	v_fma_f32 v12, v11, s8, -v12
	v_fmac_f32_e32 v5, s8, v6
	s_delay_alu instid0(VALU_DEP_1) | instskip(NEXT) | instid1(VALU_DEP_3)
	v_cndmask_b32_e64 v5, v5, v6, s2
	v_cndmask_b32_e64 v6, v12, v11, s2
	s_delay_alu instid0(VALU_DEP_1)
	v_dual_add_f32 v4, v4, v5 :: v_dual_add_f32 v3, v3, v6
	v_add_co_u32 v5, vcc_lo, v33, s12
	v_add_co_ci_u32_e32 v6, vcc_lo, s13, v34, vcc_lo
	global_store_b64 v[5:6], v[3:4], off offset:-4
	s_or_b32 exec_lo, exec_lo, s6
	s_and_saveexec_b32 s6, s3
	s_cbranch_execz .LBB8_21
.LBB8_25:                               ;   in Loop: Header=BB8_4 Depth=1
	s_waitcnt vmcnt(0)
	v_mul_f32_e32 v4, v8, v18
	s_delay_alu instid0(VALU_DEP_1) | instskip(NEXT) | instid1(VALU_DEP_1)
	v_fma_f32 v4, v7, v17, -v4
	v_dual_mul_f32 v3, v8, v17 :: v_dual_mul_f32 v6, s9, v4
	s_delay_alu instid0(VALU_DEP_1) | instskip(NEXT) | instid1(VALU_DEP_1)
	v_fmac_f32_e32 v3, v7, v18
	v_mul_f32_e32 v5, s9, v3
	s_delay_alu instid0(VALU_DEP_1) | instskip(NEXT) | instid1(VALU_DEP_1)
	v_fma_f32 v5, v4, s8, -v5
	v_cndmask_b32_e64 v4, v5, v4, s2
	v_fmac_f32_e32 v6, s8, v3
	s_delay_alu instid0(VALU_DEP_1) | instskip(NEXT) | instid1(VALU_DEP_1)
	v_cndmask_b32_e64 v5, v6, v3, s2
	v_dual_add_f32 v3, v9, v4 :: v_dual_add_f32 v4, v10, v5
	v_add_co_u32 v5, vcc_lo, v49, s12
	v_add_co_ci_u32_e32 v6, vcc_lo, s13, v50, vcc_lo
	global_store_b64 v[5:6], v[3:4], off
	s_or_b32 exec_lo, exec_lo, s6
	s_and_saveexec_b32 s3, s4
	s_cbranch_execz .LBB8_22
.LBB8_26:                               ;   in Loop: Header=BB8_4 Depth=1
	s_waitcnt vmcnt(0)
	v_mul_f32_e32 v4, v14, v24
	s_delay_alu instid0(VALU_DEP_1) | instskip(NEXT) | instid1(VALU_DEP_1)
	v_fma_f32 v4, v13, v23, -v4
	v_dual_mul_f32 v3, v14, v23 :: v_dual_mul_f32 v6, s9, v4
	s_delay_alu instid0(VALU_DEP_1) | instskip(NEXT) | instid1(VALU_DEP_1)
	v_fmac_f32_e32 v3, v13, v24
	v_mul_f32_e32 v5, s9, v3
	s_delay_alu instid0(VALU_DEP_1) | instskip(NEXT) | instid1(VALU_DEP_1)
	v_fma_f32 v5, v4, s8, -v5
	v_cndmask_b32_e64 v4, v5, v4, s2
	v_fmac_f32_e32 v6, s8, v3
	s_delay_alu instid0(VALU_DEP_1) | instskip(NEXT) | instid1(VALU_DEP_1)
	v_cndmask_b32_e64 v5, v6, v3, s2
	v_dual_add_f32 v3, v15, v4 :: v_dual_add_f32 v4, v16, v5
	v_add_co_u32 v5, vcc_lo, v51, s12
	v_add_co_ci_u32_e32 v6, vcc_lo, s13, v52, vcc_lo
	global_store_b64 v[5:6], v[3:4], off offset:-4
	s_or_b32 exec_lo, exec_lo, s3
	s_and_saveexec_b32 s3, s5
	s_cbranch_execz .LBB8_3
.LBB8_27:                               ;   in Loop: Header=BB8_4 Depth=1
	s_waitcnt vmcnt(0)
	v_mul_f32_e32 v4, v20, v26
	s_delay_alu instid0(VALU_DEP_1) | instskip(NEXT) | instid1(VALU_DEP_1)
	v_fma_f32 v4, v19, v25, -v4
	v_dual_mul_f32 v3, v20, v25 :: v_dual_mul_f32 v6, s9, v4
	s_delay_alu instid0(VALU_DEP_1) | instskip(NEXT) | instid1(VALU_DEP_1)
	v_fmac_f32_e32 v3, v19, v26
	v_mul_f32_e32 v5, s9, v3
	s_delay_alu instid0(VALU_DEP_1) | instskip(NEXT) | instid1(VALU_DEP_1)
	v_fma_f32 v5, v4, s8, -v5
	v_cndmask_b32_e64 v4, v5, v4, s2
	v_fmac_f32_e32 v6, s8, v3
	s_delay_alu instid0(VALU_DEP_1) | instskip(NEXT) | instid1(VALU_DEP_1)
	v_cndmask_b32_e64 v5, v6, v3, s2
	v_dual_add_f32 v3, v21, v4 :: v_dual_add_f32 v4, v22, v5
	v_add_co_u32 v5, vcc_lo, v41, s12
	v_add_co_ci_u32_e32 v6, vcc_lo, s13, v42, vcc_lo
	global_store_b64 v[5:6], v[3:4], off offset:-4
	s_branch .LBB8_3
.LBB8_28:
	s_mov_b32 s2, 0
.LBB8_29:
	s_delay_alu instid0(SALU_CYCLE_1)
	s_and_not1_b32 vcc_lo, exec_lo, s2
	s_cbranch_vccnz .LBB8_33
; %bb.30:
	v_dual_mov_b32 v2, 0 :: v_dual_lshlrev_b32 v1, 2, v0
	s_mov_b32 s3, 0
	s_mov_b32 s2, exec_lo
	s_delay_alu instid0(VALU_DEP_1)
	v_cmpx_gt_i64_e64 s[10:11], v[1:2]
	s_cbranch_execz .LBB8_33
; %bb.31:
	s_load_b32 s0, s[0:1], 0xc04
	s_waitcnt lgkmcnt(0)
	s_and_b32 s1, s9, 0x7fffffff
	s_delay_alu instid0(SALU_CYCLE_1)
	s_cmp_eq_u32 s1, 0
	v_cmp_eq_f32_e64 s1, s8, 1.0
	s_cselect_b32 s2, -1, 0
	s_delay_alu instid0(VALU_DEP_1) | instid1(SALU_CYCLE_1)
	s_and_b32 vcc_lo, s1, s2
	s_and_b32 s0, s0, 0xffff
	s_delay_alu instid0(SALU_CYCLE_1)
	v_add_lshl_u32 v1, v0, s0, 2
	v_lshlrev_b32_e32 v0, 5, v0
	s_lshl_b32 s4, s0, 2
	s_lshl_b32 s5, s0, 5
.LBB8_32:                               ; =>This Inner Loop Header: Depth=1
	s_waitcnt vmcnt(0)
	s_delay_alu instid0(VALU_DEP_1) | instskip(NEXT) | instid1(VALU_DEP_1)
	v_add_co_u32 v11, s0, s24, v0
	v_add_co_ci_u32_e64 v12, null, s25, 0, s0
	v_add_co_u32 v15, s0, s26, v0
	s_delay_alu instid0(VALU_DEP_1)
	v_add_co_ci_u32_e64 v16, null, s27, 0, s0
	global_load_b128 v[3:6], v[11:12], off
	global_load_b128 v[7:10], v[15:16], off
	global_load_b128 v[11:14], v[11:12], off offset:16
	global_load_b128 v[15:18], v[15:16], off offset:16
	v_add_co_u32 v23, s0, s22, v0
	s_delay_alu instid0(VALU_DEP_1)
	v_add_co_ci_u32_e64 v24, null, s23, 0, s0
	s_clause 0x1
	global_load_b128 v[19:22], v[23:24], off
	global_load_b128 v[23:26], v[23:24], off offset:16
	v_cmp_le_i64_e64 s0, s[10:11], v[1:2]
	v_cmp_lt_u64_e64 s1, 0xffff, v[1:2]
	v_add_co_u32 v27, s2, s28, v0
	s_delay_alu instid0(VALU_DEP_1) | instskip(SKIP_1) | instid1(VALU_DEP_4)
	v_add_co_ci_u32_e64 v28, null, s29, 0, s2
	v_add_co_u32 v1, s2, v1, s4
	s_or_b32 s0, s0, s1
	s_add_u32 s22, s22, s5
	s_addc_u32 s23, s23, 0
	s_add_u32 s28, s28, s5
	s_addc_u32 s29, s29, 0
	;; [unrolled: 2-line block ×3, first 2 shown]
	s_add_u32 s26, s26, s5
	v_add_co_ci_u32_e64 v2, s2, 0, v2, s2
	s_addc_u32 s27, s27, 0
	s_and_b32 s0, exec_lo, s0
	s_delay_alu instid0(SALU_CYCLE_1)
	s_or_b32 s3, s0, s3
	s_waitcnt vmcnt(4)
	v_dual_mul_f32 v29, v4, v8 :: v_dual_mul_f32 v30, v6, v10
	v_mul_f32_e32 v8, v3, v8
	s_waitcnt vmcnt(2)
	v_dual_mul_f32 v10, v5, v10 :: v_dual_mul_f32 v31, v12, v16
	s_delay_alu instid0(VALU_DEP_3) | instskip(NEXT) | instid1(VALU_DEP_3)
	v_fma_f32 v3, v3, v7, -v29
	v_fmac_f32_e32 v8, v4, v7
	s_delay_alu instid0(VALU_DEP_3)
	v_fmac_f32_e32 v10, v6, v9
	v_mul_f32_e32 v16, v11, v16
	v_mul_f32_e32 v32, v14, v18
	v_fma_f32 v4, v5, v9, -v30
	v_mul_f32_e32 v7, s9, v8
	v_fma_f32 v5, v11, v15, -v31
	v_mul_f32_e32 v9, s9, v3
	v_dual_mul_f32 v11, s9, v10 :: v_dual_fmac_f32 v16, v12, v15
	v_mul_f32_e32 v18, v13, v18
	v_fma_f32 v6, v13, v17, -v32
	v_fma_f32 v7, v3, s8, -v7
	s_delay_alu instid0(VALU_DEP_4) | instskip(NEXT) | instid1(VALU_DEP_4)
	v_fma_f32 v11, v4, s8, -v11
	v_dual_mul_f32 v13, s9, v16 :: v_dual_fmac_f32 v18, v14, v17
	s_delay_alu instid0(VALU_DEP_4) | instskip(NEXT) | instid1(VALU_DEP_4)
	v_mul_f32_e32 v17, s9, v6
	v_dual_cndmask_b32 v3, v7, v3 :: v_dual_mul_f32 v12, s9, v4
	s_delay_alu instid0(VALU_DEP_3) | instskip(NEXT) | instid1(VALU_DEP_4)
	v_fma_f32 v13, v5, s8, -v13
	v_mul_f32_e32 v15, s9, v18
	s_delay_alu instid0(VALU_DEP_4) | instskip(SKIP_4) | instid1(VALU_DEP_3)
	v_fmac_f32_e32 v17, s8, v18
	v_dual_fmac_f32 v9, s8, v8 :: v_dual_mul_f32 v14, s9, v5
	s_waitcnt vmcnt(1)
	v_add_f32_e32 v3, v19, v3
	v_fma_f32 v15, v6, s8, -v15
	v_cndmask_b32_e32 v7, v9, v8, vcc_lo
	v_fmac_f32_e32 v14, s8, v16
	v_fmac_f32_e32 v12, s8, v10
	v_cndmask_b32_e32 v8, v11, v4, vcc_lo
	s_delay_alu instid0(VALU_DEP_3) | instskip(NEXT) | instid1(VALU_DEP_3)
	v_cndmask_b32_e32 v11, v14, v16, vcc_lo
	v_dual_cndmask_b32 v9, v12, v10 :: v_dual_cndmask_b32 v10, v13, v5
	v_cndmask_b32_e32 v13, v17, v18, vcc_lo
	s_delay_alu instid0(VALU_DEP_4) | instskip(SKIP_1) | instid1(VALU_DEP_3)
	v_dual_cndmask_b32 v12, v15, v6 :: v_dual_add_f32 v5, v21, v8
	s_waitcnt vmcnt(0)
	v_dual_add_f32 v4, v20, v7 :: v_dual_add_f32 v7, v23, v10
	s_delay_alu instid0(VALU_DEP_2)
	v_dual_add_f32 v6, v22, v9 :: v_dual_add_f32 v9, v25, v12
	v_add_f32_e32 v8, v24, v11
	v_add_f32_e32 v10, v26, v13
	s_clause 0x1
	global_store_b128 v[27:28], v[3:6], off
	global_store_b128 v[27:28], v[7:10], off offset:16
	s_and_not1_b32 exec_lo, exec_lo, s3
	s_cbranch_execnz .LBB8_32
.LBB8_33:
	s_nop 0
	s_sendmsg sendmsg(MSG_DEALLOC_VGPRS)
	s_endpgm
	.section	.rodata,"a",@progbits
	.p2align	6, 0x0
	.amdhsa_kernel _ZN2at6native12_GLOBAL__N_125multi_tensor_apply_kernelINS1_18TensorListMetadataILi4EEENS1_24PointwiseOpScalarFunctorIN3c107complexIfEELi4ELi3ELi3EEEJSt10multipliesIS8_ES8_EEEvT_T0_DpT1_
		.amdhsa_group_segment_fixed_size 0
		.amdhsa_private_segment_fixed_size 0
		.amdhsa_kernarg_size 3320
		.amdhsa_user_sgpr_count 15
		.amdhsa_user_sgpr_dispatch_ptr 0
		.amdhsa_user_sgpr_queue_ptr 0
		.amdhsa_user_sgpr_kernarg_segment_ptr 1
		.amdhsa_user_sgpr_dispatch_id 0
		.amdhsa_user_sgpr_private_segment_size 0
		.amdhsa_wavefront_size32 1
		.amdhsa_uses_dynamic_stack 0
		.amdhsa_enable_private_segment 0
		.amdhsa_system_sgpr_workgroup_id_x 1
		.amdhsa_system_sgpr_workgroup_id_y 0
		.amdhsa_system_sgpr_workgroup_id_z 0
		.amdhsa_system_sgpr_workgroup_info 0
		.amdhsa_system_vgpr_workitem_id 0
		.amdhsa_next_free_vgpr 60
		.amdhsa_next_free_sgpr 34
		.amdhsa_reserve_vcc 1
		.amdhsa_float_round_mode_32 0
		.amdhsa_float_round_mode_16_64 0
		.amdhsa_float_denorm_mode_32 3
		.amdhsa_float_denorm_mode_16_64 3
		.amdhsa_dx10_clamp 1
		.amdhsa_ieee_mode 1
		.amdhsa_fp16_overflow 0
		.amdhsa_workgroup_processor_mode 1
		.amdhsa_memory_ordered 1
		.amdhsa_forward_progress 0
		.amdhsa_shared_vgpr_count 0
		.amdhsa_exception_fp_ieee_invalid_op 0
		.amdhsa_exception_fp_denorm_src 0
		.amdhsa_exception_fp_ieee_div_zero 0
		.amdhsa_exception_fp_ieee_overflow 0
		.amdhsa_exception_fp_ieee_underflow 0
		.amdhsa_exception_fp_ieee_inexact 0
		.amdhsa_exception_int_div_zero 0
	.end_amdhsa_kernel
	.section	.text._ZN2at6native12_GLOBAL__N_125multi_tensor_apply_kernelINS1_18TensorListMetadataILi4EEENS1_24PointwiseOpScalarFunctorIN3c107complexIfEELi4ELi3ELi3EEEJSt10multipliesIS8_ES8_EEEvT_T0_DpT1_,"axG",@progbits,_ZN2at6native12_GLOBAL__N_125multi_tensor_apply_kernelINS1_18TensorListMetadataILi4EEENS1_24PointwiseOpScalarFunctorIN3c107complexIfEELi4ELi3ELi3EEEJSt10multipliesIS8_ES8_EEEvT_T0_DpT1_,comdat
.Lfunc_end8:
	.size	_ZN2at6native12_GLOBAL__N_125multi_tensor_apply_kernelINS1_18TensorListMetadataILi4EEENS1_24PointwiseOpScalarFunctorIN3c107complexIfEELi4ELi3ELi3EEEJSt10multipliesIS8_ES8_EEEvT_T0_DpT1_, .Lfunc_end8-_ZN2at6native12_GLOBAL__N_125multi_tensor_apply_kernelINS1_18TensorListMetadataILi4EEENS1_24PointwiseOpScalarFunctorIN3c107complexIfEELi4ELi3ELi3EEEJSt10multipliesIS8_ES8_EEEvT_T0_DpT1_
                                        ; -- End function
	.section	.AMDGPU.csdata,"",@progbits
; Kernel info:
; codeLenInByte = 2768
; NumSgprs: 36
; NumVgprs: 60
; ScratchSize: 0
; MemoryBound: 0
; FloatMode: 240
; IeeeMode: 1
; LDSByteSize: 0 bytes/workgroup (compile time only)
; SGPRBlocks: 4
; VGPRBlocks: 7
; NumSGPRsForWavesPerEU: 36
; NumVGPRsForWavesPerEU: 60
; Occupancy: 16
; WaveLimiterHint : 0
; COMPUTE_PGM_RSRC2:SCRATCH_EN: 0
; COMPUTE_PGM_RSRC2:USER_SGPR: 15
; COMPUTE_PGM_RSRC2:TRAP_HANDLER: 0
; COMPUTE_PGM_RSRC2:TGID_X_EN: 1
; COMPUTE_PGM_RSRC2:TGID_Y_EN: 0
; COMPUTE_PGM_RSRC2:TGID_Z_EN: 0
; COMPUTE_PGM_RSRC2:TIDIG_COMP_CNT: 0
	.section	.text._ZN2at6native12_GLOBAL__N_125multi_tensor_apply_kernelINS1_18TensorListMetadataILi4EEENS1_24PointwiseOpScalarFunctorIN3c104HalfELi4ELi3ELi3EEEJSt10multipliesIfEfEEEvT_T0_DpT1_,"axG",@progbits,_ZN2at6native12_GLOBAL__N_125multi_tensor_apply_kernelINS1_18TensorListMetadataILi4EEENS1_24PointwiseOpScalarFunctorIN3c104HalfELi4ELi3ELi3EEEJSt10multipliesIfEfEEEvT_T0_DpT1_,comdat
	.globl	_ZN2at6native12_GLOBAL__N_125multi_tensor_apply_kernelINS1_18TensorListMetadataILi4EEENS1_24PointwiseOpScalarFunctorIN3c104HalfELi4ELi3ELi3EEEJSt10multipliesIfEfEEEvT_T0_DpT1_ ; -- Begin function _ZN2at6native12_GLOBAL__N_125multi_tensor_apply_kernelINS1_18TensorListMetadataILi4EEENS1_24PointwiseOpScalarFunctorIN3c104HalfELi4ELi3ELi3EEEJSt10multipliesIfEfEEEvT_T0_DpT1_
	.p2align	8
	.type	_ZN2at6native12_GLOBAL__N_125multi_tensor_apply_kernelINS1_18TensorListMetadataILi4EEENS1_24PointwiseOpScalarFunctorIN3c104HalfELi4ELi3ELi3EEEJSt10multipliesIfEfEEEvT_T0_DpT1_,@function
_ZN2at6native12_GLOBAL__N_125multi_tensor_apply_kernelINS1_18TensorListMetadataILi4EEENS1_24PointwiseOpScalarFunctorIN3c104HalfELi4ELi3ELi3EEEJSt10multipliesIfEfEEEvT_T0_DpT1_: ; @_ZN2at6native12_GLOBAL__N_125multi_tensor_apply_kernelINS1_18TensorListMetadataILi4EEENS1_24PointwiseOpScalarFunctorIN3c104HalfELi4ELi3ELi3EEEJSt10multipliesIfEfEEEvT_T0_DpT1_
; %bb.0:
	v_mov_b32_e32 v1, s15
	s_add_u32 s2, s0, s15
	s_mul_hi_u32 s3, s15, 3
	s_mul_i32 s15, s15, 3
	s_addc_u32 s4, s1, 0
	global_load_u8 v1, v1, s[0:1] offset:1440
	s_add_u32 s2, s2, s15
	s_addc_u32 s3, s4, s3
	s_mov_b32 s11, 0
	s_load_b32 s6, s[2:3], 0x6e0
	s_mov_b32 s21, s11
	s_waitcnt lgkmcnt(0)
	s_ashr_i32 s7, s6, 31
	s_delay_alu instid0(SALU_CYCLE_1) | instskip(SKIP_2) | instid1(VALU_DEP_1)
	s_lshl_b64 s[8:9], s[6:7], 17
	s_waitcnt vmcnt(0)
	v_readfirstlane_b32 s2, v1
	s_lshl_b32 s10, s2, 3
	s_clause 0x4
	s_load_b64 s[2:3], s[0:1], s10 offset:0x0
	s_load_b64 s[4:5], s[0:1], s10 offset:0x120
	;; [unrolled: 1-line block ×5, first 2 shown]
	s_waitcnt lgkmcnt(0)
	s_add_u32 s16, s2, s8
	s_addc_u32 s17, s3, s9
	s_and_b32 s10, s16, 7
	s_add_u32 s18, s4, s8
	s_addc_u32 s19, s5, s9
	s_and_b32 s20, s18, 7
	s_delay_alu instid0(SALU_CYCLE_1)
	s_cmp_eq_u64 s[20:21], 0
	s_cselect_b32 s25, -1, 0
	s_add_u32 s20, s12, s8
	s_addc_u32 s21, s13, s9
	s_add_u32 s22, s14, s8
	s_addc_u32 s23, s15, s9
	s_or_b32 s24, s22, s20
	s_delay_alu instid0(SALU_CYCLE_1) | instskip(NEXT) | instid1(SALU_CYCLE_1)
	s_and_b32 s24, s24, 7
	s_cmp_eq_u32 s24, 0
	s_load_b32 s24, s[0:1], 0xbec
	s_cselect_b32 s28, -1, 0
	s_lshl_b64 s[6:7], s[6:7], 16
	s_and_b32 s25, s28, s25
	s_sub_u32 s6, s26, s6
	s_subb_u32 s7, s27, s7
	s_and_b32 s26, s26, 3
	s_mov_b32 s27, s11
	s_delay_alu instid0(SALU_CYCLE_1) | instskip(NEXT) | instid1(SALU_CYCLE_1)
	s_or_b64 s[10:11], s[10:11], s[26:27]
	s_cmp_eq_u64 s[10:11], 0
	s_cselect_b32 s10, -1, 0
	s_delay_alu instid0(SALU_CYCLE_1) | instskip(NEXT) | instid1(SALU_CYCLE_1)
	s_and_b32 s10, s25, s10
	s_and_b32 vcc_lo, exec_lo, s10
	s_mov_b32 s10, -1
	s_cbranch_vccnz .LBB9_45
; %bb.1:
	v_cmp_lt_i64_e64 s10, s[6:7], 1
	s_delay_alu instid0(VALU_DEP_1)
	s_and_b32 vcc_lo, exec_lo, s10
	s_cbranch_vccnz .LBB9_44
; %bb.2:
	s_load_b32 s10, s[0:1], 0xbfc
	v_dual_mov_b32 v18, 0 :: v_dual_lshlrev_b32 v17, 1, v0
	v_cmp_gt_u64_e64 s11, 0x10000, s[6:7]
	s_waitcnt lgkmcnt(0)
	v_cmp_neq_f32_e64 s25, s24, 1.0
	s_delay_alu instid0(VALU_DEP_3) | instskip(NEXT) | instid1(VALU_DEP_1)
	v_add_co_u32 v1, s26, s2, v17
	v_add_co_ci_u32_e64 v2, null, s3, 0, s26
	v_add_co_u32 v3, s26, s4, v17
	v_add_co_u32 v5, s30, s12, v17
	v_add_co_ci_u32_e64 v4, null, s5, 0, s26
	v_add_co_ci_u32_e64 v6, null, s13, 0, s30
	v_add_co_u32 v7, s30, s14, v17
	s_and_b32 s27, s10, 0xffff
	s_and_b32 s10, s11, exec_lo
	v_mad_u64_u32 v[15:16], null, s27, 6, v[17:18]
	s_cselect_b32 s11, s7, 0
	s_cselect_b32 s10, s6, 0x10000
	s_mul_i32 s29, s27, 3
	s_lshl_b32 s26, s27, 2
	v_add_co_ci_u32_e64 v8, null, s15, 0, s30
	s_delay_alu instid0(VALU_DEP_2) | instskip(NEXT) | instid1(VALU_DEP_3)
	v_add_co_u32 v9, vcc_lo, s2, v15
	v_add_co_ci_u32_e32 v10, vcc_lo, s3, v16, vcc_lo
	v_add_co_u32 v11, vcc_lo, s4, v15
	v_add_co_u32 v26, s30, s26, v17
	v_add_co_u32 v17, s29, s29, v0
	v_add_co_ci_u32_e32 v12, vcc_lo, s5, v16, vcc_lo
	v_add_co_ci_u32_e64 v18, null, 0, 0, s29
	v_add_co_u32 v25, s29, v0, s27
	v_add_co_u32 v13, vcc_lo, s12, v15
	v_add_co_ci_u32_e32 v14, vcc_lo, s13, v16, vcc_lo
	v_add_co_u32 v15, vcc_lo, s14, v15
	v_add_co_ci_u32_e64 v27, null, 0, 0, s30
	v_lshlrev_b32_e32 v37, 1, v25
	v_add_co_ci_u32_e32 v16, vcc_lo, s15, v16, vcc_lo
	v_add_co_u32 v19, vcc_lo, s2, v26
	s_delay_alu instid0(VALU_DEP_4)
	v_add_co_ci_u32_e32 v20, vcc_lo, s3, v27, vcc_lo
	v_add_co_u32 v21, vcc_lo, s4, v26
	v_add_co_u32 v31, s2, s2, v37
	v_add_co_ci_u32_e32 v22, vcc_lo, s5, v27, vcc_lo
	v_add_co_ci_u32_e64 v32, null, s3, 0, s2
	v_add_co_u32 v33, s2, s4, v37
	v_add_co_u32 v23, vcc_lo, s12, v26
	s_lshl_b32 s28, s27, 1
	v_add_co_ci_u32_e64 v34, null, s5, 0, s2
	v_add_co_u32 v35, s2, s12, v37
	v_add_co_ci_u32_e32 v24, vcc_lo, s13, v27, vcc_lo
	v_add_co_u32 v26, vcc_lo, s14, v26
	v_add_co_u32 v29, s28, s28, v0
	v_add_co_ci_u32_e64 v36, null, s13, 0, s2
	v_add_co_u32 v37, s2, s14, v37
	v_add_co_ci_u32_e32 v27, vcc_lo, s15, v27, vcc_lo
	v_add_co_ci_u32_e64 v28, null, 0, 0, s29
	v_add_co_ci_u32_e64 v30, null, 0, 0, s28
	;; [unrolled: 1-line block ×3, first 2 shown]
	s_lshl_b32 s14, s27, 3
	s_mov_b64 s[12:13], 0
	s_branch .LBB9_4
.LBB9_3:                                ;   in Loop: Header=BB9_4 Depth=1
	s_or_b32 exec_lo, exec_lo, s2
	v_add_co_u32 v1, vcc_lo, v1, s14
	v_add_co_ci_u32_e32 v2, vcc_lo, 0, v2, vcc_lo
	v_add_co_u32 v3, vcc_lo, v3, s14
	v_add_co_ci_u32_e32 v4, vcc_lo, 0, v4, vcc_lo
	;; [unrolled: 2-line block ×13, first 2 shown]
	s_add_u32 s12, s12, s26
	v_add_co_u32 v33, vcc_lo, v33, s14
	s_addc_u32 s13, s13, 0
	v_add_co_ci_u32_e32 v34, vcc_lo, 0, v34, vcc_lo
	v_cmp_ge_i64_e64 s2, s[12:13], s[6:7]
	v_cmp_lt_u64_e64 s3, 0xffff, s[12:13]
	v_add_co_u32 v35, vcc_lo, v35, s14
	v_add_co_ci_u32_e32 v36, vcc_lo, 0, v36, vcc_lo
	v_add_co_u32 v37, vcc_lo, v37, s14
	v_add_co_ci_u32_e32 v38, vcc_lo, 0, v38, vcc_lo
	s_or_b32 s2, s2, s3
	s_delay_alu instid0(SALU_CYCLE_1)
	s_and_b32 vcc_lo, exec_lo, s2
	s_cbranch_vccnz .LBB9_44
.LBB9_4:                                ; =>This Inner Loop Header: Depth=1
	v_add_co_u32 v39, s2, v0, s12
	s_delay_alu instid0(VALU_DEP_1) | instskip(SKIP_1) | instid1(VALU_DEP_2)
	v_add_co_ci_u32_e64 v40, null, 0, s13, s2
	v_dual_mov_b32 v41, 0 :: v_dual_mov_b32 v42, 0
	v_cmp_gt_u64_e64 s2, s[10:11], v[39:40]
	s_delay_alu instid0(VALU_DEP_1)
	s_and_saveexec_b32 s3, s2
	s_cbranch_execz .LBB9_6
; %bb.5:                                ;   in Loop: Header=BB9_4 Depth=1
	v_add_co_u32 v39, vcc_lo, v1, s8
	v_add_co_ci_u32_e32 v40, vcc_lo, s9, v2, vcc_lo
	v_add_co_u32 v42, vcc_lo, v3, s8
	v_add_co_ci_u32_e32 v43, vcc_lo, s9, v4, vcc_lo
	global_load_u16 v41, v[39:40], off
	global_load_u16 v42, v[42:43], off
.LBB9_6:                                ;   in Loop: Header=BB9_4 Depth=1
	s_or_b32 exec_lo, exec_lo, s3
	v_mov_b32_e32 v39, 0
	v_mov_b32_e32 v45, 0
	s_and_saveexec_b32 s3, s2
	s_cbranch_execz .LBB9_8
; %bb.7:                                ;   in Loop: Header=BB9_4 Depth=1
	v_add_co_u32 v43, vcc_lo, v5, s8
	v_add_co_ci_u32_e32 v44, vcc_lo, s9, v6, vcc_lo
	global_load_u16 v45, v[43:44], off
.LBB9_8:                                ;   in Loop: Header=BB9_4 Depth=1
	s_or_b32 exec_lo, exec_lo, s3
	v_add_co_u32 v43, vcc_lo, v25, s12
	v_add_co_ci_u32_e32 v44, vcc_lo, s13, v28, vcc_lo
	s_delay_alu instid0(VALU_DEP_1) | instskip(SKIP_1) | instid1(VALU_DEP_2)
	v_cmp_gt_u64_e64 s3, s[10:11], v[43:44]
	v_mov_b32_e32 v44, 0
	s_and_saveexec_b32 s4, s3
	s_cbranch_execz .LBB9_10
; %bb.9:                                ;   in Loop: Header=BB9_4 Depth=1
	v_add_co_u32 v39, vcc_lo, v31, s8
	v_add_co_ci_u32_e32 v40, vcc_lo, s9, v32, vcc_lo
	v_add_co_u32 v43, vcc_lo, v33, s8
	v_add_co_ci_u32_e32 v44, vcc_lo, s9, v34, vcc_lo
	global_load_u16 v39, v[39:40], off
	global_load_u16 v44, v[43:44], off
.LBB9_10:                               ;   in Loop: Header=BB9_4 Depth=1
	s_or_b32 exec_lo, exec_lo, s4
	v_dual_mov_b32 v40, 0 :: v_dual_mov_b32 v47, 0
	s_and_saveexec_b32 s4, s3
	s_cbranch_execz .LBB9_12
; %bb.11:                               ;   in Loop: Header=BB9_4 Depth=1
	v_add_co_u32 v46, vcc_lo, v35, s8
	v_add_co_ci_u32_e32 v47, vcc_lo, s9, v36, vcc_lo
	global_load_u16 v47, v[46:47], off
.LBB9_12:                               ;   in Loop: Header=BB9_4 Depth=1
	s_or_b32 exec_lo, exec_lo, s4
	v_add_co_u32 v48, vcc_lo, v29, s12
	v_add_co_ci_u32_e32 v49, vcc_lo, s13, v30, vcc_lo
	v_mov_b32_e32 v46, 0
	s_delay_alu instid0(VALU_DEP_2) | instskip(NEXT) | instid1(VALU_DEP_1)
	v_cmp_gt_u64_e64 s4, s[10:11], v[48:49]
	s_and_saveexec_b32 s5, s4
	s_cbranch_execz .LBB9_14
; %bb.13:                               ;   in Loop: Header=BB9_4 Depth=1
	v_add_co_u32 v48, vcc_lo, v19, s8
	v_add_co_ci_u32_e32 v49, vcc_lo, s9, v20, vcc_lo
	v_add_co_u32 v50, vcc_lo, v21, s8
	v_add_co_ci_u32_e32 v51, vcc_lo, s9, v22, vcc_lo
	global_load_u16 v40, v[48:49], off
	global_load_u16 v46, v[50:51], off
.LBB9_14:                               ;   in Loop: Header=BB9_4 Depth=1
	s_or_b32 exec_lo, exec_lo, s5
	v_mov_b32_e32 v43, 0
	v_mov_b32_e32 v49, 0
	s_and_saveexec_b32 s5, s4
	s_cbranch_execz .LBB9_16
; %bb.15:                               ;   in Loop: Header=BB9_4 Depth=1
	v_add_co_u32 v48, vcc_lo, v23, s8
	v_add_co_ci_u32_e32 v49, vcc_lo, s9, v24, vcc_lo
	global_load_u16 v49, v[48:49], off
.LBB9_16:                               ;   in Loop: Header=BB9_4 Depth=1
	s_or_b32 exec_lo, exec_lo, s5
	v_add_co_u32 v50, vcc_lo, v17, s12
	v_add_co_ci_u32_e32 v51, vcc_lo, s13, v18, vcc_lo
	v_mov_b32_e32 v48, 0
	s_delay_alu instid0(VALU_DEP_2) | instskip(NEXT) | instid1(VALU_DEP_1)
	v_cmp_gt_u64_e64 s5, s[10:11], v[50:51]
	s_and_saveexec_b32 s15, s5
	s_cbranch_execz .LBB9_18
; %bb.17:                               ;   in Loop: Header=BB9_4 Depth=1
	v_add_co_u32 v50, vcc_lo, v9, s8
	v_add_co_ci_u32_e32 v51, vcc_lo, s9, v10, vcc_lo
	v_add_co_u32 v52, vcc_lo, v11, s8
	v_add_co_ci_u32_e32 v53, vcc_lo, s9, v12, vcc_lo
	global_load_u16 v43, v[50:51], off
	global_load_u16 v48, v[52:53], off
.LBB9_18:                               ;   in Loop: Header=BB9_4 Depth=1
	s_or_b32 exec_lo, exec_lo, s15
	v_mov_b32_e32 v50, 0
	s_and_saveexec_b32 s15, s5
	s_cbranch_execz .LBB9_20
; %bb.19:                               ;   in Loop: Header=BB9_4 Depth=1
	v_add_co_u32 v50, vcc_lo, v13, s8
	v_add_co_ci_u32_e32 v51, vcc_lo, s9, v14, vcc_lo
	global_load_u16 v50, v[50:51], off
.LBB9_20:                               ;   in Loop: Header=BB9_4 Depth=1
	s_or_b32 exec_lo, exec_lo, s15
	s_waitcnt vmcnt(1)
	v_cvt_f32_f16_e32 v51, v41
	s_waitcnt vmcnt(0)
	v_cvt_f32_f16_e32 v42, v42
	v_cvt_f32_f16_e32 v45, v45
	s_and_b32 vcc_lo, exec_lo, s25
	s_cbranch_vccz .LBB9_40
; %bb.21:                               ;   in Loop: Header=BB9_4 Depth=1
	s_delay_alu instid0(VALU_DEP_1) | instskip(NEXT) | instid1(VALU_DEP_1)
	v_mul_f32_e32 v41, v42, v45
	v_fma_f32 v41, s24, v41, v51
	s_cbranch_execnz .LBB9_23
.LBB9_22:                               ;   in Loop: Header=BB9_4 Depth=1
	s_delay_alu instid0(VALU_DEP_1) | instskip(NEXT) | instid1(VALU_DEP_1)
	v_fmac_f32_e32 v51, v42, v45
	v_mov_b32_e32 v41, v51
.LBB9_23:                               ;   in Loop: Header=BB9_4 Depth=1
	v_cvt_f32_f16_e32 v42, v39
	v_cvt_f32_f16_e32 v44, v44
	v_cvt_f32_f16_e32 v45, v47
	s_and_not1_b32 vcc_lo, exec_lo, s25
	s_cbranch_vccnz .LBB9_41
; %bb.24:                               ;   in Loop: Header=BB9_4 Depth=1
	s_delay_alu instid0(VALU_DEP_1) | instskip(NEXT) | instid1(VALU_DEP_1)
	v_mul_f32_e32 v39, v44, v45
	v_fma_f32 v39, s24, v39, v42
	s_cbranch_execnz .LBB9_26
.LBB9_25:                               ;   in Loop: Header=BB9_4 Depth=1
	s_delay_alu instid0(VALU_DEP_1) | instskip(NEXT) | instid1(VALU_DEP_1)
	v_fmac_f32_e32 v42, v44, v45
	v_mov_b32_e32 v39, v42
.LBB9_26:                               ;   in Loop: Header=BB9_4 Depth=1
	v_cvt_f32_f16_e32 v42, v40
	v_cvt_f32_f16_e32 v44, v46
	;; [unrolled: 1-line block ×3, first 2 shown]
	s_and_not1_b32 vcc_lo, exec_lo, s25
	s_cbranch_vccnz .LBB9_42
; %bb.27:                               ;   in Loop: Header=BB9_4 Depth=1
	s_delay_alu instid0(VALU_DEP_1) | instskip(NEXT) | instid1(VALU_DEP_1)
	v_mul_f32_e32 v40, v44, v45
	v_fma_f32 v40, s24, v40, v42
	s_cbranch_execnz .LBB9_29
.LBB9_28:                               ;   in Loop: Header=BB9_4 Depth=1
	s_delay_alu instid0(VALU_DEP_1) | instskip(NEXT) | instid1(VALU_DEP_1)
	v_fmac_f32_e32 v42, v44, v45
	v_mov_b32_e32 v40, v42
.LBB9_29:                               ;   in Loop: Header=BB9_4 Depth=1
	v_cvt_f32_f16_e32 v43, v43
	v_cvt_f32_f16_e32 v44, v48
	;; [unrolled: 1-line block ×3, first 2 shown]
	s_and_not1_b32 vcc_lo, exec_lo, s25
	s_cbranch_vccnz .LBB9_43
; %bb.30:                               ;   in Loop: Header=BB9_4 Depth=1
	s_delay_alu instid0(VALU_DEP_1) | instskip(NEXT) | instid1(VALU_DEP_1)
	v_mul_f32_e32 v42, v44, v45
	v_fma_f32 v42, s24, v42, v43
	s_cbranch_execnz .LBB9_32
.LBB9_31:                               ;   in Loop: Header=BB9_4 Depth=1
	s_delay_alu instid0(VALU_DEP_1) | instskip(NEXT) | instid1(VALU_DEP_1)
	v_fmac_f32_e32 v43, v44, v45
	v_mov_b32_e32 v42, v43
.LBB9_32:                               ;   in Loop: Header=BB9_4 Depth=1
	s_and_saveexec_b32 s15, s2
	s_delay_alu instid0(SALU_CYCLE_1)
	s_xor_b32 s2, exec_lo, s15
	s_cbranch_execnz .LBB9_36
; %bb.33:                               ;   in Loop: Header=BB9_4 Depth=1
	s_or_b32 exec_lo, exec_lo, s2
	s_and_saveexec_b32 s2, s3
	s_cbranch_execnz .LBB9_37
.LBB9_34:                               ;   in Loop: Header=BB9_4 Depth=1
	s_or_b32 exec_lo, exec_lo, s2
	s_and_saveexec_b32 s2, s4
	s_cbranch_execnz .LBB9_38
.LBB9_35:                               ;   in Loop: Header=BB9_4 Depth=1
	s_or_b32 exec_lo, exec_lo, s2
	s_and_saveexec_b32 s2, s5
	s_cbranch_execz .LBB9_3
	s_branch .LBB9_39
.LBB9_36:                               ;   in Loop: Header=BB9_4 Depth=1
	v_add_co_u32 v43, vcc_lo, v7, s8
	v_cvt_f16_f32_e32 v41, v41
	v_add_co_ci_u32_e32 v44, vcc_lo, s9, v8, vcc_lo
	global_store_b16 v[43:44], v41, off
	s_or_b32 exec_lo, exec_lo, s2
	s_and_saveexec_b32 s2, s3
	s_cbranch_execz .LBB9_34
.LBB9_37:                               ;   in Loop: Header=BB9_4 Depth=1
	v_add_co_u32 v43, vcc_lo, v37, s8
	v_cvt_f16_f32_e32 v39, v39
	v_add_co_ci_u32_e32 v44, vcc_lo, s9, v38, vcc_lo
	global_store_b16 v[43:44], v39, off
	s_or_b32 exec_lo, exec_lo, s2
	s_and_saveexec_b32 s2, s4
	s_cbranch_execz .LBB9_35
.LBB9_38:                               ;   in Loop: Header=BB9_4 Depth=1
	v_add_co_u32 v39, vcc_lo, v26, s8
	v_cvt_f16_f32_e32 v41, v40
	v_add_co_ci_u32_e32 v40, vcc_lo, s9, v27, vcc_lo
	global_store_b16 v[39:40], v41, off
	s_or_b32 exec_lo, exec_lo, s2
	s_and_saveexec_b32 s2, s5
	s_cbranch_execz .LBB9_3
.LBB9_39:                               ;   in Loop: Header=BB9_4 Depth=1
	v_add_co_u32 v39, vcc_lo, v15, s8
	v_cvt_f16_f32_e32 v41, v42
	v_add_co_ci_u32_e32 v40, vcc_lo, s9, v16, vcc_lo
	global_store_b16 v[39:40], v41, off
	s_branch .LBB9_3
.LBB9_40:                               ;   in Loop: Header=BB9_4 Depth=1
                                        ; implicit-def: $vgpr41
	s_branch .LBB9_22
.LBB9_41:                               ;   in Loop: Header=BB9_4 Depth=1
                                        ; implicit-def: $vgpr39
	s_branch .LBB9_25
.LBB9_42:                               ;   in Loop: Header=BB9_4 Depth=1
                                        ; implicit-def: $vgpr40
	s_branch .LBB9_28
.LBB9_43:                               ;   in Loop: Header=BB9_4 Depth=1
                                        ; implicit-def: $vgpr42
	s_branch .LBB9_31
.LBB9_44:
	s_mov_b32 s10, 0
.LBB9_45:
	s_delay_alu instid0(SALU_CYCLE_1)
	s_and_not1_b32 vcc_lo, exec_lo, s10
	s_cbranch_vccnz .LBB9_65
; %bb.46:
	v_dual_mov_b32 v2, 0 :: v_dual_lshlrev_b32 v1, 2, v0
	s_mov_b32 s2, 0
	s_mov_b32 s3, exec_lo
	s_delay_alu instid0(VALU_DEP_1)
	v_cmpx_gt_i64_e64 s[6:7], v[1:2]
	s_cbranch_execz .LBB9_65
; %bb.47:
	s_load_b32 s0, s[0:1], 0xbfc
	v_lshlrev_b32_e32 v9, 3, v0
	s_waitcnt lgkmcnt(0)
	v_cmp_neq_f32_e64 s1, s24, 1.0
	s_and_b32 s0, s0, 0xffff
	s_delay_alu instid0(SALU_CYCLE_1)
	v_add_lshl_u32 v1, v0, s0, 2
	s_lshl_b32 s3, s0, 3
	s_lshl_b32 s4, s0, 2
	s_branch .LBB9_49
.LBB9_48:                               ;   in Loop: Header=BB9_49 Depth=1
	v_cmp_le_i64_e32 vcc_lo, s[6:7], v[1:2]
	v_cmp_lt_u64_e64 s0, 0xffff, v[1:2]
	v_cvt_f16_f32_e32 v5, v5
	v_cvt_f16_f32_e32 v7, v3
	;; [unrolled: 1-line block ×4, first 2 shown]
	v_add_co_u32 v3, s5, s22, v9
	s_or_b32 s0, vcc_lo, s0
	s_add_u32 s16, s16, s3
	s_addc_u32 s17, s17, 0
	s_add_u32 s18, s18, s3
	s_addc_u32 s19, s19, 0
	s_add_u32 s20, s20, s3
	s_addc_u32 s21, s21, 0
	v_add_co_u32 v1, vcc_lo, v1, s4
	s_add_u32 s22, s22, s3
	v_add_co_ci_u32_e64 v4, null, s23, 0, s5
	v_pack_b32_f16 v6, v5, v6
	v_pack_b32_f16 v5, v0, v7
	v_add_co_ci_u32_e32 v2, vcc_lo, 0, v2, vcc_lo
	s_addc_u32 s23, s23, 0
	s_and_b32 s0, exec_lo, s0
	global_store_b64 v[3:4], v[5:6], off
	s_or_b32 s2, s0, s2
	s_delay_alu instid0(SALU_CYCLE_1)
	s_and_not1_b32 exec_lo, exec_lo, s2
	s_cbranch_execz .LBB9_65
.LBB9_49:                               ; =>This Inner Loop Header: Depth=1
	v_add_co_u32 v3, s0, s16, v9
	s_delay_alu instid0(VALU_DEP_1) | instskip(SKIP_1) | instid1(VALU_DEP_1)
	v_add_co_ci_u32_e64 v4, null, s17, 0, s0
	v_add_co_u32 v5, s0, s18, v9
	v_add_co_ci_u32_e64 v6, null, s19, 0, s0
	v_add_co_u32 v7, s0, s20, v9
	s_delay_alu instid0(VALU_DEP_1)
	v_add_co_ci_u32_e64 v8, null, s21, 0, s0
	global_load_b64 v[3:4], v[3:4], off
	global_load_b64 v[5:6], v[5:6], off
	;; [unrolled: 1-line block ×3, first 2 shown]
	s_and_b32 vcc_lo, exec_lo, s1
	s_waitcnt vmcnt(2)
	v_cvt_f32_f16_e32 v10, v3
	s_waitcnt vmcnt(1)
	v_cvt_f32_f16_e32 v11, v5
	;; [unrolled: 2-line block ×3, first 2 shown]
	s_cbranch_vccz .LBB9_60
; %bb.50:                               ;   in Loop: Header=BB9_49 Depth=1
	s_delay_alu instid0(VALU_DEP_1) | instskip(NEXT) | instid1(VALU_DEP_1)
	v_mul_f32_e32 v0, v11, v12
	v_fma_f32 v0, s24, v0, v10
	s_cbranch_execnz .LBB9_52
.LBB9_51:                               ;   in Loop: Header=BB9_49 Depth=1
	s_delay_alu instid0(VALU_DEP_1) | instskip(NEXT) | instid1(VALU_DEP_1)
	v_fmac_f32_e32 v10, v11, v12
	v_mov_b32_e32 v0, v10
.LBB9_52:                               ;   in Loop: Header=BB9_49 Depth=1
	v_lshrrev_b32_e32 v3, 16, v3
	v_lshrrev_b32_e32 v10, 16, v5
	;; [unrolled: 1-line block ×3, first 2 shown]
	s_and_not1_b32 vcc_lo, exec_lo, s1
	s_delay_alu instid0(VALU_DEP_3) | instskip(NEXT) | instid1(VALU_DEP_3)
	v_cvt_f32_f16_e32 v5, v3
	v_cvt_f32_f16_e32 v7, v10
	s_delay_alu instid0(VALU_DEP_3)
	v_cvt_f32_f16_e32 v10, v11
	s_cbranch_vccnz .LBB9_61
; %bb.53:                               ;   in Loop: Header=BB9_49 Depth=1
	s_delay_alu instid0(VALU_DEP_1) | instskip(NEXT) | instid1(VALU_DEP_1)
	v_mul_f32_e32 v3, v7, v10
	v_fma_f32 v3, s24, v3, v5
	s_cbranch_execnz .LBB9_55
.LBB9_54:                               ;   in Loop: Header=BB9_49 Depth=1
	s_delay_alu instid0(VALU_DEP_1) | instskip(NEXT) | instid1(VALU_DEP_1)
	v_fmac_f32_e32 v5, v7, v10
	v_mov_b32_e32 v3, v5
.LBB9_55:                               ;   in Loop: Header=BB9_49 Depth=1
	v_cvt_f32_f16_e32 v7, v4
	v_cvt_f32_f16_e32 v10, v6
	;; [unrolled: 1-line block ×3, first 2 shown]
	s_and_not1_b32 vcc_lo, exec_lo, s1
	s_cbranch_vccnz .LBB9_62
; %bb.56:                               ;   in Loop: Header=BB9_49 Depth=1
	s_delay_alu instid0(VALU_DEP_1) | instskip(NEXT) | instid1(VALU_DEP_1)
	v_mul_f32_e32 v5, v10, v11
	v_fma_f32 v5, s24, v5, v7
	s_cbranch_execnz .LBB9_58
.LBB9_57:                               ;   in Loop: Header=BB9_49 Depth=1
	s_delay_alu instid0(VALU_DEP_1) | instskip(NEXT) | instid1(VALU_DEP_1)
	v_fmac_f32_e32 v7, v10, v11
	v_mov_b32_e32 v5, v7
.LBB9_58:                               ;   in Loop: Header=BB9_49 Depth=1
	v_lshrrev_b32_e32 v4, 16, v4
	v_lshrrev_b32_e32 v6, 16, v6
	;; [unrolled: 1-line block ×3, first 2 shown]
	s_and_not1_b32 vcc_lo, exec_lo, s1
	s_delay_alu instid0(VALU_DEP_3) | instskip(NEXT) | instid1(VALU_DEP_3)
	v_cvt_f32_f16_e32 v4, v4
	v_cvt_f32_f16_e32 v6, v6
	s_delay_alu instid0(VALU_DEP_3)
	v_cvt_f32_f16_e32 v7, v7
	s_cbranch_vccnz .LBB9_63
; %bb.59:                               ;   in Loop: Header=BB9_49 Depth=1
	s_delay_alu instid0(VALU_DEP_1) | instskip(NEXT) | instid1(VALU_DEP_1)
	v_mul_f32_e32 v8, v6, v7
	v_fma_f32 v8, s24, v8, v4
	s_cbranch_execnz .LBB9_48
	s_branch .LBB9_64
.LBB9_60:                               ;   in Loop: Header=BB9_49 Depth=1
                                        ; implicit-def: $vgpr0
	s_branch .LBB9_51
.LBB9_61:                               ;   in Loop: Header=BB9_49 Depth=1
                                        ; implicit-def: $vgpr3
	s_branch .LBB9_54
.LBB9_62:                               ;   in Loop: Header=BB9_49 Depth=1
                                        ; implicit-def: $vgpr5
	s_branch .LBB9_57
.LBB9_63:                               ;   in Loop: Header=BB9_49 Depth=1
                                        ; implicit-def: $vgpr8
.LBB9_64:                               ;   in Loop: Header=BB9_49 Depth=1
	s_delay_alu instid0(VALU_DEP_1) | instskip(NEXT) | instid1(VALU_DEP_1)
	v_fmac_f32_e32 v4, v6, v7
	v_mov_b32_e32 v8, v4
	s_branch .LBB9_48
.LBB9_65:
	s_nop 0
	s_sendmsg sendmsg(MSG_DEALLOC_VGPRS)
	s_endpgm
	.section	.rodata,"a",@progbits
	.p2align	6, 0x0
	.amdhsa_kernel _ZN2at6native12_GLOBAL__N_125multi_tensor_apply_kernelINS1_18TensorListMetadataILi4EEENS1_24PointwiseOpScalarFunctorIN3c104HalfELi4ELi3ELi3EEEJSt10multipliesIfEfEEEvT_T0_DpT1_
		.amdhsa_group_segment_fixed_size 0
		.amdhsa_private_segment_fixed_size 0
		.amdhsa_kernarg_size 3312
		.amdhsa_user_sgpr_count 15
		.amdhsa_user_sgpr_dispatch_ptr 0
		.amdhsa_user_sgpr_queue_ptr 0
		.amdhsa_user_sgpr_kernarg_segment_ptr 1
		.amdhsa_user_sgpr_dispatch_id 0
		.amdhsa_user_sgpr_private_segment_size 0
		.amdhsa_wavefront_size32 1
		.amdhsa_uses_dynamic_stack 0
		.amdhsa_enable_private_segment 0
		.amdhsa_system_sgpr_workgroup_id_x 1
		.amdhsa_system_sgpr_workgroup_id_y 0
		.amdhsa_system_sgpr_workgroup_id_z 0
		.amdhsa_system_sgpr_workgroup_info 0
		.amdhsa_system_vgpr_workitem_id 0
		.amdhsa_next_free_vgpr 54
		.amdhsa_next_free_sgpr 31
		.amdhsa_reserve_vcc 1
		.amdhsa_float_round_mode_32 0
		.amdhsa_float_round_mode_16_64 0
		.amdhsa_float_denorm_mode_32 3
		.amdhsa_float_denorm_mode_16_64 3
		.amdhsa_dx10_clamp 1
		.amdhsa_ieee_mode 1
		.amdhsa_fp16_overflow 0
		.amdhsa_workgroup_processor_mode 1
		.amdhsa_memory_ordered 1
		.amdhsa_forward_progress 0
		.amdhsa_shared_vgpr_count 0
		.amdhsa_exception_fp_ieee_invalid_op 0
		.amdhsa_exception_fp_denorm_src 0
		.amdhsa_exception_fp_ieee_div_zero 0
		.amdhsa_exception_fp_ieee_overflow 0
		.amdhsa_exception_fp_ieee_underflow 0
		.amdhsa_exception_fp_ieee_inexact 0
		.amdhsa_exception_int_div_zero 0
	.end_amdhsa_kernel
	.section	.text._ZN2at6native12_GLOBAL__N_125multi_tensor_apply_kernelINS1_18TensorListMetadataILi4EEENS1_24PointwiseOpScalarFunctorIN3c104HalfELi4ELi3ELi3EEEJSt10multipliesIfEfEEEvT_T0_DpT1_,"axG",@progbits,_ZN2at6native12_GLOBAL__N_125multi_tensor_apply_kernelINS1_18TensorListMetadataILi4EEENS1_24PointwiseOpScalarFunctorIN3c104HalfELi4ELi3ELi3EEEJSt10multipliesIfEfEEEvT_T0_DpT1_,comdat
.Lfunc_end9:
	.size	_ZN2at6native12_GLOBAL__N_125multi_tensor_apply_kernelINS1_18TensorListMetadataILi4EEENS1_24PointwiseOpScalarFunctorIN3c104HalfELi4ELi3ELi3EEEJSt10multipliesIfEfEEEvT_T0_DpT1_, .Lfunc_end9-_ZN2at6native12_GLOBAL__N_125multi_tensor_apply_kernelINS1_18TensorListMetadataILi4EEENS1_24PointwiseOpScalarFunctorIN3c104HalfELi4ELi3ELi3EEEJSt10multipliesIfEfEEEvT_T0_DpT1_
                                        ; -- End function
	.section	.AMDGPU.csdata,"",@progbits
; Kernel info:
; codeLenInByte = 2456
; NumSgprs: 33
; NumVgprs: 54
; ScratchSize: 0
; MemoryBound: 0
; FloatMode: 240
; IeeeMode: 1
; LDSByteSize: 0 bytes/workgroup (compile time only)
; SGPRBlocks: 4
; VGPRBlocks: 6
; NumSGPRsForWavesPerEU: 33
; NumVGPRsForWavesPerEU: 54
; Occupancy: 16
; WaveLimiterHint : 0
; COMPUTE_PGM_RSRC2:SCRATCH_EN: 0
; COMPUTE_PGM_RSRC2:USER_SGPR: 15
; COMPUTE_PGM_RSRC2:TRAP_HANDLER: 0
; COMPUTE_PGM_RSRC2:TGID_X_EN: 1
; COMPUTE_PGM_RSRC2:TGID_Y_EN: 0
; COMPUTE_PGM_RSRC2:TGID_Z_EN: 0
; COMPUTE_PGM_RSRC2:TIDIG_COMP_CNT: 0
	.section	.text._ZN2at6native12_GLOBAL__N_125multi_tensor_apply_kernelINS1_18TensorListMetadataILi4EEENS1_24PointwiseOpScalarFunctorIN3c108BFloat16ELi4ELi3ELi3EEEJSt10multipliesIfEfEEEvT_T0_DpT1_,"axG",@progbits,_ZN2at6native12_GLOBAL__N_125multi_tensor_apply_kernelINS1_18TensorListMetadataILi4EEENS1_24PointwiseOpScalarFunctorIN3c108BFloat16ELi4ELi3ELi3EEEJSt10multipliesIfEfEEEvT_T0_DpT1_,comdat
	.globl	_ZN2at6native12_GLOBAL__N_125multi_tensor_apply_kernelINS1_18TensorListMetadataILi4EEENS1_24PointwiseOpScalarFunctorIN3c108BFloat16ELi4ELi3ELi3EEEJSt10multipliesIfEfEEEvT_T0_DpT1_ ; -- Begin function _ZN2at6native12_GLOBAL__N_125multi_tensor_apply_kernelINS1_18TensorListMetadataILi4EEENS1_24PointwiseOpScalarFunctorIN3c108BFloat16ELi4ELi3ELi3EEEJSt10multipliesIfEfEEEvT_T0_DpT1_
	.p2align	8
	.type	_ZN2at6native12_GLOBAL__N_125multi_tensor_apply_kernelINS1_18TensorListMetadataILi4EEENS1_24PointwiseOpScalarFunctorIN3c108BFloat16ELi4ELi3ELi3EEEJSt10multipliesIfEfEEEvT_T0_DpT1_,@function
_ZN2at6native12_GLOBAL__N_125multi_tensor_apply_kernelINS1_18TensorListMetadataILi4EEENS1_24PointwiseOpScalarFunctorIN3c108BFloat16ELi4ELi3ELi3EEEJSt10multipliesIfEfEEEvT_T0_DpT1_: ; @_ZN2at6native12_GLOBAL__N_125multi_tensor_apply_kernelINS1_18TensorListMetadataILi4EEENS1_24PointwiseOpScalarFunctorIN3c108BFloat16ELi4ELi3ELi3EEEJSt10multipliesIfEfEEEvT_T0_DpT1_
; %bb.0:
	v_mov_b32_e32 v1, s15
	s_add_u32 s2, s0, s15
	s_mul_hi_u32 s3, s15, 3
	s_mul_i32 s15, s15, 3
	s_addc_u32 s4, s1, 0
	global_load_u8 v1, v1, s[0:1] offset:1440
	s_load_b32 s22, s[0:1], 0xbec
	s_add_u32 s2, s2, s15
	s_addc_u32 s3, s4, s3
	s_mov_b32 s19, 0
	s_load_b32 s2, s[2:3], 0x6e0
	s_mov_b32 s15, s19
	s_waitcnt vmcnt(0)
	v_readfirstlane_b32 s3, v1
	s_delay_alu instid0(VALU_DEP_1)
	s_lshl_b32 s4, s3, 3
	s_waitcnt lgkmcnt(0)
	s_ashr_i32 s3, s2, 31
	s_clause 0x4
	s_load_b64 s[6:7], s[0:1], s4 offset:0x120
	s_load_b64 s[8:9], s[0:1], s4 offset:0x0
	;; [unrolled: 1-line block ×5, first 2 shown]
	s_lshl_b64 s[16:17], s[2:3], 17
	s_waitcnt lgkmcnt(0)
	s_add_u32 s14, s6, s16
	s_and_b32 s18, s8, 7
	s_and_b32 s14, s14, 7
	s_delay_alu instid0(SALU_CYCLE_1) | instskip(SKIP_2) | instid1(SALU_CYCLE_1)
	s_cmp_eq_u64 s[14:15], 0
	s_cselect_b32 s14, -1, 0
	s_add_u32 s15, s10, s16
	s_or_b32 s15, s12, s15
	s_delay_alu instid0(SALU_CYCLE_1) | instskip(NEXT) | instid1(SALU_CYCLE_1)
	s_and_b32 s15, s15, 7
	s_cmp_eq_u32 s15, 0
	s_cselect_b32 s15, -1, 0
	s_lshl_b64 s[2:3], s[2:3], 16
	s_and_b32 s20, s15, s14
	s_sub_u32 s14, s4, s2
	s_subb_u32 s15, s5, s3
	s_and_b32 s2, s4, 3
	s_mov_b32 s3, s19
	s_delay_alu instid0(SALU_CYCLE_1) | instskip(NEXT) | instid1(SALU_CYCLE_1)
	s_or_b64 s[2:3], s[18:19], s[2:3]
	s_cmp_eq_u64 s[2:3], 0
	s_cselect_b32 s2, -1, 0
	s_delay_alu instid0(SALU_CYCLE_1) | instskip(NEXT) | instid1(SALU_CYCLE_1)
	s_and_b32 s2, s20, s2
	s_and_b32 vcc_lo, exec_lo, s2
	s_mov_b32 s2, -1
	s_cbranch_vccnz .LBB10_45
; %bb.1:
	v_cmp_lt_i64_e64 s2, s[14:15], 1
	s_delay_alu instid0(VALU_DEP_1)
	s_and_b32 vcc_lo, exec_lo, s2
	s_cbranch_vccnz .LBB10_44
; %bb.2:
	s_load_b32 s2, s[0:1], 0xbfc
	v_dual_mov_b32 v18, 0 :: v_dual_lshlrev_b32 v17, 1, v0
	v_cmp_gt_u64_e64 s3, 0x10000, s[14:15]
	v_cmp_neq_f32_e64 s23, s22, 1.0
	s_mov_b64 s[20:21], 0
	s_delay_alu instid0(VALU_DEP_3) | instskip(NEXT) | instid1(VALU_DEP_1)
	v_add_co_u32 v1, s4, s8, v17
	v_add_co_ci_u32_e64 v2, null, s9, 0, s4
	v_add_co_u32 v3, s4, s6, v17
	v_add_co_u32 v5, s5, s10, v17
	v_add_co_ci_u32_e64 v4, null, s7, 0, s4
	v_add_co_ci_u32_e64 v6, null, s11, 0, s5
	v_add_co_u32 v7, s5, s12, v17
	s_waitcnt lgkmcnt(0)
	s_and_b32 s2, s2, 0xffff
	s_and_b32 s3, s3, exec_lo
	v_mad_u64_u32 v[15:16], null, s2, 6, v[17:18]
	s_cselect_b32 s19, s15, 0
	s_cselect_b32 s18, s14, 0x10000
	s_mul_i32 s4, s2, 3
	s_lshl_b32 s24, s2, 2
	v_add_co_ci_u32_e64 v8, null, s13, 0, s5
	s_delay_alu instid0(VALU_DEP_2) | instskip(NEXT) | instid1(VALU_DEP_3)
	v_add_co_u32 v9, vcc_lo, s8, v15
	v_add_co_ci_u32_e32 v10, vcc_lo, s9, v16, vcc_lo
	v_add_co_u32 v11, vcc_lo, s6, v15
	v_add_co_u32 v26, s5, s24, v17
	v_add_co_u32 v17, s4, s4, v0
	v_add_co_ci_u32_e32 v12, vcc_lo, s7, v16, vcc_lo
	v_add_co_ci_u32_e64 v18, null, 0, 0, s4
	v_add_co_u32 v25, s4, v0, s2
	v_add_co_u32 v13, vcc_lo, s10, v15
	v_add_co_ci_u32_e32 v14, vcc_lo, s11, v16, vcc_lo
	v_add_co_u32 v15, vcc_lo, s12, v15
	v_add_co_ci_u32_e64 v27, null, 0, 0, s5
	v_lshlrev_b32_e32 v37, 1, v25
	s_lshl_b32 s3, s2, 1
	v_add_co_ci_u32_e32 v16, vcc_lo, s13, v16, vcc_lo
	v_add_co_u32 v19, vcc_lo, s8, v26
	v_add_co_u32 v29, s3, s3, v0
	v_add_co_ci_u32_e32 v20, vcc_lo, s9, v27, vcc_lo
	v_add_co_u32 v21, vcc_lo, s6, v26
	v_add_co_ci_u32_e64 v30, null, 0, 0, s3
	v_add_co_u32 v31, s3, s8, v37
	v_add_co_ci_u32_e32 v22, vcc_lo, s7, v27, vcc_lo
	v_add_co_ci_u32_e64 v32, null, s9, 0, s3
	v_add_co_u32 v33, s3, s6, v37
	v_add_co_u32 v23, vcc_lo, s10, v26
	v_add_co_ci_u32_e64 v34, null, s7, 0, s3
	v_add_co_u32 v35, s3, s10, v37
	v_add_co_ci_u32_e32 v24, vcc_lo, s11, v27, vcc_lo
	v_add_co_u32 v26, vcc_lo, s12, v26
	v_add_co_ci_u32_e64 v36, null, s11, 0, s3
	v_add_co_u32 v37, s3, s12, v37
	v_add_co_ci_u32_e32 v27, vcc_lo, s13, v27, vcc_lo
	v_add_co_ci_u32_e64 v28, null, 0, 0, s4
	v_add_co_ci_u32_e64 v38, null, s13, 0, s3
	s_lshl_b32 s25, s2, 3
	s_branch .LBB10_4
.LBB10_3:                               ;   in Loop: Header=BB10_4 Depth=1
	s_or_b32 exec_lo, exec_lo, s2
	v_add_co_u32 v1, vcc_lo, v1, s25
	v_add_co_ci_u32_e32 v2, vcc_lo, 0, v2, vcc_lo
	v_add_co_u32 v3, vcc_lo, v3, s25
	v_add_co_ci_u32_e32 v4, vcc_lo, 0, v4, vcc_lo
	;; [unrolled: 2-line block ×13, first 2 shown]
	s_add_u32 s20, s20, s24
	v_add_co_u32 v33, vcc_lo, v33, s25
	s_addc_u32 s21, s21, 0
	v_add_co_ci_u32_e32 v34, vcc_lo, 0, v34, vcc_lo
	v_cmp_ge_i64_e64 s2, s[20:21], s[14:15]
	v_cmp_lt_u64_e64 s3, 0xffff, s[20:21]
	v_add_co_u32 v35, vcc_lo, v35, s25
	v_add_co_ci_u32_e32 v36, vcc_lo, 0, v36, vcc_lo
	v_add_co_u32 v37, vcc_lo, v37, s25
	v_add_co_ci_u32_e32 v38, vcc_lo, 0, v38, vcc_lo
	s_or_b32 s2, s2, s3
	s_delay_alu instid0(SALU_CYCLE_1)
	s_and_b32 vcc_lo, exec_lo, s2
	s_cbranch_vccnz .LBB10_44
.LBB10_4:                               ; =>This Inner Loop Header: Depth=1
	v_add_co_u32 v39, s2, v0, s20
	s_delay_alu instid0(VALU_DEP_1) | instskip(SKIP_1) | instid1(VALU_DEP_2)
	v_add_co_ci_u32_e64 v40, null, 0, s21, s2
	v_mov_b32_e32 v42, 0
	v_cmp_gt_u64_e64 s2, s[18:19], v[39:40]
	v_mov_b32_e32 v40, 0
	s_delay_alu instid0(VALU_DEP_2)
	s_and_saveexec_b32 s3, s2
	s_cbranch_execz .LBB10_6
; %bb.5:                                ;   in Loop: Header=BB10_4 Depth=1
	v_add_co_u32 v39, vcc_lo, v1, s16
	v_add_co_ci_u32_e32 v40, vcc_lo, s17, v2, vcc_lo
	v_add_co_u32 v41, vcc_lo, v3, s16
	v_add_co_ci_u32_e32 v42, vcc_lo, s17, v4, vcc_lo
	global_load_u16 v40, v[39:40], off
	global_load_u16 v42, v[41:42], off
.LBB10_6:                               ;   in Loop: Header=BB10_4 Depth=1
	s_or_b32 exec_lo, exec_lo, s3
	v_mov_b32_e32 v39, 0
	v_mov_b32_e32 v45, 0
	s_and_saveexec_b32 s3, s2
	s_cbranch_execz .LBB10_8
; %bb.7:                                ;   in Loop: Header=BB10_4 Depth=1
	v_add_co_u32 v43, vcc_lo, v5, s16
	v_add_co_ci_u32_e32 v44, vcc_lo, s17, v6, vcc_lo
	global_load_u16 v45, v[43:44], off
.LBB10_8:                               ;   in Loop: Header=BB10_4 Depth=1
	s_or_b32 exec_lo, exec_lo, s3
	v_add_co_u32 v43, vcc_lo, v25, s20
	v_add_co_ci_u32_e32 v44, vcc_lo, s21, v28, vcc_lo
	s_delay_alu instid0(VALU_DEP_1) | instskip(SKIP_1) | instid1(VALU_DEP_2)
	v_cmp_gt_u64_e64 s3, s[18:19], v[43:44]
	v_mov_b32_e32 v43, 0
	s_and_saveexec_b32 s4, s3
	s_cbranch_execz .LBB10_10
; %bb.9:                                ;   in Loop: Header=BB10_4 Depth=1
	v_add_co_u32 v43, vcc_lo, v31, s16
	v_add_co_ci_u32_e32 v44, vcc_lo, s17, v32, vcc_lo
	v_add_co_u32 v46, vcc_lo, v33, s16
	v_add_co_ci_u32_e32 v47, vcc_lo, s17, v34, vcc_lo
	global_load_u16 v39, v[43:44], off
	global_load_u16 v43, v[46:47], off
.LBB10_10:                              ;   in Loop: Header=BB10_4 Depth=1
	s_or_b32 exec_lo, exec_lo, s4
	v_mov_b32_e32 v41, 0
	v_mov_b32_e32 v47, 0
	s_and_saveexec_b32 s4, s3
	s_cbranch_execz .LBB10_12
; %bb.11:                               ;   in Loop: Header=BB10_4 Depth=1
	v_add_co_u32 v46, vcc_lo, v35, s16
	v_add_co_ci_u32_e32 v47, vcc_lo, s17, v36, vcc_lo
	global_load_u16 v47, v[46:47], off
.LBB10_12:                              ;   in Loop: Header=BB10_4 Depth=1
	s_or_b32 exec_lo, exec_lo, s4
	v_add_co_u32 v48, vcc_lo, v29, s20
	v_add_co_ci_u32_e32 v49, vcc_lo, s21, v30, vcc_lo
	v_mov_b32_e32 v46, 0
	s_delay_alu instid0(VALU_DEP_2) | instskip(NEXT) | instid1(VALU_DEP_1)
	v_cmp_gt_u64_e64 s4, s[18:19], v[48:49]
	s_and_saveexec_b32 s5, s4
	s_cbranch_execz .LBB10_14
; %bb.13:                               ;   in Loop: Header=BB10_4 Depth=1
	v_add_co_u32 v48, vcc_lo, v19, s16
	v_add_co_ci_u32_e32 v49, vcc_lo, s17, v20, vcc_lo
	v_add_co_u32 v50, vcc_lo, v21, s16
	v_add_co_ci_u32_e32 v51, vcc_lo, s17, v22, vcc_lo
	global_load_u16 v41, v[48:49], off
	global_load_u16 v46, v[50:51], off
.LBB10_14:                              ;   in Loop: Header=BB10_4 Depth=1
	s_or_b32 exec_lo, exec_lo, s5
	v_dual_mov_b32 v44, 0 :: v_dual_mov_b32 v49, 0
	s_and_saveexec_b32 s5, s4
	s_cbranch_execz .LBB10_16
; %bb.15:                               ;   in Loop: Header=BB10_4 Depth=1
	v_add_co_u32 v48, vcc_lo, v23, s16
	v_add_co_ci_u32_e32 v49, vcc_lo, s17, v24, vcc_lo
	global_load_u16 v49, v[48:49], off
.LBB10_16:                              ;   in Loop: Header=BB10_4 Depth=1
	s_or_b32 exec_lo, exec_lo, s5
	v_add_co_u32 v50, vcc_lo, v17, s20
	v_add_co_ci_u32_e32 v51, vcc_lo, s21, v18, vcc_lo
	v_mov_b32_e32 v48, 0
	s_delay_alu instid0(VALU_DEP_2) | instskip(NEXT) | instid1(VALU_DEP_1)
	v_cmp_gt_u64_e64 s5, s[18:19], v[50:51]
	s_and_saveexec_b32 s26, s5
	s_cbranch_execz .LBB10_18
; %bb.17:                               ;   in Loop: Header=BB10_4 Depth=1
	v_add_co_u32 v50, vcc_lo, v9, s16
	v_add_co_ci_u32_e32 v51, vcc_lo, s17, v10, vcc_lo
	v_add_co_u32 v52, vcc_lo, v11, s16
	v_add_co_ci_u32_e32 v53, vcc_lo, s17, v12, vcc_lo
	global_load_u16 v44, v[50:51], off
	global_load_u16 v48, v[52:53], off
.LBB10_18:                              ;   in Loop: Header=BB10_4 Depth=1
	s_or_b32 exec_lo, exec_lo, s26
	v_mov_b32_e32 v50, 0
	s_and_saveexec_b32 s26, s5
	s_cbranch_execz .LBB10_20
; %bb.19:                               ;   in Loop: Header=BB10_4 Depth=1
	v_add_co_u32 v50, vcc_lo, v13, s16
	v_add_co_ci_u32_e32 v51, vcc_lo, s17, v14, vcc_lo
	global_load_u16 v50, v[50:51], off
.LBB10_20:                              ;   in Loop: Header=BB10_4 Depth=1
	s_or_b32 exec_lo, exec_lo, s26
	s_waitcnt vmcnt(1)
	v_lshlrev_b32_e32 v51, 16, v40
	s_waitcnt vmcnt(0)
	v_lshlrev_b32_e32 v42, 16, v42
	v_lshlrev_b32_e32 v45, 16, v45
	s_and_b32 vcc_lo, exec_lo, s23
	s_cbranch_vccz .LBB10_40
; %bb.21:                               ;   in Loop: Header=BB10_4 Depth=1
	s_delay_alu instid0(VALU_DEP_1) | instskip(NEXT) | instid1(VALU_DEP_1)
	v_mul_f32_e32 v40, v42, v45
	v_fma_f32 v40, s22, v40, v51
	s_cbranch_execnz .LBB10_23
.LBB10_22:                              ;   in Loop: Header=BB10_4 Depth=1
	s_delay_alu instid0(VALU_DEP_1) | instskip(NEXT) | instid1(VALU_DEP_1)
	v_fmac_f32_e32 v51, v42, v45
	v_mov_b32_e32 v40, v51
.LBB10_23:                              ;   in Loop: Header=BB10_4 Depth=1
	v_lshlrev_b32_e32 v42, 16, v39
	v_lshlrev_b32_e32 v43, 16, v43
	;; [unrolled: 1-line block ×3, first 2 shown]
	s_and_not1_b32 vcc_lo, exec_lo, s23
	s_cbranch_vccnz .LBB10_41
; %bb.24:                               ;   in Loop: Header=BB10_4 Depth=1
	s_delay_alu instid0(VALU_DEP_1) | instskip(NEXT) | instid1(VALU_DEP_1)
	v_mul_f32_e32 v39, v43, v45
	v_fma_f32 v39, s22, v39, v42
	s_cbranch_execnz .LBB10_26
.LBB10_25:                              ;   in Loop: Header=BB10_4 Depth=1
	s_delay_alu instid0(VALU_DEP_1) | instskip(NEXT) | instid1(VALU_DEP_1)
	v_fmac_f32_e32 v42, v43, v45
	v_mov_b32_e32 v39, v42
.LBB10_26:                              ;   in Loop: Header=BB10_4 Depth=1
	v_lshlrev_b32_e32 v42, 16, v41
	v_lshlrev_b32_e32 v43, 16, v46
	;; [unrolled: 1-line block ×3, first 2 shown]
	s_and_not1_b32 vcc_lo, exec_lo, s23
	s_cbranch_vccnz .LBB10_42
; %bb.27:                               ;   in Loop: Header=BB10_4 Depth=1
	s_delay_alu instid0(VALU_DEP_1) | instskip(NEXT) | instid1(VALU_DEP_1)
	v_mul_f32_e32 v41, v43, v45
	v_fma_f32 v41, s22, v41, v42
	s_cbranch_execnz .LBB10_29
.LBB10_28:                              ;   in Loop: Header=BB10_4 Depth=1
	s_delay_alu instid0(VALU_DEP_1) | instskip(NEXT) | instid1(VALU_DEP_1)
	v_fmac_f32_e32 v42, v43, v45
	v_mov_b32_e32 v41, v42
.LBB10_29:                              ;   in Loop: Header=BB10_4 Depth=1
	v_lshlrev_b32_e32 v43, 16, v44
	v_lshlrev_b32_e32 v44, 16, v48
	;; [unrolled: 1-line block ×3, first 2 shown]
	s_and_not1_b32 vcc_lo, exec_lo, s23
	s_cbranch_vccnz .LBB10_43
; %bb.30:                               ;   in Loop: Header=BB10_4 Depth=1
	s_delay_alu instid0(VALU_DEP_1) | instskip(NEXT) | instid1(VALU_DEP_1)
	v_mul_f32_e32 v42, v44, v45
	v_fma_f32 v42, s22, v42, v43
	s_cbranch_execnz .LBB10_32
.LBB10_31:                              ;   in Loop: Header=BB10_4 Depth=1
	s_delay_alu instid0(VALU_DEP_1) | instskip(NEXT) | instid1(VALU_DEP_1)
	v_fmac_f32_e32 v43, v44, v45
	v_mov_b32_e32 v42, v43
.LBB10_32:                              ;   in Loop: Header=BB10_4 Depth=1
	s_and_saveexec_b32 s26, s2
	s_delay_alu instid0(SALU_CYCLE_1)
	s_xor_b32 s2, exec_lo, s26
	s_cbranch_execnz .LBB10_36
; %bb.33:                               ;   in Loop: Header=BB10_4 Depth=1
	s_or_b32 exec_lo, exec_lo, s2
	s_and_saveexec_b32 s2, s3
	s_cbranch_execnz .LBB10_37
.LBB10_34:                              ;   in Loop: Header=BB10_4 Depth=1
	s_or_b32 exec_lo, exec_lo, s2
	s_and_saveexec_b32 s2, s4
	s_cbranch_execnz .LBB10_38
.LBB10_35:                              ;   in Loop: Header=BB10_4 Depth=1
	s_or_b32 exec_lo, exec_lo, s2
	s_and_saveexec_b32 s2, s5
	s_cbranch_execz .LBB10_3
	s_branch .LBB10_39
.LBB10_36:                              ;   in Loop: Header=BB10_4 Depth=1
	v_bfe_u32 v43, v40, 16, 1
	v_cmp_o_f32_e32 vcc_lo, v40, v40
	s_delay_alu instid0(VALU_DEP_2) | instskip(NEXT) | instid1(VALU_DEP_1)
	v_add3_u32 v43, v40, v43, 0x7fff
	v_lshrrev_b32_e32 v43, 16, v43
	s_delay_alu instid0(VALU_DEP_1)
	v_cndmask_b32_e32 v40, 0x7fc0, v43, vcc_lo
	v_add_co_u32 v43, vcc_lo, v7, s16
	v_add_co_ci_u32_e32 v44, vcc_lo, s17, v8, vcc_lo
	global_store_b16 v[43:44], v40, off
	s_or_b32 exec_lo, exec_lo, s2
	s_and_saveexec_b32 s2, s3
	s_cbranch_execz .LBB10_34
.LBB10_37:                              ;   in Loop: Header=BB10_4 Depth=1
	v_bfe_u32 v40, v39, 16, 1
	v_add_co_u32 v43, vcc_lo, v37, s16
	v_add_co_ci_u32_e32 v44, vcc_lo, s17, v38, vcc_lo
	s_delay_alu instid0(VALU_DEP_3) | instskip(SKIP_1) | instid1(VALU_DEP_2)
	v_add3_u32 v40, v39, v40, 0x7fff
	v_cmp_o_f32_e32 vcc_lo, v39, v39
	v_lshrrev_b32_e32 v40, 16, v40
	s_delay_alu instid0(VALU_DEP_1)
	v_cndmask_b32_e32 v39, 0x7fc0, v40, vcc_lo
	global_store_b16 v[43:44], v39, off
	s_or_b32 exec_lo, exec_lo, s2
	s_and_saveexec_b32 s2, s4
	s_cbranch_execz .LBB10_35
.LBB10_38:                              ;   in Loop: Header=BB10_4 Depth=1
	v_bfe_u32 v39, v41, 16, 1
	s_delay_alu instid0(VALU_DEP_1) | instskip(NEXT) | instid1(VALU_DEP_1)
	v_add3_u32 v39, v41, v39, 0x7fff
	v_lshrrev_b32_e32 v43, 16, v39
	v_add_co_u32 v39, vcc_lo, v26, s16
	v_add_co_ci_u32_e32 v40, vcc_lo, s17, v27, vcc_lo
	v_cmp_o_f32_e32 vcc_lo, v41, v41
	s_delay_alu instid0(VALU_DEP_4)
	v_cndmask_b32_e32 v41, 0x7fc0, v43, vcc_lo
	global_store_b16 v[39:40], v41, off
	s_or_b32 exec_lo, exec_lo, s2
	s_and_saveexec_b32 s2, s5
	s_cbranch_execz .LBB10_3
.LBB10_39:                              ;   in Loop: Header=BB10_4 Depth=1
	v_bfe_u32 v39, v42, 16, 1
	s_delay_alu instid0(VALU_DEP_1) | instskip(NEXT) | instid1(VALU_DEP_1)
	v_add3_u32 v39, v42, v39, 0x7fff
	v_lshrrev_b32_e32 v41, 16, v39
	v_add_co_u32 v39, vcc_lo, v15, s16
	v_add_co_ci_u32_e32 v40, vcc_lo, s17, v16, vcc_lo
	v_cmp_o_f32_e32 vcc_lo, v42, v42
	s_delay_alu instid0(VALU_DEP_4)
	v_cndmask_b32_e32 v41, 0x7fc0, v41, vcc_lo
	global_store_b16 v[39:40], v41, off
	s_branch .LBB10_3
.LBB10_40:                              ;   in Loop: Header=BB10_4 Depth=1
                                        ; implicit-def: $vgpr40
	s_branch .LBB10_22
.LBB10_41:                              ;   in Loop: Header=BB10_4 Depth=1
                                        ; implicit-def: $vgpr39
	s_branch .LBB10_25
.LBB10_42:                              ;   in Loop: Header=BB10_4 Depth=1
                                        ; implicit-def: $vgpr41
	s_branch .LBB10_28
.LBB10_43:                              ;   in Loop: Header=BB10_4 Depth=1
                                        ; implicit-def: $vgpr42
	s_branch .LBB10_31
.LBB10_44:
	s_mov_b32 s2, 0
.LBB10_45:
	s_delay_alu instid0(SALU_CYCLE_1)
	s_and_not1_b32 vcc_lo, exec_lo, s2
	s_cbranch_vccnz .LBB10_65
; %bb.46:
	v_dual_mov_b32 v2, 0 :: v_dual_lshlrev_b32 v1, 2, v0
	s_mov_b32 s2, 0
	s_mov_b32 s3, exec_lo
	s_delay_alu instid0(VALU_DEP_1)
	v_cmpx_gt_i64_e64 s[14:15], v[1:2]
	s_cbranch_execz .LBB10_65
; %bb.47:
	s_load_b32 s0, s[0:1], 0xbfc
	v_lshlrev_b32_e32 v1, 3, v0
	v_cmp_neq_f32_e64 s3, s22, 1.0
	s_delay_alu instid0(VALU_DEP_2) | instskip(NEXT) | instid1(VALU_DEP_1)
	v_add_co_u32 v9, s1, s16, v1
	v_add_co_ci_u32_e64 v10, null, s17, 0, s1
	s_waitcnt lgkmcnt(0)
	s_and_b32 s0, s0, 0xffff
	s_delay_alu instid0(SALU_CYCLE_1)
	v_add_lshl_u32 v1, v0, s0, 2
	s_lshl_b32 s4, s0, 3
	s_lshl_b32 s5, s0, 2
	s_branch .LBB10_49
.LBB10_48:                              ;   in Loop: Header=BB10_49 Depth=1
	v_bfe_u32 v5, v0, 16, 1
	v_bfe_u32 v6, v11, 16, 1
	;; [unrolled: 1-line block ×3, first 2 shown]
	v_cmp_o_f32_e32 vcc_lo, v0, v0
	v_bfe_u32 v8, v4, 16, 1
	v_add3_u32 v5, v0, v5, 0x7fff
	v_add3_u32 v6, v11, v6, 0x7fff
	;; [unrolled: 1-line block ×3, first 2 shown]
	v_cmp_lt_u64_e64 s0, 0xffff, v[1:2]
	v_add3_u32 v8, v4, v8, 0x7fff
	v_lshrrev_b32_e32 v5, 16, v5
	v_and_b32_e32 v6, 0xffff0000, v6
	v_lshrrev_b32_e32 v7, 16, v7
	s_delay_alu instid0(VALU_DEP_4) | instskip(NEXT) | instid1(VALU_DEP_4)
	v_and_b32_e32 v8, 0xffff0000, v8
	v_cndmask_b32_e32 v0, 0x7fc0, v5, vcc_lo
	v_cmp_o_f32_e32 vcc_lo, v11, v11
	v_cndmask_b32_e32 v5, 0x7fc00000, v6, vcc_lo
	v_cmp_o_f32_e32 vcc_lo, v3, v3
	s_delay_alu instid0(VALU_DEP_2) | instskip(SKIP_3) | instid1(VALU_DEP_1)
	v_or_b32_e32 v0, v5, v0
	v_cndmask_b32_e32 v3, 0x7fc0, v7, vcc_lo
	v_cmp_o_f32_e32 vcc_lo, v4, v4
	v_add_co_u32 v5, s1, s12, v9
	v_add_co_ci_u32_e64 v6, s1, s13, v10, s1
	v_cndmask_b32_e32 v4, 0x7fc00000, v8, vcc_lo
	v_cmp_le_i64_e32 vcc_lo, s[14:15], v[1:2]
	s_delay_alu instid0(VALU_DEP_2)
	v_or3_b32 v4, 0, v3, v4
	v_or3_b32 v3, v0, 0, 0
	s_or_b32 s0, vcc_lo, s0
	v_add_co_u32 v9, vcc_lo, v9, s4
	v_add_co_ci_u32_e32 v10, vcc_lo, 0, v10, vcc_lo
	v_add_co_u32 v1, vcc_lo, v1, s5
	v_add_co_ci_u32_e32 v2, vcc_lo, 0, v2, vcc_lo
	s_and_b32 s0, exec_lo, s0
	global_store_b64 v[5:6], v[3:4], off
	s_or_b32 s2, s0, s2
	s_delay_alu instid0(SALU_CYCLE_1)
	s_and_not1_b32 exec_lo, exec_lo, s2
	s_cbranch_execz .LBB10_65
.LBB10_49:                              ; =>This Inner Loop Header: Depth=1
	v_add_co_u32 v3, vcc_lo, s8, v9
	v_add_co_ci_u32_e32 v4, vcc_lo, s9, v10, vcc_lo
	v_add_co_u32 v5, vcc_lo, s6, v9
	v_add_co_ci_u32_e32 v6, vcc_lo, s7, v10, vcc_lo
	;; [unrolled: 2-line block ×3, first 2 shown]
	global_load_b64 v[3:4], v[3:4], off
	global_load_b64 v[5:6], v[5:6], off
	;; [unrolled: 1-line block ×3, first 2 shown]
	s_and_b32 vcc_lo, exec_lo, s3
	s_waitcnt vmcnt(2)
	v_lshlrev_b32_e32 v11, 16, v3
	s_waitcnt vmcnt(1)
	v_lshlrev_b32_e32 v12, 16, v5
	;; [unrolled: 2-line block ×3, first 2 shown]
	s_cbranch_vccz .LBB10_60
; %bb.50:                               ;   in Loop: Header=BB10_49 Depth=1
	s_delay_alu instid0(VALU_DEP_1) | instskip(NEXT) | instid1(VALU_DEP_1)
	v_mul_f32_e32 v0, v12, v13
	v_fma_f32 v0, s22, v0, v11
	s_cbranch_execnz .LBB10_52
.LBB10_51:                              ;   in Loop: Header=BB10_49 Depth=1
	s_delay_alu instid0(VALU_DEP_1) | instskip(NEXT) | instid1(VALU_DEP_1)
	v_fmac_f32_e32 v11, v12, v13
	v_mov_b32_e32 v0, v11
.LBB10_52:                              ;   in Loop: Header=BB10_49 Depth=1
	v_and_b32_e32 v12, 0xffff0000, v3
	v_and_b32_e32 v13, 0xffff0000, v5
	;; [unrolled: 1-line block ×3, first 2 shown]
	s_and_not1_b32 vcc_lo, exec_lo, s3
	s_cbranch_vccnz .LBB10_61
; %bb.53:                               ;   in Loop: Header=BB10_49 Depth=1
	s_delay_alu instid0(VALU_DEP_1) | instskip(NEXT) | instid1(VALU_DEP_1)
	v_mul_f32_e32 v11, v13, v14
	v_fma_f32 v11, s22, v11, v12
	s_cbranch_execnz .LBB10_55
.LBB10_54:                              ;   in Loop: Header=BB10_49 Depth=1
	s_delay_alu instid0(VALU_DEP_1) | instskip(NEXT) | instid1(VALU_DEP_1)
	v_fmac_f32_e32 v12, v13, v14
	v_mov_b32_e32 v11, v12
.LBB10_55:                              ;   in Loop: Header=BB10_49 Depth=1
	v_alignbit_b32 v3, v4, v3, 16
	v_alignbit_b32 v12, v6, v5, 16
	;; [unrolled: 1-line block ×3, first 2 shown]
	s_and_not1_b32 vcc_lo, exec_lo, s3
	s_delay_alu instid0(VALU_DEP_3) | instskip(NEXT) | instid1(VALU_DEP_3)
	v_and_b32_e32 v5, 0xffff0000, v3
	v_and_b32_e32 v7, 0xffff0000, v12
	s_delay_alu instid0(VALU_DEP_3)
	v_and_b32_e32 v12, 0xffff0000, v13
	s_cbranch_vccnz .LBB10_62
; %bb.56:                               ;   in Loop: Header=BB10_49 Depth=1
	s_delay_alu instid0(VALU_DEP_1) | instskip(NEXT) | instid1(VALU_DEP_1)
	v_mul_f32_e32 v3, v7, v12
	v_fma_f32 v3, s22, v3, v5
	s_cbranch_execnz .LBB10_58
.LBB10_57:                              ;   in Loop: Header=BB10_49 Depth=1
	s_delay_alu instid0(VALU_DEP_1) | instskip(NEXT) | instid1(VALU_DEP_1)
	v_fmac_f32_e32 v5, v7, v12
	v_mov_b32_e32 v3, v5
.LBB10_58:                              ;   in Loop: Header=BB10_49 Depth=1
	v_and_b32_e32 v5, 0xffff0000, v4
	v_and_b32_e32 v6, 0xffff0000, v6
	;; [unrolled: 1-line block ×3, first 2 shown]
	s_and_not1_b32 vcc_lo, exec_lo, s3
	s_cbranch_vccnz .LBB10_63
; %bb.59:                               ;   in Loop: Header=BB10_49 Depth=1
	s_delay_alu instid0(VALU_DEP_1) | instskip(NEXT) | instid1(VALU_DEP_1)
	v_mul_f32_e32 v4, v6, v7
	v_fma_f32 v4, s22, v4, v5
	s_cbranch_execnz .LBB10_48
	s_branch .LBB10_64
.LBB10_60:                              ;   in Loop: Header=BB10_49 Depth=1
                                        ; implicit-def: $vgpr0
	s_branch .LBB10_51
.LBB10_61:                              ;   in Loop: Header=BB10_49 Depth=1
                                        ; implicit-def: $vgpr11
	s_branch .LBB10_54
.LBB10_62:                              ;   in Loop: Header=BB10_49 Depth=1
                                        ; implicit-def: $vgpr3
	s_branch .LBB10_57
.LBB10_63:                              ;   in Loop: Header=BB10_49 Depth=1
                                        ; implicit-def: $vgpr4
.LBB10_64:                              ;   in Loop: Header=BB10_49 Depth=1
	s_delay_alu instid0(VALU_DEP_1) | instskip(NEXT) | instid1(VALU_DEP_1)
	v_fmac_f32_e32 v5, v6, v7
	v_mov_b32_e32 v4, v5
	s_branch .LBB10_48
.LBB10_65:
	s_nop 0
	s_sendmsg sendmsg(MSG_DEALLOC_VGPRS)
	s_endpgm
	.section	.rodata,"a",@progbits
	.p2align	6, 0x0
	.amdhsa_kernel _ZN2at6native12_GLOBAL__N_125multi_tensor_apply_kernelINS1_18TensorListMetadataILi4EEENS1_24PointwiseOpScalarFunctorIN3c108BFloat16ELi4ELi3ELi3EEEJSt10multipliesIfEfEEEvT_T0_DpT1_
		.amdhsa_group_segment_fixed_size 0
		.amdhsa_private_segment_fixed_size 0
		.amdhsa_kernarg_size 3312
		.amdhsa_user_sgpr_count 15
		.amdhsa_user_sgpr_dispatch_ptr 0
		.amdhsa_user_sgpr_queue_ptr 0
		.amdhsa_user_sgpr_kernarg_segment_ptr 1
		.amdhsa_user_sgpr_dispatch_id 0
		.amdhsa_user_sgpr_private_segment_size 0
		.amdhsa_wavefront_size32 1
		.amdhsa_uses_dynamic_stack 0
		.amdhsa_enable_private_segment 0
		.amdhsa_system_sgpr_workgroup_id_x 1
		.amdhsa_system_sgpr_workgroup_id_y 0
		.amdhsa_system_sgpr_workgroup_id_z 0
		.amdhsa_system_sgpr_workgroup_info 0
		.amdhsa_system_vgpr_workitem_id 0
		.amdhsa_next_free_vgpr 54
		.amdhsa_next_free_sgpr 27
		.amdhsa_reserve_vcc 1
		.amdhsa_float_round_mode_32 0
		.amdhsa_float_round_mode_16_64 0
		.amdhsa_float_denorm_mode_32 3
		.amdhsa_float_denorm_mode_16_64 3
		.amdhsa_dx10_clamp 1
		.amdhsa_ieee_mode 1
		.amdhsa_fp16_overflow 0
		.amdhsa_workgroup_processor_mode 1
		.amdhsa_memory_ordered 1
		.amdhsa_forward_progress 0
		.amdhsa_shared_vgpr_count 0
		.amdhsa_exception_fp_ieee_invalid_op 0
		.amdhsa_exception_fp_denorm_src 0
		.amdhsa_exception_fp_ieee_div_zero 0
		.amdhsa_exception_fp_ieee_overflow 0
		.amdhsa_exception_fp_ieee_underflow 0
		.amdhsa_exception_fp_ieee_inexact 0
		.amdhsa_exception_int_div_zero 0
	.end_amdhsa_kernel
	.section	.text._ZN2at6native12_GLOBAL__N_125multi_tensor_apply_kernelINS1_18TensorListMetadataILi4EEENS1_24PointwiseOpScalarFunctorIN3c108BFloat16ELi4ELi3ELi3EEEJSt10multipliesIfEfEEEvT_T0_DpT1_,"axG",@progbits,_ZN2at6native12_GLOBAL__N_125multi_tensor_apply_kernelINS1_18TensorListMetadataILi4EEENS1_24PointwiseOpScalarFunctorIN3c108BFloat16ELi4ELi3ELi3EEEJSt10multipliesIfEfEEEvT_T0_DpT1_,comdat
.Lfunc_end10:
	.size	_ZN2at6native12_GLOBAL__N_125multi_tensor_apply_kernelINS1_18TensorListMetadataILi4EEENS1_24PointwiseOpScalarFunctorIN3c108BFloat16ELi4ELi3ELi3EEEJSt10multipliesIfEfEEEvT_T0_DpT1_, .Lfunc_end10-_ZN2at6native12_GLOBAL__N_125multi_tensor_apply_kernelINS1_18TensorListMetadataILi4EEENS1_24PointwiseOpScalarFunctorIN3c108BFloat16ELi4ELi3ELi3EEEJSt10multipliesIfEfEEEvT_T0_DpT1_
                                        ; -- End function
	.section	.AMDGPU.csdata,"",@progbits
; Kernel info:
; codeLenInByte = 2748
; NumSgprs: 29
; NumVgprs: 54
; ScratchSize: 0
; MemoryBound: 0
; FloatMode: 240
; IeeeMode: 1
; LDSByteSize: 0 bytes/workgroup (compile time only)
; SGPRBlocks: 3
; VGPRBlocks: 6
; NumSGPRsForWavesPerEU: 29
; NumVGPRsForWavesPerEU: 54
; Occupancy: 16
; WaveLimiterHint : 0
; COMPUTE_PGM_RSRC2:SCRATCH_EN: 0
; COMPUTE_PGM_RSRC2:USER_SGPR: 15
; COMPUTE_PGM_RSRC2:TRAP_HANDLER: 0
; COMPUTE_PGM_RSRC2:TGID_X_EN: 1
; COMPUTE_PGM_RSRC2:TGID_Y_EN: 0
; COMPUTE_PGM_RSRC2:TGID_Z_EN: 0
; COMPUTE_PGM_RSRC2:TIDIG_COMP_CNT: 0
	.section	.text._ZN2at6native12_GLOBAL__N_125multi_tensor_apply_kernelINS1_18TensorListMetadataILi4EEENS1_32PointwiseOpScalar0dTensorFunctorIhLi4ELi2ELi3EEEJSt10multipliesIhEhEEEvT_T0_DpT1_,"axG",@progbits,_ZN2at6native12_GLOBAL__N_125multi_tensor_apply_kernelINS1_18TensorListMetadataILi4EEENS1_32PointwiseOpScalar0dTensorFunctorIhLi4ELi2ELi3EEEJSt10multipliesIhEhEEEvT_T0_DpT1_,comdat
	.globl	_ZN2at6native12_GLOBAL__N_125multi_tensor_apply_kernelINS1_18TensorListMetadataILi4EEENS1_32PointwiseOpScalar0dTensorFunctorIhLi4ELi2ELi3EEEJSt10multipliesIhEhEEEvT_T0_DpT1_ ; -- Begin function _ZN2at6native12_GLOBAL__N_125multi_tensor_apply_kernelINS1_18TensorListMetadataILi4EEENS1_32PointwiseOpScalar0dTensorFunctorIhLi4ELi2ELi3EEEJSt10multipliesIhEhEEEvT_T0_DpT1_
	.p2align	8
	.type	_ZN2at6native12_GLOBAL__N_125multi_tensor_apply_kernelINS1_18TensorListMetadataILi4EEENS1_32PointwiseOpScalar0dTensorFunctorIhLi4ELi2ELi3EEEJSt10multipliesIhEhEEEvT_T0_DpT1_,@function
_ZN2at6native12_GLOBAL__N_125multi_tensor_apply_kernelINS1_18TensorListMetadataILi4EEENS1_32PointwiseOpScalar0dTensorFunctorIhLi4ELi2ELi3EEEJSt10multipliesIhEhEEEvT_T0_DpT1_: ; @_ZN2at6native12_GLOBAL__N_125multi_tensor_apply_kernelINS1_18TensorListMetadataILi4EEENS1_32PointwiseOpScalar0dTensorFunctorIhLi4ELi2ELi3EEEJSt10multipliesIhEhEEEvT_T0_DpT1_
; %bb.0:
	v_dual_mov_b32 v1, s15 :: v_dual_mov_b32 v2, 0
	s_mul_i32 s4, s15, 3
	s_mul_hi_u32 s7, s15, 3
	s_mov_b32 s25, 0
	global_load_u8 v1, v1, s[0:1] offset:1440
	s_load_b32 s2, s[0:1], 0xbe8
	s_waitcnt lgkmcnt(0)
	s_lshr_b32 s3, s2, 16
	s_add_u32 s2, s0, s15
	s_addc_u32 s5, s1, 0
	s_add_u32 s4, s2, s4
	s_addc_u32 s5, s5, s7
	s_waitcnt vmcnt(0)
	v_readfirstlane_b32 s6, v1
	s_delay_alu instid0(VALU_DEP_1)
	s_lshl_b32 s2, s6, 3
	s_clause 0x2
	s_load_b64 s[16:17], s[0:1], s2 offset:0x120
	s_load_b64 s[6:7], s[0:1], s2 offset:0x240
	;; [unrolled: 1-line block ×3, first 2 shown]
	s_waitcnt lgkmcnt(0)
	global_load_u8 v1, v2, s[16:17]
	s_clause 0x2
	s_load_b32 s4, s[4:5], 0x6e0
	s_load_b64 s[10:11], s[0:1], s2 offset:0x0
	s_load_b64 s[22:23], s[0:1], s2 offset:0x480
	s_waitcnt lgkmcnt(0)
	s_ashr_i32 s5, s4, 31
	s_delay_alu instid0(SALU_CYCLE_1) | instskip(NEXT) | instid1(SALU_CYCLE_1)
	s_lshl_b64 s[12:13], s[4:5], 16
	s_add_u32 s14, s10, s12
	s_addc_u32 s15, s11, s13
	s_add_u32 s2, s16, s12
	s_delay_alu instid0(SALU_CYCLE_1) | instskip(NEXT) | instid1(SALU_CYCLE_1)
	s_and_b32 s24, s2, 3
	s_cmp_lg_u64 s[24:25], 0
	s_cselect_b32 s2, -1, 0
	s_add_u32 s16, s6, s12
	s_addc_u32 s17, s7, s13
	s_add_u32 s19, s8, s12
	s_addc_u32 s20, s9, s13
	s_or_b32 s4, s19, s16
	s_delay_alu instid0(SALU_CYCLE_1) | instskip(NEXT) | instid1(SALU_CYCLE_1)
	s_and_b32 s4, s4, 3
	s_cmp_lg_u32 s4, 0
	s_cselect_b32 s4, -1, 0
	s_delay_alu instid0(SALU_CYCLE_1) | instskip(SKIP_3) | instid1(SALU_CYCLE_1)
	s_or_b32 s2, s4, s2
	s_sub_u32 s4, s22, s12
	s_subb_u32 s5, s23, s13
	s_or_b64 s[22:23], s[22:23], s[14:15]
	s_and_b32 s24, s22, 3
	s_delay_alu instid0(SALU_CYCLE_1) | instskip(SKIP_1) | instid1(SALU_CYCLE_1)
	s_cmp_lg_u64 s[24:25], 0
	s_cselect_b32 s18, -1, 0
	s_or_b32 s2, s2, s18
	s_delay_alu instid0(SALU_CYCLE_1)
	s_and_not1_b32 vcc_lo, exec_lo, s2
	s_mov_b32 s2, -1
	s_waitcnt vmcnt(0)
	v_readfirstlane_b32 s18, v1
	s_cbranch_vccz .LBB11_5
; %bb.1:
	v_lshlrev_b32_e32 v1, 2, v0
	s_mov_b32 s21, exec_lo
	s_delay_alu instid0(VALU_DEP_1)
	v_cmpx_gt_i64_e64 s[4:5], v[1:2]
	s_cbranch_execz .LBB11_4
; %bb.2:
	s_load_b32 s2, s[0:1], 0xbfc
	s_and_b32 s22, s18, 0xff
	s_and_b32 s23, s3, 0xff
	s_mov_b32 s24, 0
	s_mul_i32 s22, s22, s23
	s_waitcnt lgkmcnt(0)
	s_and_b32 s2, s2, 0xffff
	s_delay_alu instid0(SALU_CYCLE_1)
	s_lshl_b32 s23, s2, 2
.LBB11_3:                               ; =>This Inner Loop Header: Depth=1
	v_add_co_u32 v3, vcc_lo, s14, v1
	v_add_co_ci_u32_e32 v4, vcc_lo, s15, v2, vcc_lo
	v_add_co_u32 v5, vcc_lo, s16, v1
	v_add_co_ci_u32_e32 v6, vcc_lo, s17, v2, vcc_lo
	global_load_b32 v7, v[3:4], off
	global_load_b32 v5, v[5:6], off
	v_add_co_u32 v3, vcc_lo, s19, v1
	v_add_co_ci_u32_e32 v4, vcc_lo, s20, v2, vcc_lo
	v_add_co_u32 v1, vcc_lo, s23, v1
	v_add_co_ci_u32_e32 v2, vcc_lo, 0, v2, vcc_lo
	s_delay_alu instid0(VALU_DEP_1) | instskip(SKIP_1) | instid1(VALU_DEP_1)
	v_cmp_le_i64_e32 vcc_lo, s[4:5], v[1:2]
	v_cmp_lt_u64_e64 s2, 0xffff, v[1:2]
	s_or_b32 s2, vcc_lo, s2
	s_delay_alu instid0(SALU_CYCLE_1) | instskip(NEXT) | instid1(SALU_CYCLE_1)
	s_and_b32 s2, exec_lo, s2
	s_or_b32 s24, s2, s24
	s_waitcnt vmcnt(1)
	v_lshrrev_b32_e32 v6, 8, v7
	s_waitcnt vmcnt(0)
	v_lshrrev_b32_e32 v8, 8, v5
	v_lshrrev_b32_e32 v9, 16, v7
	;; [unrolled: 1-line block ×5, first 2 shown]
	v_mad_u16 v6, s22, v8, v6
	v_mad_u16 v5, s22, v5, v7
	v_mad_u16 v8, s22, v10, v9
	s_delay_alu instid0(VALU_DEP_4) | instskip(NEXT) | instid1(VALU_DEP_4)
	v_mad_u16 v7, s22, v12, v11
	v_and_b32_e32 v6, 0xff, v6
	s_delay_alu instid0(VALU_DEP_3) | instskip(NEXT) | instid1(VALU_DEP_3)
	v_and_b32_e32 v8, 0xff, v8
	v_lshlrev_b32_e32 v7, 24, v7
	s_delay_alu instid0(VALU_DEP_3) | instskip(NEXT) | instid1(VALU_DEP_3)
	v_perm_b32 v5, v6, v5, 0x6050400
	v_lshlrev_b32_e32 v6, 16, v8
	s_delay_alu instid0(VALU_DEP_1)
	v_or3_b32 v5, v5, v6, v7
	global_store_b32 v[3:4], v5, off
	s_and_not1_b32 exec_lo, exec_lo, s24
	s_cbranch_execnz .LBB11_3
.LBB11_4:
	s_or_b32 exec_lo, exec_lo, s21
	s_mov_b32 s2, 0
.LBB11_5:
	s_delay_alu instid0(SALU_CYCLE_1)
	s_and_not1_b32 vcc_lo, exec_lo, s2
	s_cbranch_vccnz .LBB11_25
; %bb.6:
	v_cmp_lt_i64_e64 s2, s[4:5], 1
	s_delay_alu instid0(VALU_DEP_1)
	s_and_b32 vcc_lo, exec_lo, s2
	s_cbranch_vccnz .LBB11_25
; %bb.7:
	s_load_b32 s0, s[0:1], 0xbfc
	v_add_co_u32 v1, s1, s12, v0
	s_delay_alu instid0(VALU_DEP_1)
	v_add_co_ci_u32_e64 v2, null, s13, 0, s1
	v_cmp_gt_u64_e64 s1, 0x10000, s[4:5]
	s_and_b32 s14, s18, 0xff
	s_and_b32 s15, s3, 0xff
	v_add_co_u32 v9, vcc_lo, s10, v1
	v_add_co_ci_u32_e32 v10, vcc_lo, s11, v2, vcc_lo
	v_add_co_u32 v11, vcc_lo, s6, v1
	v_add_co_ci_u32_e32 v12, vcc_lo, s7, v2, vcc_lo
	;; [unrolled: 2-line block ×3, first 2 shown]
	s_waitcnt lgkmcnt(0)
	s_and_b32 s0, s0, 0xffff
	s_and_b32 s1, s1, exec_lo
	s_mul_i32 s17, s0, 3
	s_cselect_b32 s3, s5, 0
	s_cselect_b32 s2, s4, 0x10000
	s_lshl_b32 s16, s0, 1
	s_lshl_b32 s1, s0, 2
	s_add_u32 s18, s12, s17
	s_addc_u32 s19, s13, 0
	v_add_co_u32 v3, s18, s18, v0
	s_delay_alu instid0(VALU_DEP_1) | instskip(SKIP_1) | instid1(VALU_DEP_2)
	v_add_co_ci_u32_e64 v4, null, s19, 0, s18
	s_add_u32 s12, s12, s16
	v_add_co_u32 v15, vcc_lo, s10, v3
	s_delay_alu instid0(VALU_DEP_2)
	v_add_co_ci_u32_e32 v16, vcc_lo, s11, v4, vcc_lo
	v_add_co_u32 v17, vcc_lo, s6, v3
	v_add_co_ci_u32_e32 v18, vcc_lo, s7, v4, vcc_lo
	v_add_co_u32 v19, vcc_lo, s8, v3
	s_addc_u32 s13, s13, 0
	v_add_co_u32 v3, s12, s12, v0
	v_add_co_ci_u32_e32 v20, vcc_lo, s9, v4, vcc_lo
	v_add_co_ci_u32_e64 v4, null, s13, 0, s12
	s_delay_alu instid0(VALU_DEP_3) | instskip(SKIP_1) | instid1(VALU_DEP_3)
	v_add_co_u32 v23, vcc_lo, s10, v3
	v_add_co_u32 v21, s12, s17, v0
	v_add_co_ci_u32_e32 v24, vcc_lo, s11, v4, vcc_lo
	v_add_co_u32 v25, vcc_lo, s6, v3
	v_add_co_ci_u32_e32 v26, vcc_lo, s7, v4, vcc_lo
	v_add_co_u32 v27, vcc_lo, s8, v3
	v_add_co_ci_u32_e32 v28, vcc_lo, s9, v4, vcc_lo
	v_add_co_u32 v1, vcc_lo, v1, s0
	v_add_co_ci_u32_e32 v2, vcc_lo, 0, v2, vcc_lo
	v_add_co_ci_u32_e64 v22, null, 0, 0, s12
	s_delay_alu instid0(VALU_DEP_3) | instskip(NEXT) | instid1(VALU_DEP_3)
	v_add_co_u32 v31, vcc_lo, s10, v1
	v_add_co_ci_u32_e32 v32, vcc_lo, s11, v2, vcc_lo
	v_add_co_u32 v33, vcc_lo, s6, v1
	v_add_co_ci_u32_e32 v34, vcc_lo, s7, v2, vcc_lo
	v_add_co_u32 v29, s12, s16, v0
	v_add_co_u32 v35, vcc_lo, s8, v1
	v_add_co_u32 v37, s0, v0, s0
	v_add_co_ci_u32_e64 v30, null, 0, 0, s12
	v_add_co_ci_u32_e32 v36, vcc_lo, s9, v2, vcc_lo
	v_add_co_ci_u32_e64 v38, null, 0, 0, s0
	s_mul_i32 s8, s14, s15
	s_mov_b64 s[6:7], 0
	s_branch .LBB11_9
.LBB11_8:                               ;   in Loop: Header=BB11_9 Depth=1
	s_or_b32 exec_lo, exec_lo, s0
	s_add_u32 s6, s6, s1
	s_addc_u32 s7, s7, 0
	s_delay_alu instid0(SALU_CYCLE_1) | instskip(SKIP_1) | instid1(VALU_DEP_1)
	v_cmp_ge_i64_e64 s0, s[6:7], s[4:5]
	v_cmp_lt_u64_e64 s9, 0xffff, s[6:7]
	s_or_b32 s0, s0, s9
	s_delay_alu instid0(SALU_CYCLE_1)
	s_and_b32 vcc_lo, exec_lo, s0
	s_cbranch_vccnz .LBB11_25
.LBB11_9:                               ; =>This Inner Loop Header: Depth=1
	v_add_co_u32 v1, s0, v0, s6
	s_delay_alu instid0(VALU_DEP_1) | instskip(SKIP_2) | instid1(VALU_DEP_2)
	v_add_co_ci_u32_e64 v2, null, 0, s7, s0
	s_waitcnt vmcnt(0)
	v_dual_mov_b32 v39, 0 :: v_dual_mov_b32 v40, 0
	v_cmp_gt_i64_e32 vcc_lo, s[4:5], v[1:2]
	v_cmp_gt_u64_e64 s0, 0x10000, v[1:2]
	s_delay_alu instid0(VALU_DEP_1) | instskip(NEXT) | instid1(SALU_CYCLE_1)
	s_and_b32 s9, vcc_lo, s0
	s_and_saveexec_b32 s0, s9
	s_cbranch_execz .LBB11_11
; %bb.10:                               ;   in Loop: Header=BB11_9 Depth=1
	v_add_co_u32 v3, vcc_lo, v9, s6
	v_add_co_ci_u32_e32 v4, vcc_lo, s7, v10, vcc_lo
	v_add_co_u32 v5, vcc_lo, v11, s6
	v_add_co_ci_u32_e32 v6, vcc_lo, s7, v12, vcc_lo
	global_load_u8 v40, v[3:4], off
	global_load_u8 v39, v[5:6], off
.LBB11_11:                              ;   in Loop: Header=BB11_9 Depth=1
	s_or_b32 exec_lo, exec_lo, s0
	v_add_co_u32 v3, vcc_lo, v37, s6
	v_add_co_ci_u32_e32 v4, vcc_lo, s7, v38, vcc_lo
	s_delay_alu instid0(VALU_DEP_1) | instskip(SKIP_1) | instid1(VALU_DEP_1)
	v_cmp_gt_i64_e32 vcc_lo, s[4:5], v[3:4]
	v_cmp_gt_u64_e64 s0, 0x10000, v[3:4]
	s_and_b32 s9, vcc_lo, s0
	s_delay_alu instid0(SALU_CYCLE_1)
	s_and_saveexec_b32 s0, s9
	s_cbranch_execz .LBB11_13
; %bb.12:                               ;   in Loop: Header=BB11_9 Depth=1
	v_add_co_u32 v5, vcc_lo, v31, s6
	v_add_co_ci_u32_e32 v6, vcc_lo, s7, v32, vcc_lo
	v_add_co_u32 v7, vcc_lo, v33, s6
	v_add_co_ci_u32_e32 v8, vcc_lo, s7, v34, vcc_lo
	global_load_u8 v5, v[5:6], off
	global_load_u8 v6, v[7:8], off
	s_waitcnt vmcnt(1)
	v_lshl_or_b32 v40, v5, 8, v40
	s_waitcnt vmcnt(0)
	v_lshl_or_b32 v39, v6, 8, v39
.LBB11_13:                              ;   in Loop: Header=BB11_9 Depth=1
	s_or_b32 exec_lo, exec_lo, s0
	v_add_co_u32 v5, vcc_lo, v29, s6
	v_add_co_ci_u32_e32 v6, vcc_lo, s7, v30, vcc_lo
	s_delay_alu instid0(VALU_DEP_1) | instskip(SKIP_1) | instid1(VALU_DEP_1)
	v_cmp_gt_i64_e32 vcc_lo, s[4:5], v[5:6]
	v_cmp_gt_u64_e64 s0, 0x10000, v[5:6]
	s_and_b32 s9, vcc_lo, s0
	s_delay_alu instid0(SALU_CYCLE_1)
	s_and_saveexec_b32 s0, s9
	s_cbranch_execz .LBB11_15
; %bb.14:                               ;   in Loop: Header=BB11_9 Depth=1
	v_add_co_u32 v7, vcc_lo, v23, s6
	v_add_co_ci_u32_e32 v8, vcc_lo, s7, v24, vcc_lo
	v_add_co_u32 v41, vcc_lo, v25, s6
	v_add_co_ci_u32_e32 v42, vcc_lo, s7, v26, vcc_lo
	global_load_u8 v7, v[7:8], off
	global_load_u8 v8, v[41:42], off
	s_waitcnt vmcnt(1)
	v_lshl_or_b32 v40, v7, 16, v40
	s_waitcnt vmcnt(0)
	v_lshl_or_b32 v39, v8, 16, v39
.LBB11_15:                              ;   in Loop: Header=BB11_9 Depth=1
	s_or_b32 exec_lo, exec_lo, s0
	v_add_co_u32 v7, vcc_lo, v21, s6
	v_add_co_ci_u32_e32 v8, vcc_lo, s7, v22, vcc_lo
	s_delay_alu instid0(VALU_DEP_1) | instskip(SKIP_1) | instid1(VALU_DEP_1)
	v_cmp_gt_i64_e32 vcc_lo, s[4:5], v[7:8]
	v_cmp_gt_u64_e64 s0, 0x10000, v[7:8]
	s_and_b32 s9, vcc_lo, s0
	s_delay_alu instid0(SALU_CYCLE_1)
	s_and_saveexec_b32 s0, s9
	s_cbranch_execnz .LBB11_20
; %bb.16:                               ;   in Loop: Header=BB11_9 Depth=1
	s_or_b32 exec_lo, exec_lo, s0
	s_delay_alu instid0(SALU_CYCLE_1)
	s_mov_b32 s0, exec_lo
	v_cmpx_gt_u64_e64 s[2:3], v[1:2]
	s_cbranch_execnz .LBB11_21
.LBB11_17:                              ;   in Loop: Header=BB11_9 Depth=1
	s_or_b32 exec_lo, exec_lo, s0
	s_delay_alu instid0(SALU_CYCLE_1)
	s_mov_b32 s0, exec_lo
	v_cmpx_gt_u64_e64 s[2:3], v[3:4]
	s_cbranch_execnz .LBB11_22
.LBB11_18:                              ;   in Loop: Header=BB11_9 Depth=1
	s_or_b32 exec_lo, exec_lo, s0
	s_delay_alu instid0(SALU_CYCLE_1)
	s_mov_b32 s0, exec_lo
	v_cmpx_gt_u64_e64 s[2:3], v[5:6]
	s_cbranch_execnz .LBB11_23
.LBB11_19:                              ;   in Loop: Header=BB11_9 Depth=1
	s_or_b32 exec_lo, exec_lo, s0
	s_delay_alu instid0(SALU_CYCLE_1)
	s_mov_b32 s0, exec_lo
	v_cmpx_gt_u64_e64 s[2:3], v[7:8]
	s_cbranch_execz .LBB11_8
	s_branch .LBB11_24
.LBB11_20:                              ;   in Loop: Header=BB11_9 Depth=1
	v_add_co_u32 v41, vcc_lo, v15, s6
	v_add_co_ci_u32_e32 v42, vcc_lo, s7, v16, vcc_lo
	v_add_co_u32 v43, vcc_lo, v17, s6
	v_add_co_ci_u32_e32 v44, vcc_lo, s7, v18, vcc_lo
	global_load_u8 v41, v[41:42], off
	global_load_u8 v42, v[43:44], off
	s_waitcnt vmcnt(1)
	v_lshl_or_b32 v40, v41, 24, v40
	s_waitcnt vmcnt(0)
	v_lshl_or_b32 v39, v42, 24, v39
	s_or_b32 exec_lo, exec_lo, s0
	s_delay_alu instid0(SALU_CYCLE_1)
	s_mov_b32 s0, exec_lo
	v_cmpx_gt_u64_e64 s[2:3], v[1:2]
	s_cbranch_execz .LBB11_17
.LBB11_21:                              ;   in Loop: Header=BB11_9 Depth=1
	v_add_co_u32 v1, vcc_lo, v13, s6
	s_waitcnt vmcnt(0)
	v_mad_u16 v41, s8, v39, v40
	v_add_co_ci_u32_e32 v2, vcc_lo, s7, v14, vcc_lo
	global_store_b8 v[1:2], v41, off
	s_or_b32 exec_lo, exec_lo, s0
	s_delay_alu instid0(SALU_CYCLE_1)
	s_mov_b32 s0, exec_lo
	v_cmpx_gt_u64_e64 s[2:3], v[3:4]
	s_cbranch_execz .LBB11_18
.LBB11_22:                              ;   in Loop: Header=BB11_9 Depth=1
	s_waitcnt vmcnt(1)
	v_lshrrev_b32_e32 v1, 8, v40
	s_waitcnt vmcnt(0)
	v_lshrrev_b32_e32 v2, 8, v39
	s_delay_alu instid0(VALU_DEP_1) | instskip(SKIP_4) | instid1(SALU_CYCLE_1)
	v_mad_u16 v3, s8, v2, v1
	v_add_co_u32 v1, vcc_lo, v35, s6
	v_add_co_ci_u32_e32 v2, vcc_lo, s7, v36, vcc_lo
	global_store_b8 v[1:2], v3, off
	s_or_b32 exec_lo, exec_lo, s0
	s_mov_b32 s0, exec_lo
	v_cmpx_gt_u64_e64 s[2:3], v[5:6]
	s_cbranch_execz .LBB11_19
.LBB11_23:                              ;   in Loop: Header=BB11_9 Depth=1
	s_waitcnt vmcnt(1)
	v_lshrrev_b32_e32 v1, 16, v40
	s_waitcnt vmcnt(0)
	v_lshrrev_b32_e32 v2, 16, v39
	s_delay_alu instid0(VALU_DEP_1) | instskip(SKIP_4) | instid1(SALU_CYCLE_1)
	v_mad_u16 v3, s8, v2, v1
	v_add_co_u32 v1, vcc_lo, v27, s6
	v_add_co_ci_u32_e32 v2, vcc_lo, s7, v28, vcc_lo
	global_store_b8 v[1:2], v3, off
	s_or_b32 exec_lo, exec_lo, s0
	s_mov_b32 s0, exec_lo
	v_cmpx_gt_u64_e64 s[2:3], v[7:8]
	s_cbranch_execz .LBB11_8
.LBB11_24:                              ;   in Loop: Header=BB11_9 Depth=1
	s_waitcnt vmcnt(1)
	v_lshrrev_b32_e32 v1, 24, v40
	s_waitcnt vmcnt(0)
	v_lshrrev_b32_e32 v2, 24, v39
	s_delay_alu instid0(VALU_DEP_1)
	v_mad_u16 v3, s8, v2, v1
	v_add_co_u32 v1, vcc_lo, v19, s6
	v_add_co_ci_u32_e32 v2, vcc_lo, s7, v20, vcc_lo
	global_store_b8 v[1:2], v3, off
	s_branch .LBB11_8
.LBB11_25:
	s_nop 0
	s_sendmsg sendmsg(MSG_DEALLOC_VGPRS)
	s_endpgm
	.section	.rodata,"a",@progbits
	.p2align	6, 0x0
	.amdhsa_kernel _ZN2at6native12_GLOBAL__N_125multi_tensor_apply_kernelINS1_18TensorListMetadataILi4EEENS1_32PointwiseOpScalar0dTensorFunctorIhLi4ELi2ELi3EEEJSt10multipliesIhEhEEEvT_T0_DpT1_
		.amdhsa_group_segment_fixed_size 0
		.amdhsa_private_segment_fixed_size 0
		.amdhsa_kernarg_size 3312
		.amdhsa_user_sgpr_count 15
		.amdhsa_user_sgpr_dispatch_ptr 0
		.amdhsa_user_sgpr_queue_ptr 0
		.amdhsa_user_sgpr_kernarg_segment_ptr 1
		.amdhsa_user_sgpr_dispatch_id 0
		.amdhsa_user_sgpr_private_segment_size 0
		.amdhsa_wavefront_size32 1
		.amdhsa_uses_dynamic_stack 0
		.amdhsa_enable_private_segment 0
		.amdhsa_system_sgpr_workgroup_id_x 1
		.amdhsa_system_sgpr_workgroup_id_y 0
		.amdhsa_system_sgpr_workgroup_id_z 0
		.amdhsa_system_sgpr_workgroup_info 0
		.amdhsa_system_vgpr_workitem_id 0
		.amdhsa_next_free_vgpr 45
		.amdhsa_next_free_sgpr 26
		.amdhsa_reserve_vcc 1
		.amdhsa_float_round_mode_32 0
		.amdhsa_float_round_mode_16_64 0
		.amdhsa_float_denorm_mode_32 3
		.amdhsa_float_denorm_mode_16_64 3
		.amdhsa_dx10_clamp 1
		.amdhsa_ieee_mode 1
		.amdhsa_fp16_overflow 0
		.amdhsa_workgroup_processor_mode 1
		.amdhsa_memory_ordered 1
		.amdhsa_forward_progress 0
		.amdhsa_shared_vgpr_count 0
		.amdhsa_exception_fp_ieee_invalid_op 0
		.amdhsa_exception_fp_denorm_src 0
		.amdhsa_exception_fp_ieee_div_zero 0
		.amdhsa_exception_fp_ieee_overflow 0
		.amdhsa_exception_fp_ieee_underflow 0
		.amdhsa_exception_fp_ieee_inexact 0
		.amdhsa_exception_int_div_zero 0
	.end_amdhsa_kernel
	.section	.text._ZN2at6native12_GLOBAL__N_125multi_tensor_apply_kernelINS1_18TensorListMetadataILi4EEENS1_32PointwiseOpScalar0dTensorFunctorIhLi4ELi2ELi3EEEJSt10multipliesIhEhEEEvT_T0_DpT1_,"axG",@progbits,_ZN2at6native12_GLOBAL__N_125multi_tensor_apply_kernelINS1_18TensorListMetadataILi4EEENS1_32PointwiseOpScalar0dTensorFunctorIhLi4ELi2ELi3EEEJSt10multipliesIhEhEEEvT_T0_DpT1_,comdat
.Lfunc_end11:
	.size	_ZN2at6native12_GLOBAL__N_125multi_tensor_apply_kernelINS1_18TensorListMetadataILi4EEENS1_32PointwiseOpScalar0dTensorFunctorIhLi4ELi2ELi3EEEJSt10multipliesIhEhEEEvT_T0_DpT1_, .Lfunc_end11-_ZN2at6native12_GLOBAL__N_125multi_tensor_apply_kernelINS1_18TensorListMetadataILi4EEENS1_32PointwiseOpScalar0dTensorFunctorIhLi4ELi2ELi3EEEJSt10multipliesIhEhEEEvT_T0_DpT1_
                                        ; -- End function
	.section	.AMDGPU.csdata,"",@progbits
; Kernel info:
; codeLenInByte = 1904
; NumSgprs: 28
; NumVgprs: 45
; ScratchSize: 0
; MemoryBound: 0
; FloatMode: 240
; IeeeMode: 1
; LDSByteSize: 0 bytes/workgroup (compile time only)
; SGPRBlocks: 3
; VGPRBlocks: 5
; NumSGPRsForWavesPerEU: 28
; NumVGPRsForWavesPerEU: 45
; Occupancy: 16
; WaveLimiterHint : 0
; COMPUTE_PGM_RSRC2:SCRATCH_EN: 0
; COMPUTE_PGM_RSRC2:USER_SGPR: 15
; COMPUTE_PGM_RSRC2:TRAP_HANDLER: 0
; COMPUTE_PGM_RSRC2:TGID_X_EN: 1
; COMPUTE_PGM_RSRC2:TGID_Y_EN: 0
; COMPUTE_PGM_RSRC2:TGID_Z_EN: 0
; COMPUTE_PGM_RSRC2:TIDIG_COMP_CNT: 0
	.section	.text._ZN2at6native12_GLOBAL__N_125multi_tensor_apply_kernelINS1_18TensorListMetadataILi4EEENS1_32PointwiseOpScalar0dTensorFunctorIaLi4ELi2ELi3EEEJSt10multipliesIaEaEEEvT_T0_DpT1_,"axG",@progbits,_ZN2at6native12_GLOBAL__N_125multi_tensor_apply_kernelINS1_18TensorListMetadataILi4EEENS1_32PointwiseOpScalar0dTensorFunctorIaLi4ELi2ELi3EEEJSt10multipliesIaEaEEEvT_T0_DpT1_,comdat
	.globl	_ZN2at6native12_GLOBAL__N_125multi_tensor_apply_kernelINS1_18TensorListMetadataILi4EEENS1_32PointwiseOpScalar0dTensorFunctorIaLi4ELi2ELi3EEEJSt10multipliesIaEaEEEvT_T0_DpT1_ ; -- Begin function _ZN2at6native12_GLOBAL__N_125multi_tensor_apply_kernelINS1_18TensorListMetadataILi4EEENS1_32PointwiseOpScalar0dTensorFunctorIaLi4ELi2ELi3EEEJSt10multipliesIaEaEEEvT_T0_DpT1_
	.p2align	8
	.type	_ZN2at6native12_GLOBAL__N_125multi_tensor_apply_kernelINS1_18TensorListMetadataILi4EEENS1_32PointwiseOpScalar0dTensorFunctorIaLi4ELi2ELi3EEEJSt10multipliesIaEaEEEvT_T0_DpT1_,@function
_ZN2at6native12_GLOBAL__N_125multi_tensor_apply_kernelINS1_18TensorListMetadataILi4EEENS1_32PointwiseOpScalar0dTensorFunctorIaLi4ELi2ELi3EEEJSt10multipliesIaEaEEEvT_T0_DpT1_: ; @_ZN2at6native12_GLOBAL__N_125multi_tensor_apply_kernelINS1_18TensorListMetadataILi4EEENS1_32PointwiseOpScalar0dTensorFunctorIaLi4ELi2ELi3EEEJSt10multipliesIaEaEEEvT_T0_DpT1_
; %bb.0:
	v_dual_mov_b32 v1, s15 :: v_dual_mov_b32 v2, 0
	s_mul_i32 s4, s15, 3
	s_mul_hi_u32 s7, s15, 3
	s_mov_b32 s25, 0
	global_load_u8 v1, v1, s[0:1] offset:1440
	s_load_b32 s2, s[0:1], 0xbe8
	s_waitcnt lgkmcnt(0)
	s_lshr_b32 s3, s2, 16
	s_add_u32 s2, s0, s15
	s_addc_u32 s5, s1, 0
	s_add_u32 s4, s2, s4
	s_addc_u32 s5, s5, s7
	s_waitcnt vmcnt(0)
	v_readfirstlane_b32 s6, v1
	s_delay_alu instid0(VALU_DEP_1)
	s_lshl_b32 s2, s6, 3
	s_clause 0x2
	s_load_b64 s[16:17], s[0:1], s2 offset:0x120
	s_load_b64 s[6:7], s[0:1], s2 offset:0x240
	;; [unrolled: 1-line block ×3, first 2 shown]
	s_waitcnt lgkmcnt(0)
	global_load_u8 v1, v2, s[16:17]
	s_clause 0x2
	s_load_b32 s4, s[4:5], 0x6e0
	s_load_b64 s[10:11], s[0:1], s2 offset:0x0
	s_load_b64 s[22:23], s[0:1], s2 offset:0x480
	s_waitcnt lgkmcnt(0)
	s_ashr_i32 s5, s4, 31
	s_delay_alu instid0(SALU_CYCLE_1) | instskip(NEXT) | instid1(SALU_CYCLE_1)
	s_lshl_b64 s[12:13], s[4:5], 16
	s_add_u32 s14, s10, s12
	s_addc_u32 s15, s11, s13
	s_add_u32 s2, s16, s12
	s_delay_alu instid0(SALU_CYCLE_1) | instskip(NEXT) | instid1(SALU_CYCLE_1)
	s_and_b32 s24, s2, 3
	s_cmp_lg_u64 s[24:25], 0
	s_cselect_b32 s2, -1, 0
	s_add_u32 s16, s6, s12
	s_addc_u32 s17, s7, s13
	s_add_u32 s19, s8, s12
	s_addc_u32 s20, s9, s13
	s_or_b32 s4, s19, s16
	s_delay_alu instid0(SALU_CYCLE_1) | instskip(NEXT) | instid1(SALU_CYCLE_1)
	s_and_b32 s4, s4, 3
	s_cmp_lg_u32 s4, 0
	s_cselect_b32 s4, -1, 0
	s_delay_alu instid0(SALU_CYCLE_1) | instskip(SKIP_3) | instid1(SALU_CYCLE_1)
	s_or_b32 s2, s4, s2
	s_sub_u32 s4, s22, s12
	s_subb_u32 s5, s23, s13
	s_or_b64 s[22:23], s[22:23], s[14:15]
	s_and_b32 s24, s22, 3
	s_delay_alu instid0(SALU_CYCLE_1) | instskip(SKIP_1) | instid1(SALU_CYCLE_1)
	s_cmp_lg_u64 s[24:25], 0
	s_cselect_b32 s18, -1, 0
	s_or_b32 s2, s2, s18
	s_delay_alu instid0(SALU_CYCLE_1)
	s_and_not1_b32 vcc_lo, exec_lo, s2
	s_mov_b32 s2, -1
	s_waitcnt vmcnt(0)
	v_readfirstlane_b32 s18, v1
	s_cbranch_vccz .LBB12_5
; %bb.1:
	v_lshlrev_b32_e32 v1, 2, v0
	s_mov_b32 s21, exec_lo
	s_delay_alu instid0(VALU_DEP_1)
	v_cmpx_gt_i64_e64 s[4:5], v[1:2]
	s_cbranch_execz .LBB12_4
; %bb.2:
	s_load_b32 s2, s[0:1], 0xbfc
	s_and_b32 s22, s18, 0xff
	s_and_b32 s23, s3, 0xff
	s_mov_b32 s24, 0
	s_mul_i32 s22, s22, s23
	s_waitcnt lgkmcnt(0)
	s_and_b32 s2, s2, 0xffff
	s_delay_alu instid0(SALU_CYCLE_1)
	s_lshl_b32 s23, s2, 2
.LBB12_3:                               ; =>This Inner Loop Header: Depth=1
	v_add_co_u32 v3, vcc_lo, s14, v1
	v_add_co_ci_u32_e32 v4, vcc_lo, s15, v2, vcc_lo
	v_add_co_u32 v5, vcc_lo, s16, v1
	v_add_co_ci_u32_e32 v6, vcc_lo, s17, v2, vcc_lo
	global_load_b32 v7, v[3:4], off
	global_load_b32 v5, v[5:6], off
	v_add_co_u32 v3, vcc_lo, s19, v1
	v_add_co_ci_u32_e32 v4, vcc_lo, s20, v2, vcc_lo
	v_add_co_u32 v1, vcc_lo, s23, v1
	v_add_co_ci_u32_e32 v2, vcc_lo, 0, v2, vcc_lo
	s_delay_alu instid0(VALU_DEP_1) | instskip(SKIP_1) | instid1(VALU_DEP_1)
	v_cmp_le_i64_e32 vcc_lo, s[4:5], v[1:2]
	v_cmp_lt_u64_e64 s2, 0xffff, v[1:2]
	s_or_b32 s2, vcc_lo, s2
	s_delay_alu instid0(SALU_CYCLE_1) | instskip(NEXT) | instid1(SALU_CYCLE_1)
	s_and_b32 s2, exec_lo, s2
	s_or_b32 s24, s2, s24
	s_waitcnt vmcnt(1)
	v_lshrrev_b32_e32 v6, 8, v7
	s_waitcnt vmcnt(0)
	v_lshrrev_b32_e32 v8, 8, v5
	v_lshrrev_b32_e32 v9, 16, v7
	;; [unrolled: 1-line block ×5, first 2 shown]
	v_mad_u16 v6, s22, v8, v6
	v_mad_u16 v5, s22, v5, v7
	;; [unrolled: 1-line block ×3, first 2 shown]
	s_delay_alu instid0(VALU_DEP_4) | instskip(NEXT) | instid1(VALU_DEP_4)
	v_mad_u16 v7, s22, v12, v11
	v_and_b32_e32 v6, 0xff, v6
	s_delay_alu instid0(VALU_DEP_3) | instskip(NEXT) | instid1(VALU_DEP_3)
	v_and_b32_e32 v8, 0xff, v8
	v_lshlrev_b32_e32 v7, 24, v7
	s_delay_alu instid0(VALU_DEP_3) | instskip(NEXT) | instid1(VALU_DEP_3)
	v_perm_b32 v5, v6, v5, 0x6050400
	v_lshlrev_b32_e32 v6, 16, v8
	s_delay_alu instid0(VALU_DEP_1)
	v_or3_b32 v5, v5, v6, v7
	global_store_b32 v[3:4], v5, off
	s_and_not1_b32 exec_lo, exec_lo, s24
	s_cbranch_execnz .LBB12_3
.LBB12_4:
	s_or_b32 exec_lo, exec_lo, s21
	s_mov_b32 s2, 0
.LBB12_5:
	s_delay_alu instid0(SALU_CYCLE_1)
	s_and_not1_b32 vcc_lo, exec_lo, s2
	s_cbranch_vccnz .LBB12_25
; %bb.6:
	v_cmp_lt_i64_e64 s2, s[4:5], 1
	s_delay_alu instid0(VALU_DEP_1)
	s_and_b32 vcc_lo, exec_lo, s2
	s_cbranch_vccnz .LBB12_25
; %bb.7:
	s_load_b32 s0, s[0:1], 0xbfc
	v_add_co_u32 v1, s1, s12, v0
	s_delay_alu instid0(VALU_DEP_1)
	v_add_co_ci_u32_e64 v2, null, s13, 0, s1
	v_cmp_gt_u64_e64 s1, 0x10000, s[4:5]
	s_and_b32 s14, s18, 0xff
	s_and_b32 s15, s3, 0xff
	v_add_co_u32 v9, vcc_lo, s10, v1
	v_add_co_ci_u32_e32 v10, vcc_lo, s11, v2, vcc_lo
	v_add_co_u32 v11, vcc_lo, s6, v1
	v_add_co_ci_u32_e32 v12, vcc_lo, s7, v2, vcc_lo
	;; [unrolled: 2-line block ×3, first 2 shown]
	s_waitcnt lgkmcnt(0)
	s_and_b32 s0, s0, 0xffff
	s_and_b32 s1, s1, exec_lo
	s_mul_i32 s17, s0, 3
	s_cselect_b32 s3, s5, 0
	s_cselect_b32 s2, s4, 0x10000
	s_lshl_b32 s16, s0, 1
	s_lshl_b32 s1, s0, 2
	s_add_u32 s18, s12, s17
	s_addc_u32 s19, s13, 0
	v_add_co_u32 v3, s18, s18, v0
	s_delay_alu instid0(VALU_DEP_1) | instskip(SKIP_1) | instid1(VALU_DEP_2)
	v_add_co_ci_u32_e64 v4, null, s19, 0, s18
	s_add_u32 s12, s12, s16
	v_add_co_u32 v15, vcc_lo, s10, v3
	s_delay_alu instid0(VALU_DEP_2)
	v_add_co_ci_u32_e32 v16, vcc_lo, s11, v4, vcc_lo
	v_add_co_u32 v17, vcc_lo, s6, v3
	v_add_co_ci_u32_e32 v18, vcc_lo, s7, v4, vcc_lo
	v_add_co_u32 v19, vcc_lo, s8, v3
	s_addc_u32 s13, s13, 0
	v_add_co_u32 v3, s12, s12, v0
	v_add_co_ci_u32_e32 v20, vcc_lo, s9, v4, vcc_lo
	v_add_co_ci_u32_e64 v4, null, s13, 0, s12
	s_delay_alu instid0(VALU_DEP_3) | instskip(SKIP_1) | instid1(VALU_DEP_3)
	v_add_co_u32 v23, vcc_lo, s10, v3
	v_add_co_u32 v21, s12, s17, v0
	v_add_co_ci_u32_e32 v24, vcc_lo, s11, v4, vcc_lo
	v_add_co_u32 v25, vcc_lo, s6, v3
	v_add_co_ci_u32_e32 v26, vcc_lo, s7, v4, vcc_lo
	v_add_co_u32 v27, vcc_lo, s8, v3
	;; [unrolled: 2-line block ×3, first 2 shown]
	v_add_co_ci_u32_e32 v2, vcc_lo, 0, v2, vcc_lo
	v_add_co_ci_u32_e64 v22, null, 0, 0, s12
	s_delay_alu instid0(VALU_DEP_3) | instskip(NEXT) | instid1(VALU_DEP_3)
	v_add_co_u32 v31, vcc_lo, s10, v1
	v_add_co_ci_u32_e32 v32, vcc_lo, s11, v2, vcc_lo
	v_add_co_u32 v33, vcc_lo, s6, v1
	v_add_co_ci_u32_e32 v34, vcc_lo, s7, v2, vcc_lo
	v_add_co_u32 v29, s12, s16, v0
	v_add_co_u32 v35, vcc_lo, s8, v1
	v_add_co_u32 v37, s0, v0, s0
	v_add_co_ci_u32_e64 v30, null, 0, 0, s12
	v_add_co_ci_u32_e32 v36, vcc_lo, s9, v2, vcc_lo
	v_add_co_ci_u32_e64 v38, null, 0, 0, s0
	s_mul_i32 s8, s14, s15
	s_mov_b64 s[6:7], 0
	s_branch .LBB12_9
.LBB12_8:                               ;   in Loop: Header=BB12_9 Depth=1
	s_or_b32 exec_lo, exec_lo, s0
	s_add_u32 s6, s6, s1
	s_addc_u32 s7, s7, 0
	s_delay_alu instid0(SALU_CYCLE_1) | instskip(SKIP_1) | instid1(VALU_DEP_1)
	v_cmp_ge_i64_e64 s0, s[6:7], s[4:5]
	v_cmp_lt_u64_e64 s9, 0xffff, s[6:7]
	s_or_b32 s0, s0, s9
	s_delay_alu instid0(SALU_CYCLE_1)
	s_and_b32 vcc_lo, exec_lo, s0
	s_cbranch_vccnz .LBB12_25
.LBB12_9:                               ; =>This Inner Loop Header: Depth=1
	v_add_co_u32 v1, s0, v0, s6
	s_delay_alu instid0(VALU_DEP_1) | instskip(SKIP_2) | instid1(VALU_DEP_2)
	v_add_co_ci_u32_e64 v2, null, 0, s7, s0
	s_waitcnt vmcnt(0)
	v_dual_mov_b32 v39, 0 :: v_dual_mov_b32 v40, 0
	v_cmp_gt_i64_e32 vcc_lo, s[4:5], v[1:2]
	v_cmp_gt_u64_e64 s0, 0x10000, v[1:2]
	s_delay_alu instid0(VALU_DEP_1) | instskip(NEXT) | instid1(SALU_CYCLE_1)
	s_and_b32 s9, vcc_lo, s0
	s_and_saveexec_b32 s0, s9
	s_cbranch_execz .LBB12_11
; %bb.10:                               ;   in Loop: Header=BB12_9 Depth=1
	v_add_co_u32 v3, vcc_lo, v9, s6
	v_add_co_ci_u32_e32 v4, vcc_lo, s7, v10, vcc_lo
	v_add_co_u32 v5, vcc_lo, v11, s6
	v_add_co_ci_u32_e32 v6, vcc_lo, s7, v12, vcc_lo
	global_load_u8 v40, v[3:4], off
	global_load_u8 v39, v[5:6], off
.LBB12_11:                              ;   in Loop: Header=BB12_9 Depth=1
	s_or_b32 exec_lo, exec_lo, s0
	v_add_co_u32 v3, vcc_lo, v37, s6
	v_add_co_ci_u32_e32 v4, vcc_lo, s7, v38, vcc_lo
	s_delay_alu instid0(VALU_DEP_1) | instskip(SKIP_1) | instid1(VALU_DEP_1)
	v_cmp_gt_i64_e32 vcc_lo, s[4:5], v[3:4]
	v_cmp_gt_u64_e64 s0, 0x10000, v[3:4]
	s_and_b32 s9, vcc_lo, s0
	s_delay_alu instid0(SALU_CYCLE_1)
	s_and_saveexec_b32 s0, s9
	s_cbranch_execz .LBB12_13
; %bb.12:                               ;   in Loop: Header=BB12_9 Depth=1
	v_add_co_u32 v5, vcc_lo, v31, s6
	v_add_co_ci_u32_e32 v6, vcc_lo, s7, v32, vcc_lo
	v_add_co_u32 v7, vcc_lo, v33, s6
	v_add_co_ci_u32_e32 v8, vcc_lo, s7, v34, vcc_lo
	global_load_u8 v5, v[5:6], off
	global_load_u8 v6, v[7:8], off
	s_waitcnt vmcnt(1)
	v_lshl_or_b32 v40, v5, 8, v40
	s_waitcnt vmcnt(0)
	v_lshl_or_b32 v39, v6, 8, v39
.LBB12_13:                              ;   in Loop: Header=BB12_9 Depth=1
	s_or_b32 exec_lo, exec_lo, s0
	v_add_co_u32 v5, vcc_lo, v29, s6
	v_add_co_ci_u32_e32 v6, vcc_lo, s7, v30, vcc_lo
	s_delay_alu instid0(VALU_DEP_1) | instskip(SKIP_1) | instid1(VALU_DEP_1)
	v_cmp_gt_i64_e32 vcc_lo, s[4:5], v[5:6]
	v_cmp_gt_u64_e64 s0, 0x10000, v[5:6]
	s_and_b32 s9, vcc_lo, s0
	s_delay_alu instid0(SALU_CYCLE_1)
	s_and_saveexec_b32 s0, s9
	s_cbranch_execz .LBB12_15
; %bb.14:                               ;   in Loop: Header=BB12_9 Depth=1
	v_add_co_u32 v7, vcc_lo, v23, s6
	v_add_co_ci_u32_e32 v8, vcc_lo, s7, v24, vcc_lo
	v_add_co_u32 v41, vcc_lo, v25, s6
	v_add_co_ci_u32_e32 v42, vcc_lo, s7, v26, vcc_lo
	global_load_u8 v7, v[7:8], off
	global_load_u8 v8, v[41:42], off
	s_waitcnt vmcnt(1)
	v_lshl_or_b32 v40, v7, 16, v40
	s_waitcnt vmcnt(0)
	v_lshl_or_b32 v39, v8, 16, v39
.LBB12_15:                              ;   in Loop: Header=BB12_9 Depth=1
	s_or_b32 exec_lo, exec_lo, s0
	v_add_co_u32 v7, vcc_lo, v21, s6
	v_add_co_ci_u32_e32 v8, vcc_lo, s7, v22, vcc_lo
	s_delay_alu instid0(VALU_DEP_1) | instskip(SKIP_1) | instid1(VALU_DEP_1)
	v_cmp_gt_i64_e32 vcc_lo, s[4:5], v[7:8]
	v_cmp_gt_u64_e64 s0, 0x10000, v[7:8]
	s_and_b32 s9, vcc_lo, s0
	s_delay_alu instid0(SALU_CYCLE_1)
	s_and_saveexec_b32 s0, s9
	s_cbranch_execnz .LBB12_20
; %bb.16:                               ;   in Loop: Header=BB12_9 Depth=1
	s_or_b32 exec_lo, exec_lo, s0
	s_delay_alu instid0(SALU_CYCLE_1)
	s_mov_b32 s0, exec_lo
	v_cmpx_gt_u64_e64 s[2:3], v[1:2]
	s_cbranch_execnz .LBB12_21
.LBB12_17:                              ;   in Loop: Header=BB12_9 Depth=1
	s_or_b32 exec_lo, exec_lo, s0
	s_delay_alu instid0(SALU_CYCLE_1)
	s_mov_b32 s0, exec_lo
	v_cmpx_gt_u64_e64 s[2:3], v[3:4]
	s_cbranch_execnz .LBB12_22
.LBB12_18:                              ;   in Loop: Header=BB12_9 Depth=1
	s_or_b32 exec_lo, exec_lo, s0
	s_delay_alu instid0(SALU_CYCLE_1)
	s_mov_b32 s0, exec_lo
	v_cmpx_gt_u64_e64 s[2:3], v[5:6]
	s_cbranch_execnz .LBB12_23
.LBB12_19:                              ;   in Loop: Header=BB12_9 Depth=1
	s_or_b32 exec_lo, exec_lo, s0
	s_delay_alu instid0(SALU_CYCLE_1)
	s_mov_b32 s0, exec_lo
	v_cmpx_gt_u64_e64 s[2:3], v[7:8]
	s_cbranch_execz .LBB12_8
	s_branch .LBB12_24
.LBB12_20:                              ;   in Loop: Header=BB12_9 Depth=1
	v_add_co_u32 v41, vcc_lo, v15, s6
	v_add_co_ci_u32_e32 v42, vcc_lo, s7, v16, vcc_lo
	v_add_co_u32 v43, vcc_lo, v17, s6
	v_add_co_ci_u32_e32 v44, vcc_lo, s7, v18, vcc_lo
	global_load_u8 v41, v[41:42], off
	global_load_u8 v42, v[43:44], off
	s_waitcnt vmcnt(1)
	v_lshl_or_b32 v40, v41, 24, v40
	s_waitcnt vmcnt(0)
	v_lshl_or_b32 v39, v42, 24, v39
	s_or_b32 exec_lo, exec_lo, s0
	s_delay_alu instid0(SALU_CYCLE_1)
	s_mov_b32 s0, exec_lo
	v_cmpx_gt_u64_e64 s[2:3], v[1:2]
	s_cbranch_execz .LBB12_17
.LBB12_21:                              ;   in Loop: Header=BB12_9 Depth=1
	v_add_co_u32 v1, vcc_lo, v13, s6
	s_waitcnt vmcnt(0)
	v_mad_u16 v41, s8, v39, v40
	v_add_co_ci_u32_e32 v2, vcc_lo, s7, v14, vcc_lo
	global_store_b8 v[1:2], v41, off
	s_or_b32 exec_lo, exec_lo, s0
	s_delay_alu instid0(SALU_CYCLE_1)
	s_mov_b32 s0, exec_lo
	v_cmpx_gt_u64_e64 s[2:3], v[3:4]
	s_cbranch_execz .LBB12_18
.LBB12_22:                              ;   in Loop: Header=BB12_9 Depth=1
	s_waitcnt vmcnt(1)
	v_lshrrev_b32_e32 v1, 8, v40
	s_waitcnt vmcnt(0)
	v_lshrrev_b32_e32 v2, 8, v39
	s_delay_alu instid0(VALU_DEP_1) | instskip(SKIP_4) | instid1(SALU_CYCLE_1)
	v_mad_u16 v3, s8, v2, v1
	v_add_co_u32 v1, vcc_lo, v35, s6
	v_add_co_ci_u32_e32 v2, vcc_lo, s7, v36, vcc_lo
	global_store_b8 v[1:2], v3, off
	s_or_b32 exec_lo, exec_lo, s0
	s_mov_b32 s0, exec_lo
	v_cmpx_gt_u64_e64 s[2:3], v[5:6]
	s_cbranch_execz .LBB12_19
.LBB12_23:                              ;   in Loop: Header=BB12_9 Depth=1
	s_waitcnt vmcnt(1)
	v_lshrrev_b32_e32 v1, 16, v40
	s_waitcnt vmcnt(0)
	v_lshrrev_b32_e32 v2, 16, v39
	s_delay_alu instid0(VALU_DEP_1) | instskip(SKIP_4) | instid1(SALU_CYCLE_1)
	v_mad_u16 v3, s8, v2, v1
	v_add_co_u32 v1, vcc_lo, v27, s6
	v_add_co_ci_u32_e32 v2, vcc_lo, s7, v28, vcc_lo
	global_store_b8 v[1:2], v3, off
	s_or_b32 exec_lo, exec_lo, s0
	s_mov_b32 s0, exec_lo
	v_cmpx_gt_u64_e64 s[2:3], v[7:8]
	s_cbranch_execz .LBB12_8
.LBB12_24:                              ;   in Loop: Header=BB12_9 Depth=1
	s_waitcnt vmcnt(1)
	v_lshrrev_b32_e32 v1, 24, v40
	s_waitcnt vmcnt(0)
	v_lshrrev_b32_e32 v2, 24, v39
	s_delay_alu instid0(VALU_DEP_1)
	v_mad_u16 v3, s8, v2, v1
	v_add_co_u32 v1, vcc_lo, v19, s6
	v_add_co_ci_u32_e32 v2, vcc_lo, s7, v20, vcc_lo
	global_store_b8 v[1:2], v3, off
	s_branch .LBB12_8
.LBB12_25:
	s_nop 0
	s_sendmsg sendmsg(MSG_DEALLOC_VGPRS)
	s_endpgm
	.section	.rodata,"a",@progbits
	.p2align	6, 0x0
	.amdhsa_kernel _ZN2at6native12_GLOBAL__N_125multi_tensor_apply_kernelINS1_18TensorListMetadataILi4EEENS1_32PointwiseOpScalar0dTensorFunctorIaLi4ELi2ELi3EEEJSt10multipliesIaEaEEEvT_T0_DpT1_
		.amdhsa_group_segment_fixed_size 0
		.amdhsa_private_segment_fixed_size 0
		.amdhsa_kernarg_size 3312
		.amdhsa_user_sgpr_count 15
		.amdhsa_user_sgpr_dispatch_ptr 0
		.amdhsa_user_sgpr_queue_ptr 0
		.amdhsa_user_sgpr_kernarg_segment_ptr 1
		.amdhsa_user_sgpr_dispatch_id 0
		.amdhsa_user_sgpr_private_segment_size 0
		.amdhsa_wavefront_size32 1
		.amdhsa_uses_dynamic_stack 0
		.amdhsa_enable_private_segment 0
		.amdhsa_system_sgpr_workgroup_id_x 1
		.amdhsa_system_sgpr_workgroup_id_y 0
		.amdhsa_system_sgpr_workgroup_id_z 0
		.amdhsa_system_sgpr_workgroup_info 0
		.amdhsa_system_vgpr_workitem_id 0
		.amdhsa_next_free_vgpr 45
		.amdhsa_next_free_sgpr 26
		.amdhsa_reserve_vcc 1
		.amdhsa_float_round_mode_32 0
		.amdhsa_float_round_mode_16_64 0
		.amdhsa_float_denorm_mode_32 3
		.amdhsa_float_denorm_mode_16_64 3
		.amdhsa_dx10_clamp 1
		.amdhsa_ieee_mode 1
		.amdhsa_fp16_overflow 0
		.amdhsa_workgroup_processor_mode 1
		.amdhsa_memory_ordered 1
		.amdhsa_forward_progress 0
		.amdhsa_shared_vgpr_count 0
		.amdhsa_exception_fp_ieee_invalid_op 0
		.amdhsa_exception_fp_denorm_src 0
		.amdhsa_exception_fp_ieee_div_zero 0
		.amdhsa_exception_fp_ieee_overflow 0
		.amdhsa_exception_fp_ieee_underflow 0
		.amdhsa_exception_fp_ieee_inexact 0
		.amdhsa_exception_int_div_zero 0
	.end_amdhsa_kernel
	.section	.text._ZN2at6native12_GLOBAL__N_125multi_tensor_apply_kernelINS1_18TensorListMetadataILi4EEENS1_32PointwiseOpScalar0dTensorFunctorIaLi4ELi2ELi3EEEJSt10multipliesIaEaEEEvT_T0_DpT1_,"axG",@progbits,_ZN2at6native12_GLOBAL__N_125multi_tensor_apply_kernelINS1_18TensorListMetadataILi4EEENS1_32PointwiseOpScalar0dTensorFunctorIaLi4ELi2ELi3EEEJSt10multipliesIaEaEEEvT_T0_DpT1_,comdat
.Lfunc_end12:
	.size	_ZN2at6native12_GLOBAL__N_125multi_tensor_apply_kernelINS1_18TensorListMetadataILi4EEENS1_32PointwiseOpScalar0dTensorFunctorIaLi4ELi2ELi3EEEJSt10multipliesIaEaEEEvT_T0_DpT1_, .Lfunc_end12-_ZN2at6native12_GLOBAL__N_125multi_tensor_apply_kernelINS1_18TensorListMetadataILi4EEENS1_32PointwiseOpScalar0dTensorFunctorIaLi4ELi2ELi3EEEJSt10multipliesIaEaEEEvT_T0_DpT1_
                                        ; -- End function
	.section	.AMDGPU.csdata,"",@progbits
; Kernel info:
; codeLenInByte = 1904
; NumSgprs: 28
; NumVgprs: 45
; ScratchSize: 0
; MemoryBound: 0
; FloatMode: 240
; IeeeMode: 1
; LDSByteSize: 0 bytes/workgroup (compile time only)
; SGPRBlocks: 3
; VGPRBlocks: 5
; NumSGPRsForWavesPerEU: 28
; NumVGPRsForWavesPerEU: 45
; Occupancy: 16
; WaveLimiterHint : 0
; COMPUTE_PGM_RSRC2:SCRATCH_EN: 0
; COMPUTE_PGM_RSRC2:USER_SGPR: 15
; COMPUTE_PGM_RSRC2:TRAP_HANDLER: 0
; COMPUTE_PGM_RSRC2:TGID_X_EN: 1
; COMPUTE_PGM_RSRC2:TGID_Y_EN: 0
; COMPUTE_PGM_RSRC2:TGID_Z_EN: 0
; COMPUTE_PGM_RSRC2:TIDIG_COMP_CNT: 0
	.section	.text._ZN2at6native12_GLOBAL__N_125multi_tensor_apply_kernelINS1_18TensorListMetadataILi4EEENS1_32PointwiseOpScalar0dTensorFunctorIiLi4ELi2ELi3EEEJSt10multipliesIiEiEEEvT_T0_DpT1_,"axG",@progbits,_ZN2at6native12_GLOBAL__N_125multi_tensor_apply_kernelINS1_18TensorListMetadataILi4EEENS1_32PointwiseOpScalar0dTensorFunctorIiLi4ELi2ELi3EEEJSt10multipliesIiEiEEEvT_T0_DpT1_,comdat
	.globl	_ZN2at6native12_GLOBAL__N_125multi_tensor_apply_kernelINS1_18TensorListMetadataILi4EEENS1_32PointwiseOpScalar0dTensorFunctorIiLi4ELi2ELi3EEEJSt10multipliesIiEiEEEvT_T0_DpT1_ ; -- Begin function _ZN2at6native12_GLOBAL__N_125multi_tensor_apply_kernelINS1_18TensorListMetadataILi4EEENS1_32PointwiseOpScalar0dTensorFunctorIiLi4ELi2ELi3EEEJSt10multipliesIiEiEEEvT_T0_DpT1_
	.p2align	8
	.type	_ZN2at6native12_GLOBAL__N_125multi_tensor_apply_kernelINS1_18TensorListMetadataILi4EEENS1_32PointwiseOpScalar0dTensorFunctorIiLi4ELi2ELi3EEEJSt10multipliesIiEiEEEvT_T0_DpT1_,@function
_ZN2at6native12_GLOBAL__N_125multi_tensor_apply_kernelINS1_18TensorListMetadataILi4EEENS1_32PointwiseOpScalar0dTensorFunctorIiLi4ELi2ELi3EEEJSt10multipliesIiEiEEEvT_T0_DpT1_: ; @_ZN2at6native12_GLOBAL__N_125multi_tensor_apply_kernelINS1_18TensorListMetadataILi4EEENS1_32PointwiseOpScalar0dTensorFunctorIiLi4ELi2ELi3EEEJSt10multipliesIiEiEEEvT_T0_DpT1_
; %bb.0:
	v_mov_b32_e32 v1, s15
	s_add_u32 s2, s0, s15
	s_mul_hi_u32 s3, s15, 3
	s_mul_i32 s15, s15, 3
	s_addc_u32 s4, s1, 0
	global_load_u8 v1, v1, s[0:1] offset:1440
	s_load_b32 s8, s[0:1], 0xbec
	s_add_u32 s2, s2, s15
	s_addc_u32 s3, s4, s3
	s_mov_b32 s25, 0
	s_load_b32 s2, s[2:3], 0x6e0
	s_mov_b32 s7, s25
	s_mov_b32 s29, s25
	s_waitcnt vmcnt(0)
	v_readfirstlane_b32 s3, v1
	s_delay_alu instid0(VALU_DEP_1)
	s_lshl_b32 s6, s3, 3
	s_waitcnt lgkmcnt(0)
	s_ashr_i32 s3, s2, 31
	s_clause 0x3
	s_load_b64 s[10:11], s[0:1], s6 offset:0x0
	s_load_b64 s[22:23], s[0:1], s6 offset:0x120
	;; [unrolled: 1-line block ×4, first 2 shown]
	s_lshl_b64 s[4:5], s[2:3], 18
	s_load_b64 s[26:27], s[0:1], s6 offset:0x480
	s_waitcnt lgkmcnt(0)
	s_add_u32 s16, s10, s4
	s_addc_u32 s17, s11, s5
	s_add_u32 s6, s22, s4
	s_and_b32 s24, s16, 15
	s_and_b32 s6, s6, 15
	s_load_b32 s9, s[22:23], 0x0
	s_cmp_lg_u64 s[6:7], 0
	s_cselect_b32 s6, -1, 0
	s_add_u32 s18, s12, s4
	s_addc_u32 s19, s13, s5
	s_add_u32 s20, s14, s4
	s_addc_u32 s21, s15, s5
	s_or_b32 s7, s20, s18
	s_delay_alu instid0(SALU_CYCLE_1) | instskip(NEXT) | instid1(SALU_CYCLE_1)
	s_and_b32 s7, s7, 15
	s_cmp_lg_u32 s7, 0
	s_cselect_b32 s7, -1, 0
	s_lshl_b64 s[2:3], s[2:3], 16
	s_or_b32 s30, s7, s6
	s_sub_u32 s6, s26, s2
	s_subb_u32 s7, s27, s3
	s_and_b32 s28, s26, 3
	s_delay_alu instid0(SALU_CYCLE_1) | instskip(NEXT) | instid1(SALU_CYCLE_1)
	s_or_b64 s[2:3], s[24:25], s[28:29]
	s_cmp_lg_u64 s[2:3], 0
	s_cselect_b32 s2, -1, 0
	s_delay_alu instid0(SALU_CYCLE_1) | instskip(NEXT) | instid1(SALU_CYCLE_1)
	s_or_b32 s2, s30, s2
	s_and_not1_b32 vcc_lo, exec_lo, s2
	s_mov_b32 s2, -1
	s_cbranch_vccz .LBB13_5
; %bb.1:
	v_dual_mov_b32 v2, 0 :: v_dual_lshlrev_b32 v1, 2, v0
	s_mov_b32 s22, exec_lo
	s_delay_alu instid0(VALU_DEP_1)
	v_cmpx_gt_i64_e64 s[6:7], v[1:2]
	s_cbranch_execz .LBB13_4
; %bb.2:
	s_load_b32 s2, s[0:1], 0xbfc
	v_lshlrev_b32_e32 v3, 4, v0
	s_waitcnt lgkmcnt(0)
	s_mul_i32 s23, s9, s8
	s_mov_b32 s24, 0
	s_and_b32 s2, s2, 0xffff
	s_delay_alu instid0(SALU_CYCLE_1)
	v_add_lshl_u32 v1, v0, s2, 2
	s_lshl_b32 s25, s2, 2
	s_lshl_b32 s26, s2, 4
	s_set_inst_prefetch_distance 0x1
	.p2align	6
.LBB13_3:                               ; =>This Inner Loop Header: Depth=1
	v_add_co_u32 v4, s2, s16, v3
	s_delay_alu instid0(VALU_DEP_1) | instskip(SKIP_1) | instid1(VALU_DEP_1)
	v_add_co_ci_u32_e64 v5, null, s17, 0, s2
	v_add_co_u32 v8, s2, s18, v3
	v_add_co_ci_u32_e64 v9, null, s19, 0, s2
	global_load_b128 v[4:7], v[4:5], off
	global_load_b128 v[8:11], v[8:9], off
	v_cmp_le_i64_e32 vcc_lo, s[6:7], v[1:2]
	v_cmp_lt_u64_e64 s2, 0xffff, v[1:2]
	v_add_co_u32 v15, s3, s20, v3
	s_delay_alu instid0(VALU_DEP_1) | instskip(SKIP_1) | instid1(VALU_DEP_4)
	v_add_co_ci_u32_e64 v16, null, s21, 0, s3
	v_add_co_u32 v1, s3, v1, s25
	s_or_b32 s2, vcc_lo, s2
	s_add_u32 s16, s16, s26
	s_addc_u32 s17, s17, 0
	s_add_u32 s20, s20, s26
	s_addc_u32 s21, s21, 0
	s_add_u32 s18, s18, s26
	v_add_co_ci_u32_e64 v2, s3, 0, v2, s3
	s_addc_u32 s19, s19, 0
	s_and_b32 s2, exec_lo, s2
	s_delay_alu instid0(SALU_CYCLE_1) | instskip(SKIP_3) | instid1(VALU_DEP_1)
	s_or_b32 s24, s2, s24
	s_waitcnt vmcnt(1)
	v_mov_b32_e32 v12, v7
	s_waitcnt vmcnt(0)
	v_mad_u64_u32 v[17:18], null, v11, s23, v[12:13]
	v_mad_u64_u32 v[11:12], null, v8, s23, v[4:5]
	;; [unrolled: 1-line block ×4, first 2 shown]
	s_delay_alu instid0(VALU_DEP_4)
	v_mov_b32_e32 v14, v17
	global_store_b128 v[15:16], v[11:14], off
	s_and_not1_b32 exec_lo, exec_lo, s24
	s_cbranch_execnz .LBB13_3
.LBB13_4:
	s_set_inst_prefetch_distance 0x2
	s_or_b32 exec_lo, exec_lo, s22
	s_mov_b32 s2, 0
.LBB13_5:
	s_delay_alu instid0(SALU_CYCLE_1)
	s_and_not1_b32 vcc_lo, exec_lo, s2
	s_cbranch_vccnz .LBB13_25
; %bb.6:
	v_cmp_lt_i64_e64 s2, s[6:7], 1
	s_delay_alu instid0(VALU_DEP_1)
	s_and_b32 vcc_lo, exec_lo, s2
	s_cbranch_vccnz .LBB13_25
; %bb.7:
	s_load_b32 s0, s[0:1], 0xbfc
	v_dual_mov_b32 v1, 0 :: v_dual_lshlrev_b32 v2, 2, v0
	v_cmp_gt_u64_e64 s2, 0x10000, s[6:7]
	s_waitcnt lgkmcnt(0)
	s_mul_i32 s1, s9, s8
	s_mov_b32 s3, 0
	v_mov_b32_e32 v3, v1
	v_add_co_u32 v12, s8, s10, v2
	s_delay_alu instid0(VALU_DEP_1) | instskip(SKIP_1) | instid1(VALU_DEP_1)
	v_add_co_ci_u32_e64 v13, null, s11, 0, s8
	v_add_co_u32 v14, s8, s12, v2
	v_add_co_ci_u32_e64 v15, null, s13, 0, s8
	s_and_b32 s16, s0, 0xffff
	v_add_co_u32 v16, s0, s14, v2
	v_mad_u64_u32 v[4:5], null, s16, 12, v[2:3]
	v_add_co_ci_u32_e64 v17, null, s15, 0, s0
	s_and_b32 s0, s2, exec_lo
	s_cselect_b32 s9, s7, 0
	s_cselect_b32 s8, s6, 0x10000
	s_lshl_b32 s0, s16, 3
	s_delay_alu instid0(VALU_DEP_2) | instskip(NEXT) | instid1(VALU_DEP_3)
	v_add_co_u32 v18, vcc_lo, s10, v4
	v_add_co_ci_u32_e32 v19, vcc_lo, s11, v5, vcc_lo
	v_add_co_u32 v20, vcc_lo, s12, v4
	v_add_co_u32 v2, s0, s0, v2
	v_add_co_ci_u32_e32 v21, vcc_lo, s13, v5, vcc_lo
	v_add_co_ci_u32_e64 v3, null, 0, 0, s0
	v_add_co_u32 v22, vcc_lo, s14, v4
	v_add_lshl_u32 v4, v0, s16, 2
	v_add_co_ci_u32_e32 v23, vcc_lo, s15, v5, vcc_lo
	v_add_co_u32 v24, vcc_lo, s10, v2
	v_add_co_ci_u32_e32 v25, vcc_lo, s11, v3, vcc_lo
	s_delay_alu instid0(VALU_DEP_4)
	v_add_co_u32 v30, s0, s10, v4
	v_add_co_u32 v26, vcc_lo, s12, v2
	v_add_co_ci_u32_e64 v31, null, s11, 0, s0
	v_add_co_u32 v32, s0, s12, v4
	v_add_co_ci_u32_e32 v27, vcc_lo, s13, v3, vcc_lo
	v_add_co_u32 v28, vcc_lo, s14, v2
	v_add_co_ci_u32_e64 v33, null, s13, 0, s0
	v_add_co_u32 v34, s0, s14, v4
	v_add_co_ci_u32_e32 v29, vcc_lo, s15, v3, vcc_lo
	v_add_co_ci_u32_e64 v35, null, s15, 0, s0
	s_lshl_b32 s2, s16, 2
	s_lshl_b32 s17, s16, 1
	s_mul_i32 s18, s16, 3
	s_lshl_b32 s12, s16, 4
	s_mov_b64 s[10:11], s[2:3]
	s_branch .LBB13_9
.LBB13_8:                               ;   in Loop: Header=BB13_9 Depth=1
	s_or_b32 exec_lo, exec_lo, s0
	v_add_co_u32 v12, vcc_lo, v12, s12
	v_add_co_ci_u32_e32 v13, vcc_lo, 0, v13, vcc_lo
	v_add_co_u32 v14, vcc_lo, v14, s12
	v_add_co_ci_u32_e32 v15, vcc_lo, 0, v15, vcc_lo
	;; [unrolled: 2-line block ×11, first 2 shown]
	v_cmp_ge_i64_e64 s0, s[10:11], s[6:7]
	v_cmp_lt_u64_e64 s3, 0xffff, s[10:11]
	v_add_co_u32 v32, vcc_lo, v32, s12
	v_add_co_ci_u32_e32 v33, vcc_lo, 0, v33, vcc_lo
	v_add_co_u32 v34, vcc_lo, v34, s12
	v_add_co_ci_u32_e32 v35, vcc_lo, 0, v35, vcc_lo
	s_or_b32 s0, s0, s3
	s_add_u32 s10, s10, s2
	s_addc_u32 s11, s11, 0
	s_and_b32 vcc_lo, exec_lo, s0
	s_cbranch_vccnz .LBB13_25
.LBB13_9:                               ; =>This Inner Loop Header: Depth=1
	v_cmp_gt_i64_e32 vcc_lo, s[6:7], v[0:1]
	v_cmp_gt_u64_e64 s0, 0x10000, v[0:1]
	s_waitcnt vmcnt(0)
	v_mov_b32_e32 v36, 0
	v_mov_b32_e32 v2, 0
	s_delay_alu instid0(VALU_DEP_3) | instskip(NEXT) | instid1(SALU_CYCLE_1)
	s_and_b32 s3, vcc_lo, s0
	s_and_saveexec_b32 s0, s3
	s_cbranch_execz .LBB13_11
; %bb.10:                               ;   in Loop: Header=BB13_9 Depth=1
	v_add_co_u32 v2, vcc_lo, v12, s4
	v_add_co_ci_u32_e32 v3, vcc_lo, s5, v13, vcc_lo
	v_add_co_u32 v4, vcc_lo, v14, s4
	v_add_co_ci_u32_e32 v5, vcc_lo, s5, v15, vcc_lo
	global_load_b32 v2, v[2:3], off
	global_load_b32 v36, v[4:5], off
.LBB13_11:                              ;   in Loop: Header=BB13_9 Depth=1
	s_or_b32 exec_lo, exec_lo, s0
	v_add_co_u32 v3, vcc_lo, s16, v0
	v_add_co_ci_u32_e32 v4, vcc_lo, 0, v1, vcc_lo
	v_dual_mov_b32 v37, 0 :: v_dual_mov_b32 v38, 0
	v_mov_b32_e32 v5, 0
	s_delay_alu instid0(VALU_DEP_3) | instskip(SKIP_1) | instid1(VALU_DEP_1)
	v_cmp_gt_i64_e32 vcc_lo, s[6:7], v[3:4]
	v_cmp_gt_u64_e64 s0, 0x10000, v[3:4]
	s_and_b32 s3, vcc_lo, s0
	s_delay_alu instid0(SALU_CYCLE_1)
	s_and_saveexec_b32 s0, s3
	s_cbranch_execz .LBB13_13
; %bb.12:                               ;   in Loop: Header=BB13_9 Depth=1
	v_add_co_u32 v5, vcc_lo, v30, s4
	v_add_co_ci_u32_e32 v6, vcc_lo, s5, v31, vcc_lo
	v_add_co_u32 v7, vcc_lo, v32, s4
	v_add_co_ci_u32_e32 v8, vcc_lo, s5, v33, vcc_lo
	global_load_b32 v5, v[5:6], off
	global_load_b32 v38, v[7:8], off
.LBB13_13:                              ;   in Loop: Header=BB13_9 Depth=1
	s_or_b32 exec_lo, exec_lo, s0
	v_add_co_u32 v6, vcc_lo, s17, v0
	v_add_co_ci_u32_e32 v7, vcc_lo, 0, v1, vcc_lo
	v_mov_b32_e32 v8, 0
	s_delay_alu instid0(VALU_DEP_2) | instskip(SKIP_1) | instid1(VALU_DEP_1)
	v_cmp_gt_i64_e32 vcc_lo, s[6:7], v[6:7]
	v_cmp_gt_u64_e64 s0, 0x10000, v[6:7]
	s_and_b32 s3, vcc_lo, s0
	s_delay_alu instid0(SALU_CYCLE_1)
	s_and_saveexec_b32 s0, s3
	s_cbranch_execz .LBB13_15
; %bb.14:                               ;   in Loop: Header=BB13_9 Depth=1
	v_add_co_u32 v8, vcc_lo, v24, s4
	v_add_co_ci_u32_e32 v9, vcc_lo, s5, v25, vcc_lo
	v_add_co_u32 v10, vcc_lo, v26, s4
	v_add_co_ci_u32_e32 v11, vcc_lo, s5, v27, vcc_lo
	global_load_b32 v8, v[8:9], off
	global_load_b32 v37, v[10:11], off
.LBB13_15:                              ;   in Loop: Header=BB13_9 Depth=1
	s_or_b32 exec_lo, exec_lo, s0
	v_add_co_u32 v9, vcc_lo, s18, v0
	v_add_co_ci_u32_e32 v10, vcc_lo, 0, v1, vcc_lo
	v_mov_b32_e32 v39, 0
	v_mov_b32_e32 v11, 0
	s_delay_alu instid0(VALU_DEP_3) | instskip(SKIP_1) | instid1(VALU_DEP_1)
	v_cmp_gt_i64_e32 vcc_lo, s[6:7], v[9:10]
	v_cmp_gt_u64_e64 s0, 0x10000, v[9:10]
	s_and_b32 s3, vcc_lo, s0
	s_delay_alu instid0(SALU_CYCLE_1)
	s_and_saveexec_b32 s0, s3
	s_cbranch_execnz .LBB13_20
; %bb.16:                               ;   in Loop: Header=BB13_9 Depth=1
	s_or_b32 exec_lo, exec_lo, s0
	s_delay_alu instid0(SALU_CYCLE_1)
	s_mov_b32 s0, exec_lo
	v_cmpx_gt_u64_e64 s[8:9], v[0:1]
	s_cbranch_execnz .LBB13_21
.LBB13_17:                              ;   in Loop: Header=BB13_9 Depth=1
	s_or_b32 exec_lo, exec_lo, s0
	s_delay_alu instid0(SALU_CYCLE_1)
	s_mov_b32 s0, exec_lo
	v_cmpx_gt_u64_e64 s[8:9], v[3:4]
	s_cbranch_execnz .LBB13_22
.LBB13_18:                              ;   in Loop: Header=BB13_9 Depth=1
	s_or_b32 exec_lo, exec_lo, s0
	s_delay_alu instid0(SALU_CYCLE_1)
	s_mov_b32 s0, exec_lo
	v_cmpx_gt_u64_e64 s[8:9], v[6:7]
	s_cbranch_execnz .LBB13_23
.LBB13_19:                              ;   in Loop: Header=BB13_9 Depth=1
	s_or_b32 exec_lo, exec_lo, s0
	s_delay_alu instid0(SALU_CYCLE_1)
	s_mov_b32 s0, exec_lo
	v_cmpx_gt_u64_e64 s[8:9], v[9:10]
	s_cbranch_execz .LBB13_8
	s_branch .LBB13_24
.LBB13_20:                              ;   in Loop: Header=BB13_9 Depth=1
	v_add_co_u32 v39, vcc_lo, v18, s4
	v_add_co_ci_u32_e32 v40, vcc_lo, s5, v19, vcc_lo
	v_add_co_u32 v41, vcc_lo, v20, s4
	v_add_co_ci_u32_e32 v42, vcc_lo, s5, v21, vcc_lo
	global_load_b32 v11, v[39:40], off
	global_load_b32 v39, v[41:42], off
	s_or_b32 exec_lo, exec_lo, s0
	s_delay_alu instid0(SALU_CYCLE_1)
	s_mov_b32 s0, exec_lo
	v_cmpx_gt_u64_e64 s[8:9], v[0:1]
	s_cbranch_execz .LBB13_17
.LBB13_21:                              ;   in Loop: Header=BB13_9 Depth=1
	s_waitcnt vmcnt(0)
	v_mad_u64_u32 v[40:41], null, v36, s1, v[2:3]
	v_add_co_u32 v41, vcc_lo, v16, s4
	v_add_co_ci_u32_e32 v42, vcc_lo, s5, v17, vcc_lo
	global_store_b32 v[41:42], v40, off
	s_or_b32 exec_lo, exec_lo, s0
	s_delay_alu instid0(SALU_CYCLE_1)
	s_mov_b32 s0, exec_lo
	v_cmpx_gt_u64_e64 s[8:9], v[3:4]
	s_cbranch_execz .LBB13_18
.LBB13_22:                              ;   in Loop: Header=BB13_9 Depth=1
	s_waitcnt vmcnt(0)
	v_mad_u64_u32 v[2:3], null, v38, s1, v[5:6]
	v_add_co_u32 v3, vcc_lo, v34, s4
	v_add_co_ci_u32_e32 v4, vcc_lo, s5, v35, vcc_lo
	global_store_b32 v[3:4], v2, off
	s_or_b32 exec_lo, exec_lo, s0
	s_delay_alu instid0(SALU_CYCLE_1)
	s_mov_b32 s0, exec_lo
	v_cmpx_gt_u64_e64 s[8:9], v[6:7]
	s_cbranch_execz .LBB13_19
.LBB13_23:                              ;   in Loop: Header=BB13_9 Depth=1
	s_waitcnt vmcnt(0)
	v_mad_u64_u32 v[2:3], null, v37, s1, v[8:9]
	v_add_co_u32 v3, vcc_lo, v28, s4
	v_add_co_ci_u32_e32 v4, vcc_lo, s5, v29, vcc_lo
	global_store_b32 v[3:4], v2, off
	s_or_b32 exec_lo, exec_lo, s0
	s_delay_alu instid0(SALU_CYCLE_1)
	s_mov_b32 s0, exec_lo
	v_cmpx_gt_u64_e64 s[8:9], v[9:10]
	s_cbranch_execz .LBB13_8
.LBB13_24:                              ;   in Loop: Header=BB13_9 Depth=1
	s_waitcnt vmcnt(0)
	v_mad_u64_u32 v[2:3], null, v39, s1, v[11:12]
	v_add_co_u32 v3, vcc_lo, v22, s4
	v_add_co_ci_u32_e32 v4, vcc_lo, s5, v23, vcc_lo
	global_store_b32 v[3:4], v2, off
	s_branch .LBB13_8
.LBB13_25:
	s_nop 0
	s_sendmsg sendmsg(MSG_DEALLOC_VGPRS)
	s_endpgm
	.section	.rodata,"a",@progbits
	.p2align	6, 0x0
	.amdhsa_kernel _ZN2at6native12_GLOBAL__N_125multi_tensor_apply_kernelINS1_18TensorListMetadataILi4EEENS1_32PointwiseOpScalar0dTensorFunctorIiLi4ELi2ELi3EEEJSt10multipliesIiEiEEEvT_T0_DpT1_
		.amdhsa_group_segment_fixed_size 0
		.amdhsa_private_segment_fixed_size 0
		.amdhsa_kernarg_size 3312
		.amdhsa_user_sgpr_count 15
		.amdhsa_user_sgpr_dispatch_ptr 0
		.amdhsa_user_sgpr_queue_ptr 0
		.amdhsa_user_sgpr_kernarg_segment_ptr 1
		.amdhsa_user_sgpr_dispatch_id 0
		.amdhsa_user_sgpr_private_segment_size 0
		.amdhsa_wavefront_size32 1
		.amdhsa_uses_dynamic_stack 0
		.amdhsa_enable_private_segment 0
		.amdhsa_system_sgpr_workgroup_id_x 1
		.amdhsa_system_sgpr_workgroup_id_y 0
		.amdhsa_system_sgpr_workgroup_id_z 0
		.amdhsa_system_sgpr_workgroup_info 0
		.amdhsa_system_vgpr_workitem_id 0
		.amdhsa_next_free_vgpr 43
		.amdhsa_next_free_sgpr 31
		.amdhsa_reserve_vcc 1
		.amdhsa_float_round_mode_32 0
		.amdhsa_float_round_mode_16_64 0
		.amdhsa_float_denorm_mode_32 3
		.amdhsa_float_denorm_mode_16_64 3
		.amdhsa_dx10_clamp 1
		.amdhsa_ieee_mode 1
		.amdhsa_fp16_overflow 0
		.amdhsa_workgroup_processor_mode 1
		.amdhsa_memory_ordered 1
		.amdhsa_forward_progress 0
		.amdhsa_shared_vgpr_count 0
		.amdhsa_exception_fp_ieee_invalid_op 0
		.amdhsa_exception_fp_denorm_src 0
		.amdhsa_exception_fp_ieee_div_zero 0
		.amdhsa_exception_fp_ieee_overflow 0
		.amdhsa_exception_fp_ieee_underflow 0
		.amdhsa_exception_fp_ieee_inexact 0
		.amdhsa_exception_int_div_zero 0
	.end_amdhsa_kernel
	.section	.text._ZN2at6native12_GLOBAL__N_125multi_tensor_apply_kernelINS1_18TensorListMetadataILi4EEENS1_32PointwiseOpScalar0dTensorFunctorIiLi4ELi2ELi3EEEJSt10multipliesIiEiEEEvT_T0_DpT1_,"axG",@progbits,_ZN2at6native12_GLOBAL__N_125multi_tensor_apply_kernelINS1_18TensorListMetadataILi4EEENS1_32PointwiseOpScalar0dTensorFunctorIiLi4ELi2ELi3EEEJSt10multipliesIiEiEEEvT_T0_DpT1_,comdat
.Lfunc_end13:
	.size	_ZN2at6native12_GLOBAL__N_125multi_tensor_apply_kernelINS1_18TensorListMetadataILi4EEENS1_32PointwiseOpScalar0dTensorFunctorIiLi4ELi2ELi3EEEJSt10multipliesIiEiEEEvT_T0_DpT1_, .Lfunc_end13-_ZN2at6native12_GLOBAL__N_125multi_tensor_apply_kernelINS1_18TensorListMetadataILi4EEENS1_32PointwiseOpScalar0dTensorFunctorIiLi4ELi2ELi3EEEJSt10multipliesIiEiEEEvT_T0_DpT1_
                                        ; -- End function
	.section	.AMDGPU.csdata,"",@progbits
; Kernel info:
; codeLenInByte = 1840
; NumSgprs: 33
; NumVgprs: 43
; ScratchSize: 0
; MemoryBound: 0
; FloatMode: 240
; IeeeMode: 1
; LDSByteSize: 0 bytes/workgroup (compile time only)
; SGPRBlocks: 4
; VGPRBlocks: 5
; NumSGPRsForWavesPerEU: 33
; NumVGPRsForWavesPerEU: 43
; Occupancy: 16
; WaveLimiterHint : 0
; COMPUTE_PGM_RSRC2:SCRATCH_EN: 0
; COMPUTE_PGM_RSRC2:USER_SGPR: 15
; COMPUTE_PGM_RSRC2:TRAP_HANDLER: 0
; COMPUTE_PGM_RSRC2:TGID_X_EN: 1
; COMPUTE_PGM_RSRC2:TGID_Y_EN: 0
; COMPUTE_PGM_RSRC2:TGID_Z_EN: 0
; COMPUTE_PGM_RSRC2:TIDIG_COMP_CNT: 0
	.section	.text._ZN2at6native12_GLOBAL__N_125multi_tensor_apply_kernelINS1_18TensorListMetadataILi4EEENS1_32PointwiseOpScalar0dTensorFunctorIlLi4ELi2ELi3EEEJSt10multipliesIlElEEEvT_T0_DpT1_,"axG",@progbits,_ZN2at6native12_GLOBAL__N_125multi_tensor_apply_kernelINS1_18TensorListMetadataILi4EEENS1_32PointwiseOpScalar0dTensorFunctorIlLi4ELi2ELi3EEEJSt10multipliesIlElEEEvT_T0_DpT1_,comdat
	.globl	_ZN2at6native12_GLOBAL__N_125multi_tensor_apply_kernelINS1_18TensorListMetadataILi4EEENS1_32PointwiseOpScalar0dTensorFunctorIlLi4ELi2ELi3EEEJSt10multipliesIlElEEEvT_T0_DpT1_ ; -- Begin function _ZN2at6native12_GLOBAL__N_125multi_tensor_apply_kernelINS1_18TensorListMetadataILi4EEENS1_32PointwiseOpScalar0dTensorFunctorIlLi4ELi2ELi3EEEJSt10multipliesIlElEEEvT_T0_DpT1_
	.p2align	8
	.type	_ZN2at6native12_GLOBAL__N_125multi_tensor_apply_kernelINS1_18TensorListMetadataILi4EEENS1_32PointwiseOpScalar0dTensorFunctorIlLi4ELi2ELi3EEEJSt10multipliesIlElEEEvT_T0_DpT1_,@function
_ZN2at6native12_GLOBAL__N_125multi_tensor_apply_kernelINS1_18TensorListMetadataILi4EEENS1_32PointwiseOpScalar0dTensorFunctorIlLi4ELi2ELi3EEEJSt10multipliesIlElEEEvT_T0_DpT1_: ; @_ZN2at6native12_GLOBAL__N_125multi_tensor_apply_kernelINS1_18TensorListMetadataILi4EEENS1_32PointwiseOpScalar0dTensorFunctorIlLi4ELi2ELi3EEEJSt10multipliesIlElEEEvT_T0_DpT1_
; %bb.0:
	v_mov_b32_e32 v1, s15
	s_add_u32 s2, s0, s15
	s_mul_hi_u32 s3, s15, 3
	s_mul_i32 s15, s15, 3
	s_addc_u32 s4, s1, 0
	global_load_u8 v1, v1, s[0:1] offset:1440
	s_load_b64 s[8:9], s[0:1], 0xbf0
	s_add_u32 s2, s2, s15
	s_addc_u32 s3, s4, s3
	s_mov_b32 s25, 0
	s_load_b32 s2, s[2:3], 0x6e0
	s_mov_b32 s7, s25
	s_mov_b32 s29, s25
	s_waitcnt vmcnt(0)
	v_readfirstlane_b32 s3, v1
	s_delay_alu instid0(VALU_DEP_1)
	s_lshl_b32 s6, s3, 3
	s_waitcnt lgkmcnt(0)
	s_ashr_i32 s3, s2, 31
	s_clause 0x3
	s_load_b64 s[10:11], s[0:1], s6 offset:0x0
	s_load_b64 s[16:17], s[0:1], s6 offset:0x120
	;; [unrolled: 1-line block ×4, first 2 shown]
	s_lshl_b64 s[4:5], s[2:3], 19
	s_load_b64 s[26:27], s[0:1], s6 offset:0x480
	s_waitcnt lgkmcnt(0)
	s_add_u32 s18, s10, s4
	s_addc_u32 s19, s11, s5
	s_add_u32 s6, s16, s4
	s_and_b32 s24, s18, 31
	s_and_b32 s6, s6, 31
	s_load_b64 s[16:17], s[16:17], 0x0
	s_cmp_lg_u64 s[6:7], 0
	s_cselect_b32 s6, -1, 0
	s_add_u32 s20, s12, s4
	s_addc_u32 s21, s13, s5
	s_add_u32 s22, s14, s4
	s_addc_u32 s23, s15, s5
	s_or_b32 s7, s22, s20
	s_delay_alu instid0(SALU_CYCLE_1) | instskip(NEXT) | instid1(SALU_CYCLE_1)
	s_and_b32 s7, s7, 31
	s_cmp_lg_u32 s7, 0
	s_cselect_b32 s7, -1, 0
	s_lshl_b64 s[2:3], s[2:3], 16
	s_or_b32 s30, s7, s6
	s_sub_u32 s6, s26, s2
	s_subb_u32 s7, s27, s3
	s_and_b32 s28, s26, 3
	s_delay_alu instid0(SALU_CYCLE_1) | instskip(NEXT) | instid1(SALU_CYCLE_1)
	s_or_b64 s[2:3], s[24:25], s[28:29]
	s_cmp_lg_u64 s[2:3], 0
	s_cselect_b32 s2, -1, 0
	s_delay_alu instid0(SALU_CYCLE_1) | instskip(NEXT) | instid1(SALU_CYCLE_1)
	s_or_b32 s2, s30, s2
	s_and_not1_b32 vcc_lo, exec_lo, s2
	s_mov_b32 s2, -1
	s_cbranch_vccz .LBB14_5
; %bb.1:
	v_dual_mov_b32 v2, 0 :: v_dual_lshlrev_b32 v1, 2, v0
	s_mov_b32 s24, exec_lo
	s_delay_alu instid0(VALU_DEP_1)
	v_cmpx_gt_i64_e64 s[6:7], v[1:2]
	s_cbranch_execz .LBB14_4
; %bb.2:
	s_load_b32 s2, s[0:1], 0xc04
	s_waitcnt lgkmcnt(0)
	s_mul_i32 s3, s16, s9
	s_mul_hi_u32 s26, s16, s8
	v_lshlrev_b32_e32 v3, 5, v0
	s_mul_i32 s27, s17, s8
	s_add_i32 s3, s26, s3
	s_mul_i32 s25, s16, s8
	s_add_i32 s26, s3, s27
	s_mov_b32 s27, 0
	s_and_b32 s2, s2, 0xffff
	s_delay_alu instid0(SALU_CYCLE_1)
	v_add_lshl_u32 v1, v0, s2, 2
	s_lshl_b32 s28, s2, 2
	s_lshl_b32 s29, s2, 5
.LBB14_3:                               ; =>This Inner Loop Header: Depth=1
	v_add_co_u32 v12, s2, s18, v3
	s_delay_alu instid0(VALU_DEP_1) | instskip(SKIP_1) | instid1(VALU_DEP_1)
	v_add_co_ci_u32_e64 v13, null, s19, 0, s2
	v_add_co_u32 v16, s2, s20, v3
	v_add_co_ci_u32_e64 v17, null, s21, 0, s2
	global_load_b128 v[4:7], v[12:13], off
	global_load_b128 v[8:11], v[16:17], off
	global_load_b128 v[12:15], v[12:13], off offset:16
	global_load_b128 v[16:19], v[16:17], off offset:16
	v_cmp_le_i64_e32 vcc_lo, s[6:7], v[1:2]
	v_cmp_lt_u64_e64 s2, 0xffff, v[1:2]
	v_add_co_u32 v24, s3, s22, v3
	s_delay_alu instid0(VALU_DEP_1) | instskip(SKIP_1) | instid1(VALU_DEP_4)
	v_add_co_ci_u32_e64 v25, null, s23, 0, s3
	v_add_co_u32 v1, s3, v1, s28
	s_or_b32 s2, vcc_lo, s2
	s_add_u32 s18, s18, s29
	s_addc_u32 s19, s19, 0
	s_add_u32 s22, s22, s29
	s_addc_u32 s23, s23, 0
	s_add_u32 s20, s20, s29
	v_add_co_ci_u32_e64 v2, s3, 0, v2, s3
	s_addc_u32 s21, s21, 0
	s_and_b32 s2, exec_lo, s2
	s_delay_alu instid0(SALU_CYCLE_1)
	s_or_b32 s27, s2, s27
	s_waitcnt vmcnt(2)
	v_mad_u64_u32 v[20:21], null, v8, s25, v[4:5]
	v_mul_lo_u32 v8, v8, s26
	v_mul_lo_u32 v9, v9, s25
	v_mad_u64_u32 v[22:23], null, v10, s25, v[6:7]
	v_mul_lo_u32 v10, v10, s26
	v_mul_lo_u32 v11, v11, s25
	s_waitcnt vmcnt(0)
	v_mad_u64_u32 v[4:5], null, v16, s25, v[12:13]
	v_mul_lo_u32 v12, v16, s26
	v_mul_lo_u32 v13, v17, s25
	v_mad_u64_u32 v[6:7], null, v18, s25, v[14:15]
	v_mul_lo_u32 v14, v18, s26
	v_mul_lo_u32 v15, v19, s25
	v_add3_u32 v21, v9, v21, v8
	v_add3_u32 v23, v11, v23, v10
	;; [unrolled: 1-line block ×3, first 2 shown]
	s_delay_alu instid0(VALU_DEP_4)
	v_add3_u32 v7, v15, v7, v14
	s_clause 0x1
	global_store_b128 v[24:25], v[20:23], off
	global_store_b128 v[24:25], v[4:7], off offset:16
	s_and_not1_b32 exec_lo, exec_lo, s27
	s_cbranch_execnz .LBB14_3
.LBB14_4:
	s_or_b32 exec_lo, exec_lo, s24
	s_mov_b32 s2, 0
.LBB14_5:
	s_delay_alu instid0(SALU_CYCLE_1)
	s_and_not1_b32 vcc_lo, exec_lo, s2
	s_cbranch_vccnz .LBB14_25
; %bb.6:
	v_cmp_lt_i64_e64 s2, s[6:7], 1
	s_delay_alu instid0(VALU_DEP_1)
	s_and_b32 vcc_lo, exec_lo, s2
	s_cbranch_vccnz .LBB14_25
; %bb.7:
	s_load_b32 s0, s[0:1], 0xc04
	v_dual_mov_b32 v1, 0 :: v_dual_lshlrev_b32 v2, 3, v0
	s_waitcnt lgkmcnt(0)
	s_mul_i32 s2, s16, s9
	s_mul_hi_u32 s9, s16, s8
	s_mul_i32 s17, s17, s8
	v_mov_b32_e32 v3, v1
	s_add_i32 s2, s9, s2
	s_mul_i32 s1, s16, s8
	s_add_i32 s16, s2, s17
	v_cmp_gt_u64_e64 s8, 0x10000, s[6:7]
	v_add_co_u32 v24, s2, s10, v2
	s_delay_alu instid0(VALU_DEP_1) | instskip(SKIP_2) | instid1(VALU_DEP_3)
	v_add_co_ci_u32_e64 v25, null, s11, 0, s2
	s_mov_b32 s3, 0
	s_and_b32 s17, s0, 0xffff
	s_and_b32 s0, s8, exec_lo
	v_mad_u64_u32 v[4:5], null, s17, 24, v[2:3]
	v_add_co_u32 v26, s0, s12, v2
	s_delay_alu instid0(VALU_DEP_1) | instskip(SKIP_1) | instid1(VALU_DEP_4)
	v_add_co_ci_u32_e64 v27, null, s13, 0, s0
	v_add_co_u32 v28, s0, s14, v2
	v_add_co_u32 v30, vcc_lo, s10, v4
	s_cselect_b32 s9, s7, 0
	s_cselect_b32 s8, s6, 0x10000
	v_add_co_ci_u32_e64 v29, null, s15, 0, s0
	v_add_co_ci_u32_e32 v31, vcc_lo, s11, v5, vcc_lo
	s_lshl_b32 s0, s17, 4
	v_add_co_u32 v32, vcc_lo, s12, v4
	v_add_co_u32 v2, s0, s0, v2
	v_add_co_ci_u32_e32 v33, vcc_lo, s13, v5, vcc_lo
	v_add_co_ci_u32_e64 v3, null, 0, 0, s0
	v_add_co_u32 v34, vcc_lo, s14, v4
	v_add_lshl_u32 v4, v0, s17, 3
	v_add_co_ci_u32_e32 v35, vcc_lo, s15, v5, vcc_lo
	v_add_co_u32 v36, vcc_lo, s10, v2
	v_add_co_ci_u32_e32 v37, vcc_lo, s11, v3, vcc_lo
	s_delay_alu instid0(VALU_DEP_4)
	v_add_co_u32 v42, s0, s10, v4
	v_add_co_u32 v38, vcc_lo, s12, v2
	v_add_co_ci_u32_e64 v43, null, s11, 0, s0
	v_add_co_u32 v44, s0, s12, v4
	v_add_co_ci_u32_e32 v39, vcc_lo, s13, v3, vcc_lo
	v_add_co_u32 v40, vcc_lo, s14, v2
	v_add_co_ci_u32_e64 v45, null, s13, 0, s0
	v_add_co_u32 v46, s0, s14, v4
	v_add_co_ci_u32_e32 v41, vcc_lo, s15, v3, vcc_lo
	v_add_co_ci_u32_e64 v47, null, s15, 0, s0
	s_lshl_b32 s2, s17, 2
	s_lshl_b32 s18, s17, 1
	s_mul_i32 s19, s17, 3
	s_lshl_b32 s12, s17, 5
	s_mov_b64 s[10:11], s[2:3]
	s_branch .LBB14_9
.LBB14_8:                               ;   in Loop: Header=BB14_9 Depth=1
	s_or_b32 exec_lo, exec_lo, s0
	v_add_co_u32 v24, vcc_lo, v24, s12
	v_add_co_ci_u32_e32 v25, vcc_lo, 0, v25, vcc_lo
	v_add_co_u32 v26, vcc_lo, v26, s12
	v_add_co_ci_u32_e32 v27, vcc_lo, 0, v27, vcc_lo
	;; [unrolled: 2-line block ×11, first 2 shown]
	v_cmp_ge_i64_e64 s0, s[10:11], s[6:7]
	v_cmp_lt_u64_e64 s3, 0xffff, s[10:11]
	v_add_co_u32 v44, vcc_lo, v44, s12
	v_add_co_ci_u32_e32 v45, vcc_lo, 0, v45, vcc_lo
	v_add_co_u32 v46, vcc_lo, v46, s12
	v_add_co_ci_u32_e32 v47, vcc_lo, 0, v47, vcc_lo
	s_or_b32 s0, s0, s3
	s_add_u32 s10, s10, s2
	s_addc_u32 s11, s11, 0
	s_and_b32 vcc_lo, exec_lo, s0
	s_cbranch_vccnz .LBB14_25
.LBB14_9:                               ; =>This Inner Loop Header: Depth=1
	s_waitcnt vmcnt(0)
	v_mov_b32_e32 v2, 0
	v_mov_b32_e32 v3, 0
	v_cmp_gt_i64_e32 vcc_lo, s[6:7], v[0:1]
	v_cmp_gt_u64_e64 s0, 0x10000, v[0:1]
	s_delay_alu instid0(VALU_DEP_3) | instskip(SKIP_1) | instid1(VALU_DEP_3)
	v_dual_mov_b32 v5, v3 :: v_dual_mov_b32 v4, v2
	v_dual_mov_b32 v7, v3 :: v_dual_mov_b32 v6, v2
	s_and_b32 s3, vcc_lo, s0
	s_delay_alu instid0(SALU_CYCLE_1)
	s_and_saveexec_b32 s0, s3
	s_cbranch_execz .LBB14_11
; %bb.10:                               ;   in Loop: Header=BB14_9 Depth=1
	v_add_co_u32 v4, vcc_lo, v24, s4
	v_add_co_ci_u32_e32 v5, vcc_lo, s5, v25, vcc_lo
	v_add_co_u32 v8, vcc_lo, v26, s4
	v_add_co_ci_u32_e32 v9, vcc_lo, s5, v27, vcc_lo
	global_load_b64 v[6:7], v[4:5], off
	global_load_b64 v[4:5], v[8:9], off
.LBB14_11:                              ;   in Loop: Header=BB14_9 Depth=1
	s_or_b32 exec_lo, exec_lo, s0
	v_add_co_u32 v8, vcc_lo, s17, v0
	v_add_co_ci_u32_e32 v9, vcc_lo, 0, v1, vcc_lo
	v_dual_mov_b32 v13, v3 :: v_dual_mov_b32 v12, v2
	s_delay_alu instid0(VALU_DEP_2) | instskip(SKIP_1) | instid1(VALU_DEP_1)
	v_cmp_gt_i64_e32 vcc_lo, s[6:7], v[8:9]
	v_cmp_gt_u64_e64 s0, 0x10000, v[8:9]
	s_and_b32 s3, vcc_lo, s0
	s_delay_alu instid0(SALU_CYCLE_1)
	s_and_saveexec_b32 s0, s3
	s_cbranch_execz .LBB14_13
; %bb.12:                               ;   in Loop: Header=BB14_9 Depth=1
	v_add_co_u32 v2, vcc_lo, v42, s4
	v_add_co_ci_u32_e32 v3, vcc_lo, s5, v43, vcc_lo
	v_add_co_u32 v10, vcc_lo, v44, s4
	v_add_co_ci_u32_e32 v11, vcc_lo, s5, v45, vcc_lo
	global_load_b64 v[12:13], v[2:3], off
	global_load_b64 v[2:3], v[10:11], off
.LBB14_13:                              ;   in Loop: Header=BB14_9 Depth=1
	s_or_b32 exec_lo, exec_lo, s0
	v_add_co_u32 v14, vcc_lo, s18, v0
	v_add_co_ci_u32_e32 v15, vcc_lo, 0, v1, vcc_lo
	v_mov_b32_e32 v10, 0
	v_mov_b32_e32 v11, 0
	s_delay_alu instid0(VALU_DEP_3) | instskip(SKIP_1) | instid1(VALU_DEP_3)
	v_cmp_gt_i64_e32 vcc_lo, s[6:7], v[14:15]
	v_cmp_gt_u64_e64 s0, 0x10000, v[14:15]
	v_dual_mov_b32 v17, v11 :: v_dual_mov_b32 v16, v10
	v_dual_mov_b32 v19, v11 :: v_dual_mov_b32 v18, v10
	s_delay_alu instid0(VALU_DEP_3) | instskip(NEXT) | instid1(SALU_CYCLE_1)
	s_and_b32 s3, vcc_lo, s0
	s_and_saveexec_b32 s0, s3
	s_cbranch_execz .LBB14_15
; %bb.14:                               ;   in Loop: Header=BB14_9 Depth=1
	v_add_co_u32 v16, vcc_lo, v36, s4
	v_add_co_ci_u32_e32 v17, vcc_lo, s5, v37, vcc_lo
	v_add_co_u32 v20, vcc_lo, v38, s4
	v_add_co_ci_u32_e32 v21, vcc_lo, s5, v39, vcc_lo
	global_load_b64 v[18:19], v[16:17], off
	global_load_b64 v[16:17], v[20:21], off
.LBB14_15:                              ;   in Loop: Header=BB14_9 Depth=1
	s_or_b32 exec_lo, exec_lo, s0
	v_add_co_u32 v20, vcc_lo, s19, v0
	v_add_co_ci_u32_e32 v21, vcc_lo, 0, v1, vcc_lo
	v_dual_mov_b32 v23, v11 :: v_dual_mov_b32 v22, v10
	s_delay_alu instid0(VALU_DEP_2) | instskip(SKIP_1) | instid1(VALU_DEP_1)
	v_cmp_gt_i64_e32 vcc_lo, s[6:7], v[20:21]
	v_cmp_gt_u64_e64 s0, 0x10000, v[20:21]
	s_and_b32 s3, vcc_lo, s0
	s_delay_alu instid0(SALU_CYCLE_1)
	s_and_saveexec_b32 s0, s3
	s_cbranch_execnz .LBB14_20
; %bb.16:                               ;   in Loop: Header=BB14_9 Depth=1
	s_or_b32 exec_lo, exec_lo, s0
	s_delay_alu instid0(SALU_CYCLE_1)
	s_mov_b32 s0, exec_lo
	v_cmpx_gt_u64_e64 s[8:9], v[0:1]
	s_cbranch_execnz .LBB14_21
.LBB14_17:                              ;   in Loop: Header=BB14_9 Depth=1
	s_or_b32 exec_lo, exec_lo, s0
	s_delay_alu instid0(SALU_CYCLE_1)
	s_mov_b32 s0, exec_lo
	v_cmpx_gt_u64_e64 s[8:9], v[8:9]
	s_cbranch_execnz .LBB14_22
.LBB14_18:                              ;   in Loop: Header=BB14_9 Depth=1
	s_or_b32 exec_lo, exec_lo, s0
	s_delay_alu instid0(SALU_CYCLE_1)
	s_mov_b32 s0, exec_lo
	v_cmpx_gt_u64_e64 s[8:9], v[14:15]
	s_cbranch_execnz .LBB14_23
.LBB14_19:                              ;   in Loop: Header=BB14_9 Depth=1
	s_or_b32 exec_lo, exec_lo, s0
	s_delay_alu instid0(SALU_CYCLE_1)
	s_mov_b32 s0, exec_lo
	v_cmpx_gt_u64_e64 s[8:9], v[20:21]
	s_cbranch_execz .LBB14_8
	s_branch .LBB14_24
.LBB14_20:                              ;   in Loop: Header=BB14_9 Depth=1
	v_add_co_u32 v10, vcc_lo, v30, s4
	v_add_co_ci_u32_e32 v11, vcc_lo, s5, v31, vcc_lo
	v_add_co_u32 v48, vcc_lo, v32, s4
	v_add_co_ci_u32_e32 v49, vcc_lo, s5, v33, vcc_lo
	global_load_b64 v[22:23], v[10:11], off
	global_load_b64 v[10:11], v[48:49], off
	s_or_b32 exec_lo, exec_lo, s0
	s_delay_alu instid0(SALU_CYCLE_1)
	s_mov_b32 s0, exec_lo
	v_cmpx_gt_u64_e64 s[8:9], v[0:1]
	s_cbranch_execz .LBB14_17
.LBB14_21:                              ;   in Loop: Header=BB14_9 Depth=1
	s_waitcnt vmcnt(0)
	v_mad_u64_u32 v[48:49], null, v4, s1, v[6:7]
	v_mul_lo_u32 v4, v4, s16
	v_mul_lo_u32 v5, v5, s1
	s_delay_alu instid0(VALU_DEP_1) | instskip(SKIP_4) | instid1(SALU_CYCLE_1)
	v_add3_u32 v49, v5, v49, v4
	v_add_co_u32 v4, vcc_lo, v28, s4
	v_add_co_ci_u32_e32 v5, vcc_lo, s5, v29, vcc_lo
	global_store_b64 v[4:5], v[48:49], off
	s_or_b32 exec_lo, exec_lo, s0
	s_mov_b32 s0, exec_lo
	v_cmpx_gt_u64_e64 s[8:9], v[8:9]
	s_cbranch_execz .LBB14_18
.LBB14_22:                              ;   in Loop: Header=BB14_9 Depth=1
	s_waitcnt vmcnt(0)
	v_mad_u64_u32 v[4:5], null, v2, s1, v[12:13]
	v_mul_lo_u32 v2, v2, s16
	v_mul_lo_u32 v3, v3, s1
	s_delay_alu instid0(VALU_DEP_1) | instskip(SKIP_4) | instid1(SALU_CYCLE_1)
	v_add3_u32 v5, v3, v5, v2
	v_add_co_u32 v2, vcc_lo, v46, s4
	v_add_co_ci_u32_e32 v3, vcc_lo, s5, v47, vcc_lo
	global_store_b64 v[2:3], v[4:5], off
	s_or_b32 exec_lo, exec_lo, s0
	s_mov_b32 s0, exec_lo
	v_cmpx_gt_u64_e64 s[8:9], v[14:15]
	s_cbranch_execz .LBB14_19
.LBB14_23:                              ;   in Loop: Header=BB14_9 Depth=1
	s_waitcnt vmcnt(0)
	v_mad_u64_u32 v[2:3], null, v16, s1, v[18:19]
	v_mul_lo_u32 v4, v16, s16
	v_mul_lo_u32 v5, v17, s1
	s_delay_alu instid0(VALU_DEP_1) | instskip(SKIP_4) | instid1(SALU_CYCLE_1)
	v_add3_u32 v3, v5, v3, v4
	v_add_co_u32 v4, vcc_lo, v40, s4
	v_add_co_ci_u32_e32 v5, vcc_lo, s5, v41, vcc_lo
	global_store_b64 v[4:5], v[2:3], off
	s_or_b32 exec_lo, exec_lo, s0
	s_mov_b32 s0, exec_lo
	v_cmpx_gt_u64_e64 s[8:9], v[20:21]
	s_cbranch_execz .LBB14_8
.LBB14_24:                              ;   in Loop: Header=BB14_9 Depth=1
	s_waitcnt vmcnt(0)
	v_mad_u64_u32 v[2:3], null, v10, s1, v[22:23]
	v_mul_lo_u32 v4, v10, s16
	v_mul_lo_u32 v5, v11, s1
	s_delay_alu instid0(VALU_DEP_1)
	v_add3_u32 v3, v5, v3, v4
	v_add_co_u32 v4, vcc_lo, v34, s4
	v_add_co_ci_u32_e32 v5, vcc_lo, s5, v35, vcc_lo
	global_store_b64 v[4:5], v[2:3], off
	s_branch .LBB14_8
.LBB14_25:
	s_nop 0
	s_sendmsg sendmsg(MSG_DEALLOC_VGPRS)
	s_endpgm
	.section	.rodata,"a",@progbits
	.p2align	6, 0x0
	.amdhsa_kernel _ZN2at6native12_GLOBAL__N_125multi_tensor_apply_kernelINS1_18TensorListMetadataILi4EEENS1_32PointwiseOpScalar0dTensorFunctorIlLi4ELi2ELi3EEEJSt10multipliesIlElEEEvT_T0_DpT1_
		.amdhsa_group_segment_fixed_size 0
		.amdhsa_private_segment_fixed_size 0
		.amdhsa_kernarg_size 3320
		.amdhsa_user_sgpr_count 15
		.amdhsa_user_sgpr_dispatch_ptr 0
		.amdhsa_user_sgpr_queue_ptr 0
		.amdhsa_user_sgpr_kernarg_segment_ptr 1
		.amdhsa_user_sgpr_dispatch_id 0
		.amdhsa_user_sgpr_private_segment_size 0
		.amdhsa_wavefront_size32 1
		.amdhsa_uses_dynamic_stack 0
		.amdhsa_enable_private_segment 0
		.amdhsa_system_sgpr_workgroup_id_x 1
		.amdhsa_system_sgpr_workgroup_id_y 0
		.amdhsa_system_sgpr_workgroup_id_z 0
		.amdhsa_system_sgpr_workgroup_info 0
		.amdhsa_system_vgpr_workitem_id 0
		.amdhsa_next_free_vgpr 50
		.amdhsa_next_free_sgpr 31
		.amdhsa_reserve_vcc 1
		.amdhsa_float_round_mode_32 0
		.amdhsa_float_round_mode_16_64 0
		.amdhsa_float_denorm_mode_32 3
		.amdhsa_float_denorm_mode_16_64 3
		.amdhsa_dx10_clamp 1
		.amdhsa_ieee_mode 1
		.amdhsa_fp16_overflow 0
		.amdhsa_workgroup_processor_mode 1
		.amdhsa_memory_ordered 1
		.amdhsa_forward_progress 0
		.amdhsa_shared_vgpr_count 0
		.amdhsa_exception_fp_ieee_invalid_op 0
		.amdhsa_exception_fp_denorm_src 0
		.amdhsa_exception_fp_ieee_div_zero 0
		.amdhsa_exception_fp_ieee_overflow 0
		.amdhsa_exception_fp_ieee_underflow 0
		.amdhsa_exception_fp_ieee_inexact 0
		.amdhsa_exception_int_div_zero 0
	.end_amdhsa_kernel
	.section	.text._ZN2at6native12_GLOBAL__N_125multi_tensor_apply_kernelINS1_18TensorListMetadataILi4EEENS1_32PointwiseOpScalar0dTensorFunctorIlLi4ELi2ELi3EEEJSt10multipliesIlElEEEvT_T0_DpT1_,"axG",@progbits,_ZN2at6native12_GLOBAL__N_125multi_tensor_apply_kernelINS1_18TensorListMetadataILi4EEENS1_32PointwiseOpScalar0dTensorFunctorIlLi4ELi2ELi3EEEJSt10multipliesIlElEEEvT_T0_DpT1_,comdat
.Lfunc_end14:
	.size	_ZN2at6native12_GLOBAL__N_125multi_tensor_apply_kernelINS1_18TensorListMetadataILi4EEENS1_32PointwiseOpScalar0dTensorFunctorIlLi4ELi2ELi3EEEJSt10multipliesIlElEEEvT_T0_DpT1_, .Lfunc_end14-_ZN2at6native12_GLOBAL__N_125multi_tensor_apply_kernelINS1_18TensorListMetadataILi4EEENS1_32PointwiseOpScalar0dTensorFunctorIlLi4ELi2ELi3EEEJSt10multipliesIlElEEEvT_T0_DpT1_
                                        ; -- End function
	.section	.AMDGPU.csdata,"",@progbits
; Kernel info:
; codeLenInByte = 2124
; NumSgprs: 33
; NumVgprs: 50
; ScratchSize: 0
; MemoryBound: 0
; FloatMode: 240
; IeeeMode: 1
; LDSByteSize: 0 bytes/workgroup (compile time only)
; SGPRBlocks: 4
; VGPRBlocks: 6
; NumSGPRsForWavesPerEU: 33
; NumVGPRsForWavesPerEU: 50
; Occupancy: 16
; WaveLimiterHint : 0
; COMPUTE_PGM_RSRC2:SCRATCH_EN: 0
; COMPUTE_PGM_RSRC2:USER_SGPR: 15
; COMPUTE_PGM_RSRC2:TRAP_HANDLER: 0
; COMPUTE_PGM_RSRC2:TGID_X_EN: 1
; COMPUTE_PGM_RSRC2:TGID_Y_EN: 0
; COMPUTE_PGM_RSRC2:TGID_Z_EN: 0
; COMPUTE_PGM_RSRC2:TIDIG_COMP_CNT: 0
	.section	.text._ZN2at6native12_GLOBAL__N_125multi_tensor_apply_kernelINS1_18TensorListMetadataILi4EEENS1_32PointwiseOpScalar0dTensorFunctorIsLi4ELi2ELi3EEEJSt10multipliesIsEsEEEvT_T0_DpT1_,"axG",@progbits,_ZN2at6native12_GLOBAL__N_125multi_tensor_apply_kernelINS1_18TensorListMetadataILi4EEENS1_32PointwiseOpScalar0dTensorFunctorIsLi4ELi2ELi3EEEJSt10multipliesIsEsEEEvT_T0_DpT1_,comdat
	.globl	_ZN2at6native12_GLOBAL__N_125multi_tensor_apply_kernelINS1_18TensorListMetadataILi4EEENS1_32PointwiseOpScalar0dTensorFunctorIsLi4ELi2ELi3EEEJSt10multipliesIsEsEEEvT_T0_DpT1_ ; -- Begin function _ZN2at6native12_GLOBAL__N_125multi_tensor_apply_kernelINS1_18TensorListMetadataILi4EEENS1_32PointwiseOpScalar0dTensorFunctorIsLi4ELi2ELi3EEEJSt10multipliesIsEsEEEvT_T0_DpT1_
	.p2align	8
	.type	_ZN2at6native12_GLOBAL__N_125multi_tensor_apply_kernelINS1_18TensorListMetadataILi4EEENS1_32PointwiseOpScalar0dTensorFunctorIsLi4ELi2ELi3EEEJSt10multipliesIsEsEEEvT_T0_DpT1_,@function
_ZN2at6native12_GLOBAL__N_125multi_tensor_apply_kernelINS1_18TensorListMetadataILi4EEENS1_32PointwiseOpScalar0dTensorFunctorIsLi4ELi2ELi3EEEJSt10multipliesIsEsEEEvT_T0_DpT1_: ; @_ZN2at6native12_GLOBAL__N_125multi_tensor_apply_kernelINS1_18TensorListMetadataILi4EEENS1_32PointwiseOpScalar0dTensorFunctorIsLi4ELi2ELi3EEEJSt10multipliesIsEsEEEvT_T0_DpT1_
; %bb.0:
	v_dual_mov_b32 v1, s15 :: v_dual_mov_b32 v2, 0
	s_mul_i32 s5, s15, 3
	s_mul_hi_u32 s6, s15, 3
	s_mov_b32 s19, 0
	global_load_u8 v1, v1, s[0:1] offset:1440
	s_load_b32 s2, s[0:1], 0xbe8
	s_waitcnt lgkmcnt(0)
	s_lshr_b32 s8, s2, 16
	s_add_u32 s2, s0, s15
	s_addc_u32 s3, s1, 0
	s_add_u32 s2, s2, s5
	s_addc_u32 s3, s3, s6
	s_waitcnt vmcnt(0)
	v_readfirstlane_b32 s4, v1
	s_delay_alu instid0(VALU_DEP_1)
	s_lshl_b32 s4, s4, 3
	s_clause 0x2
	s_load_b64 s[6:7], s[0:1], s4 offset:0x120
	s_load_b64 s[12:13], s[0:1], s4 offset:0x240
	;; [unrolled: 1-line block ×3, first 2 shown]
	s_waitcnt lgkmcnt(0)
	global_load_u16 v3, v2, s[6:7]
	s_clause 0x2
	s_load_b32 s2, s[2:3], 0x6e0
	s_load_b64 s[14:15], s[0:1], s4 offset:0x0
	s_load_b64 s[16:17], s[0:1], s4 offset:0x480
	s_mov_b32 s7, s19
	s_waitcnt lgkmcnt(0)
	s_ashr_i32 s3, s2, 31
	s_and_b32 s18, s14, 7
	s_lshl_b64 s[4:5], s[2:3], 17
	s_delay_alu instid0(SALU_CYCLE_1) | instskip(NEXT) | instid1(SALU_CYCLE_1)
	s_add_u32 s6, s6, s4
	s_and_b32 s6, s6, 7
	s_delay_alu instid0(SALU_CYCLE_1) | instskip(SKIP_2) | instid1(SALU_CYCLE_1)
	s_cmp_lg_u64 s[6:7], 0
	s_cselect_b32 s6, -1, 0
	s_add_u32 s7, s12, s4
	s_or_b32 s7, s10, s7
	s_delay_alu instid0(SALU_CYCLE_1) | instskip(NEXT) | instid1(SALU_CYCLE_1)
	s_and_b32 s7, s7, 7
	s_cmp_lg_u32 s7, 0
	s_cselect_b32 s7, -1, 0
	s_lshl_b64 s[2:3], s[2:3], 16
	s_or_b32 s9, s7, s6
	s_sub_u32 s6, s16, s2
	s_subb_u32 s7, s17, s3
	s_and_b32 s2, s16, 3
	s_mov_b32 s3, s19
	s_delay_alu instid0(SALU_CYCLE_1) | instskip(NEXT) | instid1(SALU_CYCLE_1)
	s_or_b64 s[2:3], s[18:19], s[2:3]
	s_cmp_lg_u64 s[2:3], 0
	s_cselect_b32 s2, -1, 0
	s_delay_alu instid0(SALU_CYCLE_1) | instskip(NEXT) | instid1(SALU_CYCLE_1)
	s_or_b32 s2, s9, s2
	s_and_not1_b32 vcc_lo, exec_lo, s2
	s_mov_b32 s2, -1
	s_cbranch_vccz .LBB15_5
; %bb.1:
	v_lshlrev_b32_e32 v1, 2, v0
	s_mov_b32 s9, exec_lo
	s_delay_alu instid0(VALU_DEP_1)
	v_cmpx_gt_i64_e64 s[6:7], v[1:2]
	s_cbranch_execz .LBB15_4
; %bb.2:
	s_load_b32 s2, s[0:1], 0xbfc
	v_dual_mov_b32 v2, 0 :: v_dual_lshlrev_b32 v1, 3, v0
	s_waitcnt vmcnt(0)
	v_mul_lo_u32 v4, v3, s8
	s_mov_b32 s16, 0
	s_delay_alu instid0(VALU_DEP_2) | instskip(NEXT) | instid1(VALU_DEP_1)
	v_add_co_u32 v5, s3, s4, v1
	v_add_co_ci_u32_e64 v6, null, s5, 0, s3
	s_waitcnt lgkmcnt(0)
	s_and_b32 s2, s2, 0xffff
	s_delay_alu instid0(SALU_CYCLE_1)
	v_add_lshl_u32 v1, v0, s2, 2
	s_lshl_b32 s17, s2, 3
	s_lshl_b32 s18, s2, 2
.LBB15_3:                               ; =>This Inner Loop Header: Depth=1
	v_add_co_u32 v7, vcc_lo, s14, v5
	v_add_co_ci_u32_e32 v8, vcc_lo, s15, v6, vcc_lo
	v_add_co_u32 v9, vcc_lo, s12, v5
	v_add_co_ci_u32_e32 v10, vcc_lo, s13, v6, vcc_lo
	v_add_co_u32 v11, vcc_lo, s10, v5
	global_load_b64 v[7:8], v[7:8], off
	global_load_b64 v[9:10], v[9:10], off
	v_add_co_ci_u32_e32 v12, vcc_lo, s11, v6, vcc_lo
	v_cmp_le_i64_e32 vcc_lo, s[6:7], v[1:2]
	v_cmp_lt_u64_e64 s2, 0xffff, v[1:2]
	v_add_co_u32 v5, s3, v5, s17
	s_delay_alu instid0(VALU_DEP_1) | instskip(SKIP_1) | instid1(VALU_DEP_4)
	v_add_co_ci_u32_e64 v6, s3, 0, v6, s3
	v_add_co_u32 v1, s3, v1, s18
	s_or_b32 s2, vcc_lo, s2
	v_add_co_ci_u32_e64 v2, s3, 0, v2, s3
	s_and_b32 s2, exec_lo, s2
	s_delay_alu instid0(SALU_CYCLE_1)
	s_or_b32 s16, s2, s16
	s_waitcnt vmcnt(1)
	v_lshrrev_b32_e32 v13, 16, v7
	s_waitcnt vmcnt(0)
	v_lshrrev_b32_e32 v14, 16, v9
	v_mad_u16 v7, v4, v9, v7
	v_lshrrev_b32_e32 v9, 16, v8
	v_lshrrev_b32_e32 v15, 16, v10
	v_mad_u16 v8, v4, v10, v8
	v_mad_u16 v13, v4, v14, v13
	v_and_b32_e32 v7, 0xffff, v7
	s_delay_alu instid0(VALU_DEP_4) | instskip(NEXT) | instid1(VALU_DEP_4)
	v_mad_u16 v9, v4, v15, v9
	v_and_b32_e32 v8, 0xffff, v8
	s_delay_alu instid0(VALU_DEP_4) | instskip(NEXT) | instid1(VALU_DEP_3)
	v_lshlrev_b32_e32 v10, 16, v13
	v_lshlrev_b32_e32 v9, 16, v9
	s_delay_alu instid0(VALU_DEP_2) | instskip(NEXT) | instid1(VALU_DEP_2)
	v_or_b32_e32 v7, v10, v7
	v_or3_b32 v8, 0, v8, v9
	s_delay_alu instid0(VALU_DEP_2)
	v_or3_b32 v7, v7, 0, 0
	global_store_b64 v[11:12], v[7:8], off
	s_and_not1_b32 exec_lo, exec_lo, s16
	s_cbranch_execnz .LBB15_3
.LBB15_4:
	s_or_b32 exec_lo, exec_lo, s9
	s_mov_b32 s2, 0
.LBB15_5:
	s_delay_alu instid0(SALU_CYCLE_1)
	s_and_not1_b32 vcc_lo, exec_lo, s2
	s_cbranch_vccnz .LBB15_25
; %bb.6:
	v_cmp_lt_i64_e64 s2, s[6:7], 1
	s_delay_alu instid0(VALU_DEP_1)
	s_and_b32 vcc_lo, exec_lo, s2
	s_cbranch_vccnz .LBB15_25
; %bb.7:
	s_load_b32 s0, s[0:1], 0xbfc
	v_dual_mov_b32 v1, 0 :: v_dual_lshlrev_b32 v2, 1, v0
	s_waitcnt vmcnt(0)
	v_mul_lo_u32 v12, v3, s8
	v_cmp_gt_u64_e64 s2, 0x10000, s[6:7]
	s_mov_b32 s3, 0
	v_mov_b32_e32 v3, v1
	v_add_co_u32 v13, s1, s14, v2
	s_delay_alu instid0(VALU_DEP_1) | instskip(SKIP_1) | instid1(VALU_DEP_1)
	v_add_co_ci_u32_e64 v14, null, s15, 0, s1
	v_add_co_u32 v15, s1, s12, v2
	v_add_co_ci_u32_e64 v16, null, s13, 0, s1
	s_waitcnt lgkmcnt(0)
	s_and_b32 s1, s0, 0xffff
	v_add_co_u32 v17, s0, s10, v2
	v_mad_u64_u32 v[4:5], null, s1, 6, v[2:3]
	v_add_co_ci_u32_e64 v18, null, s11, 0, s0
	s_and_b32 s0, s2, exec_lo
	s_cselect_b32 s9, s7, 0
	s_cselect_b32 s8, s6, 0x10000
	s_lshl_b32 s2, s1, 2
	s_delay_alu instid0(VALU_DEP_2) | instskip(NEXT) | instid1(VALU_DEP_3)
	v_add_co_u32 v19, vcc_lo, s14, v4
	v_add_co_ci_u32_e32 v20, vcc_lo, s15, v5, vcc_lo
	v_add_co_u32 v21, vcc_lo, s12, v4
	v_add_co_u32 v2, s0, s2, v2
	v_add_co_ci_u32_e32 v22, vcc_lo, s13, v5, vcc_lo
	v_add_co_ci_u32_e64 v3, null, 0, 0, s0
	v_add_co_u32 v23, vcc_lo, s10, v4
	v_add_lshl_u32 v4, v0, s1, 1
	v_add_co_ci_u32_e32 v24, vcc_lo, s11, v5, vcc_lo
	v_add_co_u32 v25, vcc_lo, s14, v2
	v_add_co_ci_u32_e32 v26, vcc_lo, s15, v3, vcc_lo
	s_delay_alu instid0(VALU_DEP_4)
	v_add_co_u32 v31, s0, s14, v4
	v_add_co_u32 v27, vcc_lo, s12, v2
	v_add_co_ci_u32_e64 v32, null, s15, 0, s0
	v_add_co_u32 v33, s0, s12, v4
	v_add_co_ci_u32_e32 v28, vcc_lo, s13, v3, vcc_lo
	v_add_co_u32 v29, vcc_lo, s10, v2
	v_add_co_ci_u32_e64 v34, null, s13, 0, s0
	v_add_co_u32 v35, s0, s10, v4
	v_add_co_ci_u32_e32 v30, vcc_lo, s11, v3, vcc_lo
	v_add_co_ci_u32_e64 v36, null, s11, 0, s0
	s_lshl_b32 s16, s1, 1
	s_mul_i32 s12, s1, 3
	s_lshl_b32 s13, s1, 3
	s_mov_b64 s[10:11], s[2:3]
	s_branch .LBB15_9
.LBB15_8:                               ;   in Loop: Header=BB15_9 Depth=1
	s_or_b32 exec_lo, exec_lo, s0
	v_add_co_u32 v13, vcc_lo, v13, s13
	v_add_co_ci_u32_e32 v14, vcc_lo, 0, v14, vcc_lo
	v_add_co_u32 v15, vcc_lo, v15, s13
	v_add_co_ci_u32_e32 v16, vcc_lo, 0, v16, vcc_lo
	;; [unrolled: 2-line block ×11, first 2 shown]
	v_cmp_ge_i64_e64 s0, s[10:11], s[6:7]
	v_cmp_lt_u64_e64 s14, 0xffff, s[10:11]
	v_add_co_u32 v33, vcc_lo, v33, s13
	v_add_co_ci_u32_e32 v34, vcc_lo, 0, v34, vcc_lo
	v_add_co_u32 v35, vcc_lo, v35, s13
	v_add_co_ci_u32_e32 v36, vcc_lo, 0, v36, vcc_lo
	s_or_b32 s0, s0, s14
	s_add_u32 s10, s10, s2
	s_addc_u32 s11, s11, 0
	s_and_b32 vcc_lo, exec_lo, s0
	s_cbranch_vccnz .LBB15_25
.LBB15_9:                               ; =>This Inner Loop Header: Depth=1
	v_mov_b32_e32 v2, 0
	v_mov_b32_e32 v3, 0
	v_cmp_gt_i64_e32 vcc_lo, s[6:7], v[0:1]
	v_cmp_gt_u64_e64 s0, 0x10000, v[0:1]
	s_delay_alu instid0(VALU_DEP_3) | instskip(NEXT) | instid1(VALU_DEP_2)
	v_dual_mov_b32 v5, v3 :: v_dual_mov_b32 v4, v2
	s_and_b32 s14, vcc_lo, s0
	s_delay_alu instid0(SALU_CYCLE_1)
	s_and_saveexec_b32 s0, s14
	s_cbranch_execz .LBB15_11
; %bb.10:                               ;   in Loop: Header=BB15_9 Depth=1
	v_add_co_u32 v2, vcc_lo, v13, s4
	v_add_co_ci_u32_e32 v3, vcc_lo, s5, v14, vcc_lo
	v_add_co_u32 v4, vcc_lo, v15, s4
	v_add_co_ci_u32_e32 v5, vcc_lo, s5, v16, vcc_lo
	global_load_u16 v2, v[2:3], off
	global_load_u16 v3, v[4:5], off
	s_waitcnt vmcnt(1)
	v_dual_mov_b32 v5, s3 :: v_dual_and_b32 v4, 0xffff, v2
	s_waitcnt vmcnt(0)
	v_dual_mov_b32 v3, s3 :: v_dual_and_b32 v2, 0xffff, v3
.LBB15_11:                              ;   in Loop: Header=BB15_9 Depth=1
	s_or_b32 exec_lo, exec_lo, s0
	v_add_co_u32 v6, vcc_lo, s1, v0
	v_add_co_ci_u32_e32 v7, vcc_lo, 0, v1, vcc_lo
	s_delay_alu instid0(VALU_DEP_1) | instskip(SKIP_1) | instid1(VALU_DEP_1)
	v_cmp_gt_i64_e32 vcc_lo, s[6:7], v[6:7]
	v_cmp_gt_u64_e64 s0, 0x10000, v[6:7]
	s_and_b32 s14, vcc_lo, s0
	s_delay_alu instid0(SALU_CYCLE_1)
	s_and_saveexec_b32 s0, s14
	s_cbranch_execz .LBB15_13
; %bb.12:                               ;   in Loop: Header=BB15_9 Depth=1
	v_add_co_u32 v8, vcc_lo, v31, s4
	v_add_co_ci_u32_e32 v9, vcc_lo, s5, v32, vcc_lo
	v_add_co_u32 v10, vcc_lo, v33, s4
	v_add_co_ci_u32_e32 v11, vcc_lo, s5, v34, vcc_lo
	global_load_u16 v8, v[8:9], off
	global_load_u16 v9, v[10:11], off
	s_waitcnt vmcnt(1)
	v_lshl_or_b32 v4, v8, 16, v4
	s_waitcnt vmcnt(0)
	v_lshl_or_b32 v2, v9, 16, v2
.LBB15_13:                              ;   in Loop: Header=BB15_9 Depth=1
	s_or_b32 exec_lo, exec_lo, s0
	v_add_co_u32 v8, vcc_lo, s16, v0
	v_add_co_ci_u32_e32 v9, vcc_lo, 0, v1, vcc_lo
	s_delay_alu instid0(VALU_DEP_1) | instskip(SKIP_1) | instid1(VALU_DEP_1)
	v_cmp_gt_i64_e32 vcc_lo, s[6:7], v[8:9]
	v_cmp_gt_u64_e64 s0, 0x10000, v[8:9]
	s_and_b32 s14, vcc_lo, s0
	s_delay_alu instid0(SALU_CYCLE_1)
	s_and_saveexec_b32 s0, s14
	s_cbranch_execz .LBB15_15
; %bb.14:                               ;   in Loop: Header=BB15_9 Depth=1
	v_add_co_u32 v10, vcc_lo, v25, s4
	v_add_co_ci_u32_e32 v11, vcc_lo, s5, v26, vcc_lo
	v_add_co_u32 v37, vcc_lo, v27, s4
	v_add_co_ci_u32_e32 v38, vcc_lo, s5, v28, vcc_lo
	global_load_u16 v10, v[10:11], off
	global_load_u16 v11, v[37:38], off
	s_waitcnt vmcnt(1)
	v_or_b32_e32 v5, v10, v5
	s_waitcnt vmcnt(0)
	v_or_b32_e32 v3, v11, v3
.LBB15_15:                              ;   in Loop: Header=BB15_9 Depth=1
	s_or_b32 exec_lo, exec_lo, s0
	v_add_co_u32 v10, vcc_lo, s12, v0
	v_add_co_ci_u32_e32 v11, vcc_lo, 0, v1, vcc_lo
	s_delay_alu instid0(VALU_DEP_1) | instskip(SKIP_1) | instid1(VALU_DEP_1)
	v_cmp_gt_i64_e32 vcc_lo, s[6:7], v[10:11]
	v_cmp_gt_u64_e64 s0, 0x10000, v[10:11]
	s_and_b32 s14, vcc_lo, s0
	s_delay_alu instid0(SALU_CYCLE_1)
	s_and_saveexec_b32 s0, s14
	s_cbranch_execnz .LBB15_20
; %bb.16:                               ;   in Loop: Header=BB15_9 Depth=1
	s_or_b32 exec_lo, exec_lo, s0
	s_delay_alu instid0(SALU_CYCLE_1)
	s_mov_b32 s0, exec_lo
	v_cmpx_gt_u64_e64 s[8:9], v[0:1]
	s_cbranch_execnz .LBB15_21
.LBB15_17:                              ;   in Loop: Header=BB15_9 Depth=1
	s_or_b32 exec_lo, exec_lo, s0
	s_delay_alu instid0(SALU_CYCLE_1)
	s_mov_b32 s0, exec_lo
	v_cmpx_gt_u64_e64 s[8:9], v[6:7]
	s_cbranch_execnz .LBB15_22
.LBB15_18:                              ;   in Loop: Header=BB15_9 Depth=1
	s_or_b32 exec_lo, exec_lo, s0
	s_delay_alu instid0(SALU_CYCLE_1)
	s_mov_b32 s0, exec_lo
	v_cmpx_gt_u64_e64 s[8:9], v[8:9]
	s_cbranch_execnz .LBB15_23
.LBB15_19:                              ;   in Loop: Header=BB15_9 Depth=1
	s_or_b32 exec_lo, exec_lo, s0
	s_delay_alu instid0(SALU_CYCLE_1)
	s_mov_b32 s0, exec_lo
	v_cmpx_gt_u64_e64 s[8:9], v[10:11]
	s_cbranch_execz .LBB15_8
	s_branch .LBB15_24
.LBB15_20:                              ;   in Loop: Header=BB15_9 Depth=1
	v_add_co_u32 v37, vcc_lo, v21, s4
	v_add_co_ci_u32_e32 v38, vcc_lo, s5, v22, vcc_lo
	v_add_co_u32 v39, vcc_lo, v19, s4
	v_add_co_ci_u32_e32 v40, vcc_lo, s5, v20, vcc_lo
	v_dual_mov_b32 v41, 0 :: v_dual_mov_b32 v42, 0
	global_load_d16_hi_b16 v41, v[39:40], off
	global_load_d16_hi_b16 v42, v[37:38], off
	s_waitcnt vmcnt(1)
	v_or_b32_e32 v5, v41, v5
	s_waitcnt vmcnt(0)
	v_or_b32_e32 v3, v42, v3
	s_or_b32 exec_lo, exec_lo, s0
	s_delay_alu instid0(SALU_CYCLE_1)
	s_mov_b32 s0, exec_lo
	v_cmpx_gt_u64_e64 s[8:9], v[0:1]
	s_cbranch_execz .LBB15_17
.LBB15_21:                              ;   in Loop: Header=BB15_9 Depth=1
	v_add_co_u32 v37, vcc_lo, v17, s4
	v_mad_u16 v39, v12, v2, v4
	v_add_co_ci_u32_e32 v38, vcc_lo, s5, v18, vcc_lo
	global_store_b16 v[37:38], v39, off
	s_or_b32 exec_lo, exec_lo, s0
	s_delay_alu instid0(SALU_CYCLE_1)
	s_mov_b32 s0, exec_lo
	v_cmpx_gt_u64_e64 s[8:9], v[6:7]
	s_cbranch_execz .LBB15_18
.LBB15_22:                              ;   in Loop: Header=BB15_9 Depth=1
	v_lshrrev_b32_e32 v4, 16, v4
	v_lshrrev_b32_e32 v2, 16, v2
	v_add_co_u32 v6, vcc_lo, v35, s4
	v_add_co_ci_u32_e32 v7, vcc_lo, s5, v36, vcc_lo
	s_delay_alu instid0(VALU_DEP_3) | instskip(SKIP_2) | instid1(SALU_CYCLE_1)
	v_mad_u16 v2, v12, v2, v4
	global_store_b16 v[6:7], v2, off
	s_or_b32 exec_lo, exec_lo, s0
	s_mov_b32 s0, exec_lo
	v_cmpx_gt_u64_e64 s[8:9], v[8:9]
	s_cbranch_execz .LBB15_19
.LBB15_23:                              ;   in Loop: Header=BB15_9 Depth=1
	v_add_co_u32 v6, vcc_lo, v29, s4
	v_mad_u16 v2, v12, v3, v5
	v_add_co_ci_u32_e32 v7, vcc_lo, s5, v30, vcc_lo
	global_store_b16 v[6:7], v2, off
	s_or_b32 exec_lo, exec_lo, s0
	s_delay_alu instid0(SALU_CYCLE_1)
	s_mov_b32 s0, exec_lo
	v_cmpx_gt_u64_e64 s[8:9], v[10:11]
	s_cbranch_execz .LBB15_8
.LBB15_24:                              ;   in Loop: Header=BB15_9 Depth=1
	v_lshrrev_b32_e32 v2, 16, v5
	v_lshrrev_b32_e32 v3, 16, v3
	s_delay_alu instid0(VALU_DEP_1)
	v_mad_u16 v4, v12, v3, v2
	v_add_co_u32 v2, vcc_lo, v23, s4
	v_add_co_ci_u32_e32 v3, vcc_lo, s5, v24, vcc_lo
	global_store_b16 v[2:3], v4, off
	s_branch .LBB15_8
.LBB15_25:
	s_nop 0
	s_sendmsg sendmsg(MSG_DEALLOC_VGPRS)
	s_endpgm
	.section	.rodata,"a",@progbits
	.p2align	6, 0x0
	.amdhsa_kernel _ZN2at6native12_GLOBAL__N_125multi_tensor_apply_kernelINS1_18TensorListMetadataILi4EEENS1_32PointwiseOpScalar0dTensorFunctorIsLi4ELi2ELi3EEEJSt10multipliesIsEsEEEvT_T0_DpT1_
		.amdhsa_group_segment_fixed_size 0
		.amdhsa_private_segment_fixed_size 0
		.amdhsa_kernarg_size 3312
		.amdhsa_user_sgpr_count 15
		.amdhsa_user_sgpr_dispatch_ptr 0
		.amdhsa_user_sgpr_queue_ptr 0
		.amdhsa_user_sgpr_kernarg_segment_ptr 1
		.amdhsa_user_sgpr_dispatch_id 0
		.amdhsa_user_sgpr_private_segment_size 0
		.amdhsa_wavefront_size32 1
		.amdhsa_uses_dynamic_stack 0
		.amdhsa_enable_private_segment 0
		.amdhsa_system_sgpr_workgroup_id_x 1
		.amdhsa_system_sgpr_workgroup_id_y 0
		.amdhsa_system_sgpr_workgroup_id_z 0
		.amdhsa_system_sgpr_workgroup_info 0
		.amdhsa_system_vgpr_workitem_id 0
		.amdhsa_next_free_vgpr 43
		.amdhsa_next_free_sgpr 20
		.amdhsa_reserve_vcc 1
		.amdhsa_float_round_mode_32 0
		.amdhsa_float_round_mode_16_64 0
		.amdhsa_float_denorm_mode_32 3
		.amdhsa_float_denorm_mode_16_64 3
		.amdhsa_dx10_clamp 1
		.amdhsa_ieee_mode 1
		.amdhsa_fp16_overflow 0
		.amdhsa_workgroup_processor_mode 1
		.amdhsa_memory_ordered 1
		.amdhsa_forward_progress 0
		.amdhsa_shared_vgpr_count 0
		.amdhsa_exception_fp_ieee_invalid_op 0
		.amdhsa_exception_fp_denorm_src 0
		.amdhsa_exception_fp_ieee_div_zero 0
		.amdhsa_exception_fp_ieee_overflow 0
		.amdhsa_exception_fp_ieee_underflow 0
		.amdhsa_exception_fp_ieee_inexact 0
		.amdhsa_exception_int_div_zero 0
	.end_amdhsa_kernel
	.section	.text._ZN2at6native12_GLOBAL__N_125multi_tensor_apply_kernelINS1_18TensorListMetadataILi4EEENS1_32PointwiseOpScalar0dTensorFunctorIsLi4ELi2ELi3EEEJSt10multipliesIsEsEEEvT_T0_DpT1_,"axG",@progbits,_ZN2at6native12_GLOBAL__N_125multi_tensor_apply_kernelINS1_18TensorListMetadataILi4EEENS1_32PointwiseOpScalar0dTensorFunctorIsLi4ELi2ELi3EEEJSt10multipliesIsEsEEEvT_T0_DpT1_,comdat
.Lfunc_end15:
	.size	_ZN2at6native12_GLOBAL__N_125multi_tensor_apply_kernelINS1_18TensorListMetadataILi4EEENS1_32PointwiseOpScalar0dTensorFunctorIsLi4ELi2ELi3EEEJSt10multipliesIsEsEEEvT_T0_DpT1_, .Lfunc_end15-_ZN2at6native12_GLOBAL__N_125multi_tensor_apply_kernelINS1_18TensorListMetadataILi4EEENS1_32PointwiseOpScalar0dTensorFunctorIsLi4ELi2ELi3EEEJSt10multipliesIsEsEEEvT_T0_DpT1_
                                        ; -- End function
	.section	.AMDGPU.csdata,"",@progbits
; Kernel info:
; codeLenInByte = 1992
; NumSgprs: 22
; NumVgprs: 43
; ScratchSize: 0
; MemoryBound: 0
; FloatMode: 240
; IeeeMode: 1
; LDSByteSize: 0 bytes/workgroup (compile time only)
; SGPRBlocks: 2
; VGPRBlocks: 5
; NumSGPRsForWavesPerEU: 22
; NumVGPRsForWavesPerEU: 43
; Occupancy: 16
; WaveLimiterHint : 0
; COMPUTE_PGM_RSRC2:SCRATCH_EN: 0
; COMPUTE_PGM_RSRC2:USER_SGPR: 15
; COMPUTE_PGM_RSRC2:TRAP_HANDLER: 0
; COMPUTE_PGM_RSRC2:TGID_X_EN: 1
; COMPUTE_PGM_RSRC2:TGID_Y_EN: 0
; COMPUTE_PGM_RSRC2:TGID_Z_EN: 0
; COMPUTE_PGM_RSRC2:TIDIG_COMP_CNT: 0
	.section	.text._ZN2at6native12_GLOBAL__N_125multi_tensor_apply_kernelINS1_18TensorListMetadataILi4EEENS1_32PointwiseOpScalar0dTensorFunctorIdLi4ELi2ELi3EEEJSt10multipliesIdEdEEEvT_T0_DpT1_,"axG",@progbits,_ZN2at6native12_GLOBAL__N_125multi_tensor_apply_kernelINS1_18TensorListMetadataILi4EEENS1_32PointwiseOpScalar0dTensorFunctorIdLi4ELi2ELi3EEEJSt10multipliesIdEdEEEvT_T0_DpT1_,comdat
	.globl	_ZN2at6native12_GLOBAL__N_125multi_tensor_apply_kernelINS1_18TensorListMetadataILi4EEENS1_32PointwiseOpScalar0dTensorFunctorIdLi4ELi2ELi3EEEJSt10multipliesIdEdEEEvT_T0_DpT1_ ; -- Begin function _ZN2at6native12_GLOBAL__N_125multi_tensor_apply_kernelINS1_18TensorListMetadataILi4EEENS1_32PointwiseOpScalar0dTensorFunctorIdLi4ELi2ELi3EEEJSt10multipliesIdEdEEEvT_T0_DpT1_
	.p2align	8
	.type	_ZN2at6native12_GLOBAL__N_125multi_tensor_apply_kernelINS1_18TensorListMetadataILi4EEENS1_32PointwiseOpScalar0dTensorFunctorIdLi4ELi2ELi3EEEJSt10multipliesIdEdEEEvT_T0_DpT1_,@function
_ZN2at6native12_GLOBAL__N_125multi_tensor_apply_kernelINS1_18TensorListMetadataILi4EEENS1_32PointwiseOpScalar0dTensorFunctorIdLi4ELi2ELi3EEEJSt10multipliesIdEdEEEvT_T0_DpT1_: ; @_ZN2at6native12_GLOBAL__N_125multi_tensor_apply_kernelINS1_18TensorListMetadataILi4EEENS1_32PointwiseOpScalar0dTensorFunctorIdLi4ELi2ELi3EEEJSt10multipliesIdEdEEEvT_T0_DpT1_
; %bb.0:
	v_mov_b32_e32 v1, s15
	s_add_u32 s2, s0, s15
	s_mul_hi_u32 s3, s15, 3
	s_mul_i32 s15, s15, 3
	s_addc_u32 s4, s1, 0
	global_load_u8 v1, v1, s[0:1] offset:1440
	s_add_u32 s2, s2, s15
	s_addc_u32 s3, s4, s3
	s_mov_b32 s25, 0
	s_load_b32 s8, s[2:3], 0x6e0
	s_mov_b32 s7, s25
	s_mov_b32 s29, s25
	s_waitcnt lgkmcnt(0)
	s_ashr_i32 s9, s8, 31
	s_delay_alu instid0(SALU_CYCLE_1) | instskip(SKIP_2) | instid1(VALU_DEP_1)
	s_lshl_b64 s[4:5], s[8:9], 19
	s_waitcnt vmcnt(0)
	v_readfirstlane_b32 s2, v1
	s_lshl_b32 s2, s2, 3
	s_clause 0x4
	s_load_b64 s[14:15], s[0:1], s2 offset:0x0
	s_load_b64 s[10:11], s[0:1], s2 offset:0x120
	;; [unrolled: 1-line block ×5, first 2 shown]
	s_waitcnt lgkmcnt(0)
	s_add_u32 s3, s14, s4
	s_addc_u32 s12, s15, s5
	s_add_u32 s2, s10, s4
	s_and_b32 s24, s3, 31
	s_and_b32 s6, s2, 31
	s_load_b64 s[10:11], s[10:11], 0x0
	s_cmp_lg_u64 s[6:7], 0
	s_cselect_b32 s2, -1, 0
	s_add_u32 s13, s16, s4
	s_addc_u32 s20, s17, s5
	s_add_u32 s21, s18, s4
	s_addc_u32 s22, s19, s5
	s_or_b32 s6, s21, s13
	s_delay_alu instid0(SALU_CYCLE_1)
	s_and_b32 s23, s6, 31
	s_load_b64 s[6:7], s[0:1], 0xbf0
	s_cmp_lg_u32 s23, 0
	s_cselect_b32 s23, -1, 0
	s_lshl_b64 s[8:9], s[8:9], 16
	s_or_b32 s2, s23, s2
	s_sub_u32 s8, s26, s8
	s_subb_u32 s9, s27, s9
	s_and_b32 s28, s26, 3
	s_delay_alu instid0(SALU_CYCLE_1) | instskip(NEXT) | instid1(SALU_CYCLE_1)
	s_or_b64 s[24:25], s[24:25], s[28:29]
	s_cmp_lg_u64 s[24:25], 0
	s_cselect_b32 s23, -1, 0
	s_delay_alu instid0(SALU_CYCLE_1) | instskip(NEXT) | instid1(SALU_CYCLE_1)
	s_or_b32 s2, s2, s23
	s_and_not1_b32 vcc_lo, exec_lo, s2
	s_mov_b32 s2, -1
	s_cbranch_vccz .LBB16_21
; %bb.1:
	v_dual_mov_b32 v22, 0 :: v_dual_lshlrev_b32 v21, 2, v0
	s_mov_b32 s23, exec_lo
	s_delay_alu instid0(VALU_DEP_1)
	v_cmpx_gt_i64_e64 s[8:9], v[21:22]
	s_cbranch_execz .LBB16_20
; %bb.2:
	s_waitcnt lgkmcnt(0)
	v_cmp_neq_f64_e64 s24, s[6:7], 1.0
	s_load_b32 s2, s[0:1], 0xc04
	v_lshlrev_b32_e32 v23, 5, v0
	s_mov_b32 s25, 0
	s_waitcnt lgkmcnt(0)
	s_and_b32 s2, s2, 0xffff
	s_delay_alu instid0(SALU_CYCLE_1)
	v_add_lshl_u32 v21, v0, s2, 2
	s_lshl_b32 s26, s2, 2
	s_lshl_b32 s27, s2, 5
	s_branch .LBB16_4
.LBB16_3:                               ;   in Loop: Header=BB16_4 Depth=1
	v_cmp_le_i64_e32 vcc_lo, s[8:9], v[21:22]
	v_cmp_lt_u64_e64 s2, 0xffff, v[21:22]
	s_waitcnt vmcnt(3)
	v_add_co_u32 v5, s28, s21, v23
	s_delay_alu instid0(VALU_DEP_1)
	v_add_co_ci_u32_e64 v6, null, s22, 0, s28
	global_store_b128 v[5:6], v[1:4], off
	s_waitcnt vmcnt(2)
	global_store_b128 v[5:6], v[13:16], off offset:16
	s_or_b32 s2, vcc_lo, s2
	s_add_u32 s3, s3, s27
	s_addc_u32 s12, s12, 0
	s_add_u32 s21, s21, s27
	v_add_co_u32 v21, vcc_lo, v21, s26
	s_addc_u32 s22, s22, 0
	s_add_u32 s13, s13, s27
	v_add_co_ci_u32_e32 v22, vcc_lo, 0, v22, vcc_lo
	s_addc_u32 s20, s20, 0
	s_and_b32 s2, exec_lo, s2
	s_delay_alu instid0(SALU_CYCLE_1) | instskip(NEXT) | instid1(SALU_CYCLE_1)
	s_or_b32 s25, s2, s25
	s_and_not1_b32 exec_lo, exec_lo, s25
	s_cbranch_execz .LBB16_20
.LBB16_4:                               ; =>This Inner Loop Header: Depth=1
	v_add_co_u32 v1, s2, s3, v23
	s_delay_alu instid0(VALU_DEP_1) | instskip(SKIP_1) | instid1(VALU_DEP_1)
	v_add_co_ci_u32_e64 v2, null, s12, 0, s2
	v_add_co_u32 v3, s2, s13, v23
	v_add_co_ci_u32_e64 v4, null, s20, 0, s2
	s_clause 0x1
	global_load_b128 v[5:8], v[1:2], off offset:16
	global_load_b128 v[13:16], v[1:2], off
	s_clause 0x1
	global_load_b128 v[9:12], v[3:4], off offset:16
	global_load_b128 v[17:20], v[3:4], off
	s_and_b32 vcc_lo, exec_lo, s24
	s_cbranch_vccz .LBB16_15
; %bb.5:                                ;   in Loop: Header=BB16_4 Depth=1
	s_waitcnt vmcnt(0)
	v_mul_f64 v[1:2], s[10:11], v[17:18]
	s_delay_alu instid0(VALU_DEP_1)
	v_fma_f64 v[1:2], s[6:7], v[1:2], v[13:14]
	s_cbranch_execnz .LBB16_7
.LBB16_6:                               ;   in Loop: Header=BB16_4 Depth=1
	s_waitcnt vmcnt(0)
	v_fma_f64 v[1:2], s[10:11], v[17:18], v[13:14]
.LBB16_7:                               ;   in Loop: Header=BB16_4 Depth=1
	s_and_not1_b32 vcc_lo, exec_lo, s24
	s_cbranch_vccnz .LBB16_16
; %bb.8:                                ;   in Loop: Header=BB16_4 Depth=1
	s_waitcnt vmcnt(0)
	v_mul_f64 v[3:4], s[10:11], v[19:20]
	s_delay_alu instid0(VALU_DEP_1)
	v_fma_f64 v[3:4], s[6:7], v[3:4], v[15:16]
	s_cbranch_execnz .LBB16_10
.LBB16_9:                               ;   in Loop: Header=BB16_4 Depth=1
	s_waitcnt vmcnt(0)
	v_fma_f64 v[3:4], s[10:11], v[19:20], v[15:16]
.LBB16_10:                              ;   in Loop: Header=BB16_4 Depth=1
	s_and_not1_b32 vcc_lo, exec_lo, s24
	s_cbranch_vccnz .LBB16_17
; %bb.11:                               ;   in Loop: Header=BB16_4 Depth=1
	s_waitcnt vmcnt(1)
	v_mul_f64 v[13:14], s[10:11], v[9:10]
	s_delay_alu instid0(VALU_DEP_1)
	v_fma_f64 v[13:14], s[6:7], v[13:14], v[5:6]
	s_cbranch_execnz .LBB16_13
.LBB16_12:                              ;   in Loop: Header=BB16_4 Depth=1
	s_waitcnt vmcnt(1)
	v_fma_f64 v[13:14], s[10:11], v[9:10], v[5:6]
.LBB16_13:                              ;   in Loop: Header=BB16_4 Depth=1
	s_and_not1_b32 vcc_lo, exec_lo, s24
	s_cbranch_vccnz .LBB16_18
; %bb.14:                               ;   in Loop: Header=BB16_4 Depth=1
	s_waitcnt vmcnt(1)
	v_mul_f64 v[5:6], s[10:11], v[11:12]
	s_delay_alu instid0(VALU_DEP_1)
	v_fma_f64 v[15:16], s[6:7], v[5:6], v[7:8]
	s_cbranch_execnz .LBB16_3
	s_branch .LBB16_19
.LBB16_15:                              ;   in Loop: Header=BB16_4 Depth=1
                                        ; implicit-def: $vgpr1_vgpr2
	s_branch .LBB16_6
.LBB16_16:                              ;   in Loop: Header=BB16_4 Depth=1
	s_branch .LBB16_9
.LBB16_17:                              ;   in Loop: Header=BB16_4 Depth=1
                                        ; implicit-def: $vgpr13_vgpr14
	s_branch .LBB16_12
.LBB16_18:                              ;   in Loop: Header=BB16_4 Depth=1
.LBB16_19:                              ;   in Loop: Header=BB16_4 Depth=1
	s_waitcnt vmcnt(1)
	v_fma_f64 v[15:16], s[10:11], v[11:12], v[7:8]
	s_branch .LBB16_3
.LBB16_20:
	s_or_b32 exec_lo, exec_lo, s23
	s_mov_b32 s2, 0
.LBB16_21:
	s_delay_alu instid0(SALU_CYCLE_1)
	s_and_not1_b32 vcc_lo, exec_lo, s2
	s_cbranch_vccnz .LBB16_57
; %bb.22:
	v_cmp_lt_i64_e64 s2, s[8:9], 1
	s_delay_alu instid0(VALU_DEP_1)
	s_and_b32 vcc_lo, exec_lo, s2
	s_cbranch_vccnz .LBB16_57
; %bb.23:
	s_load_b32 s0, s[0:1], 0xc04
	v_dual_mov_b32 v1, 0 :: v_dual_lshlrev_b32 v2, 3, v0
	s_waitcnt lgkmcnt(0)
	v_cmp_neq_f64_e64 s1, s[6:7], 1.0
	v_cmp_gt_u64_e64 s2, 0x10000, s[8:9]
	s_mov_b32 s3, 0
	v_mov_b32_e32 v3, v1
	v_add_co_u32 v26, s12, s14, v2
	s_delay_alu instid0(VALU_DEP_1) | instskip(SKIP_1) | instid1(VALU_DEP_1)
	v_add_co_ci_u32_e64 v27, null, s15, 0, s12
	v_add_co_u32 v28, s12, s16, v2
	v_add_co_ci_u32_e64 v29, null, s17, 0, s12
	s_and_b32 s20, s0, 0xffff
	v_add_co_u32 v30, s0, s18, v2
	v_mad_u64_u32 v[4:5], null, s20, 24, v[2:3]
	v_add_co_ci_u32_e64 v31, null, s19, 0, s0
	s_and_b32 s0, s2, exec_lo
	s_cselect_b32 s13, s9, 0
	s_cselect_b32 s12, s8, 0x10000
	s_lshl_b32 s0, s20, 4
	s_delay_alu instid0(VALU_DEP_2) | instskip(NEXT) | instid1(VALU_DEP_3)
	v_add_co_u32 v32, vcc_lo, s14, v4
	v_add_co_ci_u32_e32 v33, vcc_lo, s15, v5, vcc_lo
	v_add_co_u32 v34, vcc_lo, s16, v4
	v_add_co_u32 v2, s0, s0, v2
	v_add_co_ci_u32_e32 v35, vcc_lo, s17, v5, vcc_lo
	v_add_co_ci_u32_e64 v3, null, 0, 0, s0
	v_add_co_u32 v36, vcc_lo, s18, v4
	v_add_lshl_u32 v4, v0, s20, 3
	v_add_co_ci_u32_e32 v37, vcc_lo, s19, v5, vcc_lo
	v_add_co_u32 v38, vcc_lo, s14, v2
	v_add_co_ci_u32_e32 v39, vcc_lo, s15, v3, vcc_lo
	s_delay_alu instid0(VALU_DEP_4)
	v_add_co_u32 v44, s0, s14, v4
	v_add_co_u32 v40, vcc_lo, s16, v2
	v_add_co_ci_u32_e64 v45, null, s15, 0, s0
	v_add_co_u32 v46, s0, s16, v4
	v_add_co_ci_u32_e32 v41, vcc_lo, s17, v3, vcc_lo
	v_add_co_u32 v42, vcc_lo, s18, v2
	v_add_co_ci_u32_e64 v47, null, s17, 0, s0
	v_add_co_u32 v48, s0, s18, v4
	v_add_co_ci_u32_e32 v43, vcc_lo, s19, v3, vcc_lo
	v_add_co_ci_u32_e64 v49, null, s19, 0, s0
	s_lshl_b32 s2, s20, 2
	s_lshl_b32 s21, s20, 1
	s_mul_i32 s22, s20, 3
	s_lshl_b32 s16, s20, 5
	s_mov_b64 s[14:15], s[2:3]
	s_branch .LBB16_25
.LBB16_24:                              ;   in Loop: Header=BB16_25 Depth=1
	s_or_b32 exec_lo, exec_lo, s0
	v_add_co_u32 v26, vcc_lo, v26, s16
	v_add_co_ci_u32_e32 v27, vcc_lo, 0, v27, vcc_lo
	v_add_co_u32 v28, vcc_lo, v28, s16
	v_add_co_ci_u32_e32 v29, vcc_lo, 0, v29, vcc_lo
	v_add_co_u32 v30, vcc_lo, v30, s16
	v_add_co_ci_u32_e32 v31, vcc_lo, 0, v31, vcc_lo
	v_add_co_u32 v0, vcc_lo, v0, s2
	v_add_co_ci_u32_e32 v1, vcc_lo, 0, v1, vcc_lo
	v_add_co_u32 v32, vcc_lo, v32, s16
	v_add_co_ci_u32_e32 v33, vcc_lo, 0, v33, vcc_lo
	v_add_co_u32 v34, vcc_lo, v34, s16
	v_add_co_ci_u32_e32 v35, vcc_lo, 0, v35, vcc_lo
	v_add_co_u32 v36, vcc_lo, v36, s16
	v_add_co_ci_u32_e32 v37, vcc_lo, 0, v37, vcc_lo
	v_add_co_u32 v38, vcc_lo, v38, s16
	v_add_co_ci_u32_e32 v39, vcc_lo, 0, v39, vcc_lo
	v_add_co_u32 v40, vcc_lo, v40, s16
	v_add_co_ci_u32_e32 v41, vcc_lo, 0, v41, vcc_lo
	v_add_co_u32 v42, vcc_lo, v42, s16
	v_add_co_ci_u32_e32 v43, vcc_lo, 0, v43, vcc_lo
	v_add_co_u32 v44, vcc_lo, v44, s16
	v_add_co_ci_u32_e32 v45, vcc_lo, 0, v45, vcc_lo
	v_cmp_ge_i64_e64 s0, s[14:15], s[8:9]
	v_cmp_lt_u64_e64 s3, 0xffff, s[14:15]
	v_add_co_u32 v46, vcc_lo, v46, s16
	v_add_co_ci_u32_e32 v47, vcc_lo, 0, v47, vcc_lo
	v_add_co_u32 v48, vcc_lo, v48, s16
	v_add_co_ci_u32_e32 v49, vcc_lo, 0, v49, vcc_lo
	s_or_b32 s0, s0, s3
	s_add_u32 s14, s14, s2
	s_addc_u32 s15, s15, 0
	s_and_b32 vcc_lo, exec_lo, s0
	s_cbranch_vccnz .LBB16_57
.LBB16_25:                              ; =>This Inner Loop Header: Depth=1
	s_waitcnt vmcnt(0)
	v_mov_b32_e32 v8, 0
	v_mov_b32_e32 v9, 0
	v_cmp_gt_i64_e32 vcc_lo, s[8:9], v[0:1]
	v_cmp_gt_u64_e64 s0, 0x10000, v[0:1]
	s_delay_alu instid0(VALU_DEP_3) | instskip(SKIP_1) | instid1(VALU_DEP_3)
	v_dual_mov_b32 v13, v9 :: v_dual_mov_b32 v12, v8
	v_dual_mov_b32 v15, v9 :: v_dual_mov_b32 v14, v8
	s_and_b32 s3, vcc_lo, s0
	s_delay_alu instid0(SALU_CYCLE_1)
	s_and_saveexec_b32 s0, s3
	s_cbranch_execz .LBB16_27
; %bb.26:                               ;   in Loop: Header=BB16_25 Depth=1
	v_add_co_u32 v2, vcc_lo, v26, s4
	v_add_co_ci_u32_e32 v3, vcc_lo, s5, v27, vcc_lo
	v_add_co_u32 v4, vcc_lo, v28, s4
	v_add_co_ci_u32_e32 v5, vcc_lo, s5, v29, vcc_lo
	global_load_b64 v[14:15], v[2:3], off
	global_load_b64 v[12:13], v[4:5], off
.LBB16_27:                              ;   in Loop: Header=BB16_25 Depth=1
	s_or_b32 exec_lo, exec_lo, s0
	v_add_co_u32 v2, vcc_lo, s20, v0
	v_add_co_ci_u32_e32 v3, vcc_lo, 0, v1, vcc_lo
	s_waitcnt vmcnt(0)
	v_dual_mov_b32 v17, v9 :: v_dual_mov_b32 v16, v8
	s_delay_alu instid0(VALU_DEP_2) | instskip(SKIP_1) | instid1(VALU_DEP_1)
	v_cmp_gt_i64_e32 vcc_lo, s[8:9], v[2:3]
	v_cmp_gt_u64_e64 s0, 0x10000, v[2:3]
	s_and_b32 s3, vcc_lo, s0
	s_delay_alu instid0(SALU_CYCLE_1)
	s_and_saveexec_b32 s0, s3
	s_cbranch_execz .LBB16_29
; %bb.28:                               ;   in Loop: Header=BB16_25 Depth=1
	v_add_co_u32 v4, vcc_lo, v44, s4
	v_add_co_ci_u32_e32 v5, vcc_lo, s5, v45, vcc_lo
	v_add_co_u32 v6, vcc_lo, v46, s4
	v_add_co_ci_u32_e32 v7, vcc_lo, s5, v47, vcc_lo
	global_load_b64 v[16:17], v[4:5], off
	global_load_b64 v[8:9], v[6:7], off
.LBB16_29:                              ;   in Loop: Header=BB16_25 Depth=1
	s_or_b32 exec_lo, exec_lo, s0
	v_add_co_u32 v4, vcc_lo, s21, v0
	v_add_co_ci_u32_e32 v5, vcc_lo, 0, v1, vcc_lo
	v_mov_b32_e32 v10, 0
	v_mov_b32_e32 v11, 0
	s_delay_alu instid0(VALU_DEP_3) | instskip(SKIP_1) | instid1(VALU_DEP_3)
	v_cmp_gt_i64_e32 vcc_lo, s[8:9], v[4:5]
	v_cmp_gt_u64_e64 s0, 0x10000, v[4:5]
	v_dual_mov_b32 v19, v11 :: v_dual_mov_b32 v18, v10
	v_dual_mov_b32 v21, v11 :: v_dual_mov_b32 v20, v10
	s_delay_alu instid0(VALU_DEP_3) | instskip(NEXT) | instid1(SALU_CYCLE_1)
	s_and_b32 s3, vcc_lo, s0
	s_and_saveexec_b32 s0, s3
	s_cbranch_execz .LBB16_31
; %bb.30:                               ;   in Loop: Header=BB16_25 Depth=1
	v_add_co_u32 v6, vcc_lo, v38, s4
	v_add_co_ci_u32_e32 v7, vcc_lo, s5, v39, vcc_lo
	v_add_co_u32 v18, vcc_lo, v40, s4
	v_add_co_ci_u32_e32 v19, vcc_lo, s5, v41, vcc_lo
	global_load_b64 v[20:21], v[6:7], off
	global_load_b64 v[18:19], v[18:19], off
.LBB16_31:                              ;   in Loop: Header=BB16_25 Depth=1
	s_or_b32 exec_lo, exec_lo, s0
	v_add_co_u32 v6, vcc_lo, s22, v0
	v_add_co_ci_u32_e32 v7, vcc_lo, 0, v1, vcc_lo
	v_dual_mov_b32 v23, v11 :: v_dual_mov_b32 v22, v10
	s_delay_alu instid0(VALU_DEP_2) | instskip(SKIP_1) | instid1(VALU_DEP_1)
	v_cmp_gt_i64_e32 vcc_lo, s[8:9], v[6:7]
	v_cmp_gt_u64_e64 s0, 0x10000, v[6:7]
	s_and_b32 s3, vcc_lo, s0
	s_delay_alu instid0(SALU_CYCLE_1)
	s_and_saveexec_b32 s0, s3
	s_cbranch_execz .LBB16_33
; %bb.32:                               ;   in Loop: Header=BB16_25 Depth=1
	v_add_co_u32 v10, vcc_lo, v32, s4
	v_add_co_ci_u32_e32 v11, vcc_lo, s5, v33, vcc_lo
	v_add_co_u32 v24, vcc_lo, v34, s4
	v_add_co_ci_u32_e32 v25, vcc_lo, s5, v35, vcc_lo
	global_load_b64 v[22:23], v[10:11], off
	global_load_b64 v[10:11], v[24:25], off
.LBB16_33:                              ;   in Loop: Header=BB16_25 Depth=1
	s_or_b32 exec_lo, exec_lo, s0
	s_delay_alu instid0(SALU_CYCLE_1)
	s_and_b32 vcc_lo, exec_lo, s1
	s_cbranch_vccz .LBB16_53
; %bb.34:                               ;   in Loop: Header=BB16_25 Depth=1
	v_mul_f64 v[24:25], s[10:11], v[12:13]
	s_delay_alu instid0(VALU_DEP_1)
	v_fma_f64 v[24:25], s[6:7], v[24:25], v[14:15]
	s_cbranch_execnz .LBB16_36
.LBB16_35:                              ;   in Loop: Header=BB16_25 Depth=1
	v_fma_f64 v[24:25], s[10:11], v[12:13], v[14:15]
.LBB16_36:                              ;   in Loop: Header=BB16_25 Depth=1
	s_and_not1_b32 vcc_lo, exec_lo, s1
	s_cbranch_vccnz .LBB16_54
; %bb.37:                               ;   in Loop: Header=BB16_25 Depth=1
	s_waitcnt vmcnt(0)
	v_mul_f64 v[12:13], s[10:11], v[8:9]
	s_delay_alu instid0(VALU_DEP_1)
	v_fma_f64 v[12:13], s[6:7], v[12:13], v[16:17]
	s_cbranch_execnz .LBB16_39
.LBB16_38:                              ;   in Loop: Header=BB16_25 Depth=1
	s_waitcnt vmcnt(0)
	v_fma_f64 v[12:13], s[10:11], v[8:9], v[16:17]
.LBB16_39:                              ;   in Loop: Header=BB16_25 Depth=1
	s_and_not1_b32 vcc_lo, exec_lo, s1
	s_cbranch_vccnz .LBB16_55
; %bb.40:                               ;   in Loop: Header=BB16_25 Depth=1
	s_waitcnt vmcnt(0)
	v_mul_f64 v[8:9], s[10:11], v[18:19]
	s_delay_alu instid0(VALU_DEP_1)
	v_fma_f64 v[8:9], s[6:7], v[8:9], v[20:21]
	s_cbranch_execnz .LBB16_42
.LBB16_41:                              ;   in Loop: Header=BB16_25 Depth=1
	s_waitcnt vmcnt(0)
	v_fma_f64 v[8:9], s[10:11], v[18:19], v[20:21]
.LBB16_42:                              ;   in Loop: Header=BB16_25 Depth=1
	s_and_not1_b32 vcc_lo, exec_lo, s1
	s_cbranch_vccnz .LBB16_56
; %bb.43:                               ;   in Loop: Header=BB16_25 Depth=1
	s_waitcnt vmcnt(0)
	v_mul_f64 v[14:15], s[10:11], v[10:11]
	s_delay_alu instid0(VALU_DEP_1)
	v_fma_f64 v[14:15], s[6:7], v[14:15], v[22:23]
	s_cbranch_execnz .LBB16_45
.LBB16_44:                              ;   in Loop: Header=BB16_25 Depth=1
	s_waitcnt vmcnt(0)
	v_fma_f64 v[14:15], s[10:11], v[10:11], v[22:23]
.LBB16_45:                              ;   in Loop: Header=BB16_25 Depth=1
	s_mov_b32 s0, exec_lo
	v_cmpx_gt_u64_e64 s[12:13], v[0:1]
	s_xor_b32 s0, exec_lo, s0
	s_cbranch_execz .LBB16_47
; %bb.46:                               ;   in Loop: Header=BB16_25 Depth=1
	s_waitcnt vmcnt(0)
	v_add_co_u32 v10, vcc_lo, v30, s4
	v_add_co_ci_u32_e32 v11, vcc_lo, s5, v31, vcc_lo
	global_store_b64 v[10:11], v[24:25], off
.LBB16_47:                              ;   in Loop: Header=BB16_25 Depth=1
	s_or_b32 exec_lo, exec_lo, s0
	s_delay_alu instid0(SALU_CYCLE_1)
	s_mov_b32 s0, exec_lo
	v_cmpx_gt_u64_e64 s[12:13], v[2:3]
	s_cbranch_execnz .LBB16_50
; %bb.48:                               ;   in Loop: Header=BB16_25 Depth=1
	s_or_b32 exec_lo, exec_lo, s0
	s_delay_alu instid0(SALU_CYCLE_1)
	s_mov_b32 s0, exec_lo
	v_cmpx_gt_u64_e64 s[12:13], v[4:5]
	s_cbranch_execnz .LBB16_51
.LBB16_49:                              ;   in Loop: Header=BB16_25 Depth=1
	s_or_b32 exec_lo, exec_lo, s0
	s_delay_alu instid0(SALU_CYCLE_1)
	s_mov_b32 s0, exec_lo
	v_cmpx_gt_u64_e64 s[12:13], v[6:7]
	s_cbranch_execz .LBB16_24
	s_branch .LBB16_52
.LBB16_50:                              ;   in Loop: Header=BB16_25 Depth=1
	v_add_co_u32 v2, vcc_lo, v48, s4
	v_add_co_ci_u32_e32 v3, vcc_lo, s5, v49, vcc_lo
	global_store_b64 v[2:3], v[12:13], off
	s_or_b32 exec_lo, exec_lo, s0
	s_delay_alu instid0(SALU_CYCLE_1)
	s_mov_b32 s0, exec_lo
	v_cmpx_gt_u64_e64 s[12:13], v[4:5]
	s_cbranch_execz .LBB16_49
.LBB16_51:                              ;   in Loop: Header=BB16_25 Depth=1
	v_add_co_u32 v2, vcc_lo, v42, s4
	v_add_co_ci_u32_e32 v3, vcc_lo, s5, v43, vcc_lo
	s_waitcnt vmcnt(0)
	global_store_b64 v[2:3], v[8:9], off
	s_or_b32 exec_lo, exec_lo, s0
	s_delay_alu instid0(SALU_CYCLE_1)
	s_mov_b32 s0, exec_lo
	v_cmpx_gt_u64_e64 s[12:13], v[6:7]
	s_cbranch_execz .LBB16_24
.LBB16_52:                              ;   in Loop: Header=BB16_25 Depth=1
	v_add_co_u32 v2, vcc_lo, v36, s4
	v_add_co_ci_u32_e32 v3, vcc_lo, s5, v37, vcc_lo
	global_store_b64 v[2:3], v[14:15], off
	s_branch .LBB16_24
.LBB16_53:                              ;   in Loop: Header=BB16_25 Depth=1
                                        ; implicit-def: $vgpr24_vgpr25
	s_branch .LBB16_35
.LBB16_54:                              ;   in Loop: Header=BB16_25 Depth=1
                                        ; implicit-def: $vgpr12_vgpr13
	s_branch .LBB16_38
.LBB16_55:                              ;   in Loop: Header=BB16_25 Depth=1
                                        ; implicit-def: $vgpr8_vgpr9
	s_branch .LBB16_41
.LBB16_56:                              ;   in Loop: Header=BB16_25 Depth=1
                                        ; implicit-def: $vgpr14_vgpr15
	s_branch .LBB16_44
.LBB16_57:
	s_nop 0
	s_sendmsg sendmsg(MSG_DEALLOC_VGPRS)
	s_endpgm
	.section	.rodata,"a",@progbits
	.p2align	6, 0x0
	.amdhsa_kernel _ZN2at6native12_GLOBAL__N_125multi_tensor_apply_kernelINS1_18TensorListMetadataILi4EEENS1_32PointwiseOpScalar0dTensorFunctorIdLi4ELi2ELi3EEEJSt10multipliesIdEdEEEvT_T0_DpT1_
		.amdhsa_group_segment_fixed_size 0
		.amdhsa_private_segment_fixed_size 0
		.amdhsa_kernarg_size 3320
		.amdhsa_user_sgpr_count 15
		.amdhsa_user_sgpr_dispatch_ptr 0
		.amdhsa_user_sgpr_queue_ptr 0
		.amdhsa_user_sgpr_kernarg_segment_ptr 1
		.amdhsa_user_sgpr_dispatch_id 0
		.amdhsa_user_sgpr_private_segment_size 0
		.amdhsa_wavefront_size32 1
		.amdhsa_uses_dynamic_stack 0
		.amdhsa_enable_private_segment 0
		.amdhsa_system_sgpr_workgroup_id_x 1
		.amdhsa_system_sgpr_workgroup_id_y 0
		.amdhsa_system_sgpr_workgroup_id_z 0
		.amdhsa_system_sgpr_workgroup_info 0
		.amdhsa_system_vgpr_workitem_id 0
		.amdhsa_next_free_vgpr 50
		.amdhsa_next_free_sgpr 30
		.amdhsa_reserve_vcc 1
		.amdhsa_float_round_mode_32 0
		.amdhsa_float_round_mode_16_64 0
		.amdhsa_float_denorm_mode_32 3
		.amdhsa_float_denorm_mode_16_64 3
		.amdhsa_dx10_clamp 1
		.amdhsa_ieee_mode 1
		.amdhsa_fp16_overflow 0
		.amdhsa_workgroup_processor_mode 1
		.amdhsa_memory_ordered 1
		.amdhsa_forward_progress 0
		.amdhsa_shared_vgpr_count 0
		.amdhsa_exception_fp_ieee_invalid_op 0
		.amdhsa_exception_fp_denorm_src 0
		.amdhsa_exception_fp_ieee_div_zero 0
		.amdhsa_exception_fp_ieee_overflow 0
		.amdhsa_exception_fp_ieee_underflow 0
		.amdhsa_exception_fp_ieee_inexact 0
		.amdhsa_exception_int_div_zero 0
	.end_amdhsa_kernel
	.section	.text._ZN2at6native12_GLOBAL__N_125multi_tensor_apply_kernelINS1_18TensorListMetadataILi4EEENS1_32PointwiseOpScalar0dTensorFunctorIdLi4ELi2ELi3EEEJSt10multipliesIdEdEEEvT_T0_DpT1_,"axG",@progbits,_ZN2at6native12_GLOBAL__N_125multi_tensor_apply_kernelINS1_18TensorListMetadataILi4EEENS1_32PointwiseOpScalar0dTensorFunctorIdLi4ELi2ELi3EEEJSt10multipliesIdEdEEEvT_T0_DpT1_,comdat
.Lfunc_end16:
	.size	_ZN2at6native12_GLOBAL__N_125multi_tensor_apply_kernelINS1_18TensorListMetadataILi4EEENS1_32PointwiseOpScalar0dTensorFunctorIdLi4ELi2ELi3EEEJSt10multipliesIdEdEEEvT_T0_DpT1_, .Lfunc_end16-_ZN2at6native12_GLOBAL__N_125multi_tensor_apply_kernelINS1_18TensorListMetadataILi4EEENS1_32PointwiseOpScalar0dTensorFunctorIdLi4ELi2ELi3EEEJSt10multipliesIdEdEEEvT_T0_DpT1_
                                        ; -- End function
	.section	.AMDGPU.csdata,"",@progbits
; Kernel info:
; codeLenInByte = 2200
; NumSgprs: 32
; NumVgprs: 50
; ScratchSize: 0
; MemoryBound: 1
; FloatMode: 240
; IeeeMode: 1
; LDSByteSize: 0 bytes/workgroup (compile time only)
; SGPRBlocks: 3
; VGPRBlocks: 6
; NumSGPRsForWavesPerEU: 32
; NumVGPRsForWavesPerEU: 50
; Occupancy: 16
; WaveLimiterHint : 0
; COMPUTE_PGM_RSRC2:SCRATCH_EN: 0
; COMPUTE_PGM_RSRC2:USER_SGPR: 15
; COMPUTE_PGM_RSRC2:TRAP_HANDLER: 0
; COMPUTE_PGM_RSRC2:TGID_X_EN: 1
; COMPUTE_PGM_RSRC2:TGID_Y_EN: 0
; COMPUTE_PGM_RSRC2:TGID_Z_EN: 0
; COMPUTE_PGM_RSRC2:TIDIG_COMP_CNT: 0
	.section	.text._ZN2at6native12_GLOBAL__N_125multi_tensor_apply_kernelINS1_18TensorListMetadataILi4EEENS1_32PointwiseOpScalar0dTensorFunctorIfLi4ELi2ELi3EEEJSt10multipliesIfEfEEEvT_T0_DpT1_,"axG",@progbits,_ZN2at6native12_GLOBAL__N_125multi_tensor_apply_kernelINS1_18TensorListMetadataILi4EEENS1_32PointwiseOpScalar0dTensorFunctorIfLi4ELi2ELi3EEEJSt10multipliesIfEfEEEvT_T0_DpT1_,comdat
	.globl	_ZN2at6native12_GLOBAL__N_125multi_tensor_apply_kernelINS1_18TensorListMetadataILi4EEENS1_32PointwiseOpScalar0dTensorFunctorIfLi4ELi2ELi3EEEJSt10multipliesIfEfEEEvT_T0_DpT1_ ; -- Begin function _ZN2at6native12_GLOBAL__N_125multi_tensor_apply_kernelINS1_18TensorListMetadataILi4EEENS1_32PointwiseOpScalar0dTensorFunctorIfLi4ELi2ELi3EEEJSt10multipliesIfEfEEEvT_T0_DpT1_
	.p2align	8
	.type	_ZN2at6native12_GLOBAL__N_125multi_tensor_apply_kernelINS1_18TensorListMetadataILi4EEENS1_32PointwiseOpScalar0dTensorFunctorIfLi4ELi2ELi3EEEJSt10multipliesIfEfEEEvT_T0_DpT1_,@function
_ZN2at6native12_GLOBAL__N_125multi_tensor_apply_kernelINS1_18TensorListMetadataILi4EEENS1_32PointwiseOpScalar0dTensorFunctorIfLi4ELi2ELi3EEEJSt10multipliesIfEfEEEvT_T0_DpT1_: ; @_ZN2at6native12_GLOBAL__N_125multi_tensor_apply_kernelINS1_18TensorListMetadataILi4EEENS1_32PointwiseOpScalar0dTensorFunctorIfLi4ELi2ELi3EEEJSt10multipliesIfEfEEEvT_T0_DpT1_
; %bb.0:
	v_mov_b32_e32 v1, s15
	s_add_u32 s2, s0, s15
	s_mul_hi_u32 s3, s15, 3
	s_mul_i32 s15, s15, 3
	s_addc_u32 s4, s1, 0
	global_load_u8 v1, v1, s[0:1] offset:1440
	s_add_u32 s2, s2, s15
	s_addc_u32 s3, s4, s3
	s_mov_b32 s25, 0
	s_load_b32 s6, s[2:3], 0x6e0
	s_mov_b32 s17, s25
	s_mov_b32 s29, s25
	s_waitcnt lgkmcnt(0)
	s_ashr_i32 s7, s6, 31
	s_delay_alu instid0(SALU_CYCLE_1) | instskip(SKIP_2) | instid1(VALU_DEP_1)
	s_lshl_b64 s[4:5], s[6:7], 18
	s_waitcnt vmcnt(0)
	v_readfirstlane_b32 s2, v1
	s_lshl_b32 s2, s2, 3
	s_clause 0x4
	s_load_b64 s[10:11], s[0:1], s2 offset:0x0
	s_load_b64 s[22:23], s[0:1], s2 offset:0x120
	;; [unrolled: 1-line block ×5, first 2 shown]
	s_waitcnt lgkmcnt(0)
	s_add_u32 s3, s10, s4
	s_addc_u32 s8, s11, s5
	s_add_u32 s2, s22, s4
	s_and_b32 s24, s3, 15
	s_and_b32 s16, s2, 15
	s_delay_alu instid0(SALU_CYCLE_1)
	s_cmp_lg_u64 s[16:17], 0
	s_cselect_b32 s2, -1, 0
	s_add_u32 s9, s12, s4
	s_addc_u32 s18, s13, s5
	s_add_u32 s19, s14, s4
	s_addc_u32 s20, s15, s5
	s_or_b32 s16, s19, s9
	s_delay_alu instid0(SALU_CYCLE_1)
	s_and_b32 s17, s16, 15
	s_load_b32 s16, s[0:1], 0xbec
	s_cmp_lg_u32 s17, 0
	s_cselect_b32 s17, -1, 0
	s_lshl_b64 s[6:7], s[6:7], 16
	s_or_b32 s2, s17, s2
	s_load_b32 s17, s[22:23], 0x0
	s_sub_u32 s6, s26, s6
	s_subb_u32 s7, s27, s7
	s_and_b32 s28, s26, 3
	s_delay_alu instid0(SALU_CYCLE_1) | instskip(NEXT) | instid1(SALU_CYCLE_1)
	s_or_b64 s[22:23], s[24:25], s[28:29]
	s_cmp_lg_u64 s[22:23], 0
	s_cselect_b32 s21, -1, 0
	s_delay_alu instid0(SALU_CYCLE_1) | instskip(NEXT) | instid1(SALU_CYCLE_1)
	s_or_b32 s2, s2, s21
	s_and_not1_b32 vcc_lo, exec_lo, s2
	s_mov_b32 s2, -1
	s_cbranch_vccz .LBB17_21
; %bb.1:
	v_dual_mov_b32 v11, 0 :: v_dual_lshlrev_b32 v10, 2, v0
	s_mov_b32 s21, exec_lo
	s_delay_alu instid0(VALU_DEP_1)
	v_cmpx_gt_i64_e64 s[6:7], v[10:11]
	s_cbranch_execz .LBB17_20
; %bb.2:
	s_load_b32 s2, s[0:1], 0xbfc
	v_lshlrev_b32_e32 v12, 4, v0
	s_waitcnt lgkmcnt(0)
	v_cmp_neq_f32_e64 s22, s16, 1.0
	s_mov_b32 s23, 0
	s_and_b32 s2, s2, 0xffff
	s_delay_alu instid0(SALU_CYCLE_1)
	v_add_lshl_u32 v10, v0, s2, 2
	s_lshl_b32 s24, s2, 2
	s_lshl_b32 s25, s2, 4
	s_branch .LBB17_4
.LBB17_3:                               ;   in Loop: Header=BB17_4 Depth=1
	v_cmp_le_i64_e32 vcc_lo, s[6:7], v[10:11]
	v_cmp_lt_u64_e64 s2, 0xffff, v[10:11]
	s_waitcnt vmcnt(1)
	v_add_co_u32 v5, s26, s19, v12
	s_waitcnt vmcnt(0)
	v_add_co_ci_u32_e64 v6, null, s20, 0, s26
	s_delay_alu instid0(VALU_DEP_3)
	s_or_b32 s2, vcc_lo, s2
	s_add_u32 s3, s3, s25
	s_addc_u32 s8, s8, 0
	s_add_u32 s19, s19, s25
	v_add_co_u32 v10, vcc_lo, v10, s24
	s_addc_u32 s20, s20, 0
	s_add_u32 s9, s9, s25
	v_add_co_ci_u32_e32 v11, vcc_lo, 0, v11, vcc_lo
	s_addc_u32 s18, s18, 0
	s_and_b32 s2, exec_lo, s2
	global_store_b128 v[5:6], v[1:4], off
	s_or_b32 s23, s2, s23
	s_delay_alu instid0(SALU_CYCLE_1)
	s_and_not1_b32 exec_lo, exec_lo, s23
	s_cbranch_execz .LBB17_20
.LBB17_4:                               ; =>This Inner Loop Header: Depth=1
	v_add_co_u32 v1, s2, s3, v12
	s_delay_alu instid0(VALU_DEP_1) | instskip(SKIP_1) | instid1(VALU_DEP_1)
	v_add_co_ci_u32_e64 v2, null, s8, 0, s2
	v_add_co_u32 v6, s2, s9, v12
	v_add_co_ci_u32_e64 v7, null, s18, 0, s2
	global_load_b128 v[2:5], v[1:2], off
	global_load_b128 v[6:9], v[6:7], off
	s_and_b32 vcc_lo, exec_lo, s22
	s_cbranch_vccz .LBB17_15
; %bb.5:                                ;   in Loop: Header=BB17_4 Depth=1
	s_waitcnt vmcnt(0)
	v_mul_f32_e32 v1, s17, v6
	s_delay_alu instid0(VALU_DEP_1)
	v_fma_f32 v1, s16, v1, v2
	s_cbranch_execnz .LBB17_7
.LBB17_6:                               ;   in Loop: Header=BB17_4 Depth=1
	s_waitcnt vmcnt(0)
	v_fma_f32 v1, s17, v6, v2
.LBB17_7:                               ;   in Loop: Header=BB17_4 Depth=1
	s_and_not1_b32 vcc_lo, exec_lo, s22
	s_cbranch_vccnz .LBB17_16
; %bb.8:                                ;   in Loop: Header=BB17_4 Depth=1
	s_waitcnt vmcnt(0)
	v_mul_f32_e32 v2, s17, v7
	s_delay_alu instid0(VALU_DEP_1)
	v_fma_f32 v2, s16, v2, v3
	s_cbranch_execnz .LBB17_10
.LBB17_9:                               ;   in Loop: Header=BB17_4 Depth=1
	s_waitcnt vmcnt(0)
	v_fma_f32 v2, s17, v7, v3
.LBB17_10:                              ;   in Loop: Header=BB17_4 Depth=1
	s_and_not1_b32 vcc_lo, exec_lo, s22
	s_cbranch_vccnz .LBB17_17
; %bb.11:                               ;   in Loop: Header=BB17_4 Depth=1
	s_waitcnt vmcnt(0)
	v_mul_f32_e32 v3, s17, v8
	s_delay_alu instid0(VALU_DEP_1)
	v_fma_f32 v3, s16, v3, v4
	s_cbranch_execnz .LBB17_13
.LBB17_12:                              ;   in Loop: Header=BB17_4 Depth=1
	s_waitcnt vmcnt(0)
	v_fma_f32 v3, s17, v8, v4
.LBB17_13:                              ;   in Loop: Header=BB17_4 Depth=1
	s_and_not1_b32 vcc_lo, exec_lo, s22
	s_cbranch_vccnz .LBB17_18
; %bb.14:                               ;   in Loop: Header=BB17_4 Depth=1
	s_waitcnt vmcnt(0)
	v_mul_f32_e32 v4, s17, v9
	s_delay_alu instid0(VALU_DEP_1)
	v_fma_f32 v4, s16, v4, v5
	s_cbranch_execnz .LBB17_3
	s_branch .LBB17_19
.LBB17_15:                              ;   in Loop: Header=BB17_4 Depth=1
                                        ; implicit-def: $vgpr1
	s_branch .LBB17_6
.LBB17_16:                              ;   in Loop: Header=BB17_4 Depth=1
	s_branch .LBB17_9
.LBB17_17:                              ;   in Loop: Header=BB17_4 Depth=1
	s_branch .LBB17_12
.LBB17_18:                              ;   in Loop: Header=BB17_4 Depth=1
.LBB17_19:                              ;   in Loop: Header=BB17_4 Depth=1
	s_waitcnt vmcnt(0)
	v_fmac_f32_e32 v5, s17, v9
	s_delay_alu instid0(VALU_DEP_1)
	v_mov_b32_e32 v4, v5
	s_branch .LBB17_3
.LBB17_20:
	s_or_b32 exec_lo, exec_lo, s21
	s_mov_b32 s2, 0
.LBB17_21:
	s_delay_alu instid0(SALU_CYCLE_1)
	s_and_not1_b32 vcc_lo, exec_lo, s2
	s_cbranch_vccnz .LBB17_57
; %bb.22:
	v_cmp_lt_i64_e64 s2, s[6:7], 1
	s_delay_alu instid0(VALU_DEP_1)
	s_and_b32 vcc_lo, exec_lo, s2
	s_cbranch_vccnz .LBB17_57
; %bb.23:
	s_load_b32 s0, s[0:1], 0xbfc
	v_dual_mov_b32 v1, 0 :: v_dual_lshlrev_b32 v2, 2, v0
	v_cmp_gt_u64_e64 s2, 0x10000, s[6:7]
	s_waitcnt lgkmcnt(0)
	v_cmp_neq_f32_e64 s1, s16, 1.0
	s_mov_b32 s3, 0
	v_mov_b32_e32 v3, v1
	v_add_co_u32 v8, s8, s10, v2
	s_delay_alu instid0(VALU_DEP_1) | instskip(SKIP_1) | instid1(VALU_DEP_1)
	v_add_co_ci_u32_e64 v9, null, s11, 0, s8
	v_add_co_u32 v10, s8, s12, v2
	v_add_co_ci_u32_e64 v11, null, s13, 0, s8
	s_and_b32 s18, s0, 0xffff
	v_add_co_u32 v12, s0, s14, v2
	v_mad_u64_u32 v[4:5], null, s18, 12, v[2:3]
	v_add_co_ci_u32_e64 v13, null, s15, 0, s0
	s_and_b32 s0, s2, exec_lo
	s_cselect_b32 s9, s7, 0
	s_cselect_b32 s8, s6, 0x10000
	s_lshl_b32 s0, s18, 3
	s_delay_alu instid0(VALU_DEP_2) | instskip(NEXT) | instid1(VALU_DEP_3)
	v_add_co_u32 v14, vcc_lo, s10, v4
	v_add_co_ci_u32_e32 v15, vcc_lo, s11, v5, vcc_lo
	v_add_co_u32 v16, vcc_lo, s12, v4
	v_add_co_u32 v2, s0, s0, v2
	v_add_co_ci_u32_e32 v17, vcc_lo, s13, v5, vcc_lo
	v_add_co_ci_u32_e64 v3, null, 0, 0, s0
	v_add_co_u32 v18, vcc_lo, s14, v4
	v_add_lshl_u32 v4, v0, s18, 2
	v_add_co_ci_u32_e32 v19, vcc_lo, s15, v5, vcc_lo
	v_add_co_u32 v20, vcc_lo, s10, v2
	v_add_co_ci_u32_e32 v21, vcc_lo, s11, v3, vcc_lo
	s_delay_alu instid0(VALU_DEP_4)
	v_add_co_u32 v26, s0, s10, v4
	v_add_co_u32 v22, vcc_lo, s12, v2
	v_add_co_ci_u32_e64 v27, null, s11, 0, s0
	v_add_co_u32 v28, s0, s12, v4
	v_add_co_ci_u32_e32 v23, vcc_lo, s13, v3, vcc_lo
	v_add_co_u32 v24, vcc_lo, s14, v2
	v_add_co_ci_u32_e64 v29, null, s13, 0, s0
	v_add_co_u32 v30, s0, s14, v4
	v_add_co_ci_u32_e32 v25, vcc_lo, s15, v3, vcc_lo
	v_add_co_ci_u32_e64 v31, null, s15, 0, s0
	s_lshl_b32 s2, s18, 2
	s_lshl_b32 s19, s18, 1
	s_mul_i32 s20, s18, 3
	s_lshl_b32 s12, s18, 4
	s_mov_b64 s[10:11], s[2:3]
	s_branch .LBB17_25
.LBB17_24:                              ;   in Loop: Header=BB17_25 Depth=1
	s_or_b32 exec_lo, exec_lo, s0
	v_add_co_u32 v8, vcc_lo, v8, s12
	v_add_co_ci_u32_e32 v9, vcc_lo, 0, v9, vcc_lo
	v_add_co_u32 v10, vcc_lo, v10, s12
	v_add_co_ci_u32_e32 v11, vcc_lo, 0, v11, vcc_lo
	;; [unrolled: 2-line block ×11, first 2 shown]
	v_cmp_ge_i64_e64 s0, s[10:11], s[6:7]
	v_cmp_lt_u64_e64 s3, 0xffff, s[10:11]
	v_add_co_u32 v28, vcc_lo, v28, s12
	v_add_co_ci_u32_e32 v29, vcc_lo, 0, v29, vcc_lo
	v_add_co_u32 v30, vcc_lo, v30, s12
	v_add_co_ci_u32_e32 v31, vcc_lo, 0, v31, vcc_lo
	s_or_b32 s0, s0, s3
	s_add_u32 s10, s10, s2
	s_addc_u32 s11, s11, 0
	s_and_b32 vcc_lo, exec_lo, s0
	s_cbranch_vccnz .LBB17_57
.LBB17_25:                              ; =>This Inner Loop Header: Depth=1
	v_cmp_gt_i64_e32 vcc_lo, s[6:7], v[0:1]
	v_cmp_gt_u64_e64 s0, 0x10000, v[0:1]
	s_waitcnt vmcnt(0)
	v_dual_mov_b32 v34, 0 :: v_dual_mov_b32 v33, 0
	s_delay_alu instid0(VALU_DEP_2) | instskip(NEXT) | instid1(SALU_CYCLE_1)
	s_and_b32 s3, vcc_lo, s0
	s_and_saveexec_b32 s0, s3
	s_cbranch_execz .LBB17_27
; %bb.26:                               ;   in Loop: Header=BB17_25 Depth=1
	v_add_co_u32 v2, vcc_lo, v8, s4
	v_add_co_ci_u32_e32 v3, vcc_lo, s5, v9, vcc_lo
	v_add_co_u32 v4, vcc_lo, v10, s4
	v_add_co_ci_u32_e32 v5, vcc_lo, s5, v11, vcc_lo
	global_load_b32 v33, v[2:3], off
	global_load_b32 v34, v[4:5], off
.LBB17_27:                              ;   in Loop: Header=BB17_25 Depth=1
	s_or_b32 exec_lo, exec_lo, s0
	v_add_co_u32 v2, vcc_lo, s18, v0
	v_add_co_ci_u32_e32 v3, vcc_lo, 0, v1, vcc_lo
	v_dual_mov_b32 v32, 0 :: v_dual_mov_b32 v35, 0
	v_mov_b32_e32 v36, 0
	s_delay_alu instid0(VALU_DEP_3) | instskip(SKIP_1) | instid1(VALU_DEP_1)
	v_cmp_gt_i64_e32 vcc_lo, s[6:7], v[2:3]
	v_cmp_gt_u64_e64 s0, 0x10000, v[2:3]
	s_and_b32 s3, vcc_lo, s0
	s_delay_alu instid0(SALU_CYCLE_1)
	s_and_saveexec_b32 s0, s3
	s_cbranch_execz .LBB17_29
; %bb.28:                               ;   in Loop: Header=BB17_25 Depth=1
	v_add_co_u32 v4, vcc_lo, v26, s4
	v_add_co_ci_u32_e32 v5, vcc_lo, s5, v27, vcc_lo
	v_add_co_u32 v6, vcc_lo, v28, s4
	v_add_co_ci_u32_e32 v7, vcc_lo, s5, v29, vcc_lo
	global_load_b32 v35, v[4:5], off
	global_load_b32 v36, v[6:7], off
.LBB17_29:                              ;   in Loop: Header=BB17_25 Depth=1
	s_or_b32 exec_lo, exec_lo, s0
	v_add_co_u32 v4, vcc_lo, s19, v0
	v_add_co_ci_u32_e32 v5, vcc_lo, 0, v1, vcc_lo
	v_mov_b32_e32 v37, 0
	s_delay_alu instid0(VALU_DEP_2) | instskip(SKIP_1) | instid1(VALU_DEP_1)
	v_cmp_gt_i64_e32 vcc_lo, s[6:7], v[4:5]
	v_cmp_gt_u64_e64 s0, 0x10000, v[4:5]
	s_and_b32 s3, vcc_lo, s0
	s_delay_alu instid0(SALU_CYCLE_1)
	s_and_saveexec_b32 s0, s3
	s_cbranch_execz .LBB17_31
; %bb.30:                               ;   in Loop: Header=BB17_25 Depth=1
	v_add_co_u32 v6, vcc_lo, v20, s4
	v_add_co_ci_u32_e32 v7, vcc_lo, s5, v21, vcc_lo
	v_add_co_u32 v38, vcc_lo, v22, s4
	v_add_co_ci_u32_e32 v39, vcc_lo, s5, v23, vcc_lo
	global_load_b32 v37, v[6:7], off
	global_load_b32 v32, v[38:39], off
.LBB17_31:                              ;   in Loop: Header=BB17_25 Depth=1
	s_or_b32 exec_lo, exec_lo, s0
	v_add_co_u32 v6, vcc_lo, s20, v0
	v_add_co_ci_u32_e32 v7, vcc_lo, 0, v1, vcc_lo
	v_dual_mov_b32 v38, 0 :: v_dual_mov_b32 v39, 0
	s_delay_alu instid0(VALU_DEP_2) | instskip(SKIP_1) | instid1(VALU_DEP_1)
	v_cmp_gt_i64_e32 vcc_lo, s[6:7], v[6:7]
	v_cmp_gt_u64_e64 s0, 0x10000, v[6:7]
	s_and_b32 s3, vcc_lo, s0
	s_delay_alu instid0(SALU_CYCLE_1)
	s_and_saveexec_b32 s0, s3
	s_cbranch_execz .LBB17_33
; %bb.32:                               ;   in Loop: Header=BB17_25 Depth=1
	v_add_co_u32 v38, vcc_lo, v14, s4
	v_add_co_ci_u32_e32 v39, vcc_lo, s5, v15, vcc_lo
	v_add_co_u32 v40, vcc_lo, v16, s4
	v_add_co_ci_u32_e32 v41, vcc_lo, s5, v17, vcc_lo
	global_load_b32 v39, v[38:39], off
	global_load_b32 v38, v[40:41], off
.LBB17_33:                              ;   in Loop: Header=BB17_25 Depth=1
	s_or_b32 exec_lo, exec_lo, s0
	s_delay_alu instid0(SALU_CYCLE_1)
	s_and_b32 vcc_lo, exec_lo, s1
	s_cbranch_vccz .LBB17_53
; %bb.34:                               ;   in Loop: Header=BB17_25 Depth=1
	s_waitcnt vmcnt(0)
	v_mul_f32_e32 v40, s17, v34
	s_delay_alu instid0(VALU_DEP_1)
	v_fma_f32 v40, s16, v40, v33
	s_cbranch_execnz .LBB17_36
.LBB17_35:                              ;   in Loop: Header=BB17_25 Depth=1
	s_waitcnt vmcnt(0)
	v_fmac_f32_e32 v33, s17, v34
	s_delay_alu instid0(VALU_DEP_1)
	v_mov_b32_e32 v40, v33
.LBB17_36:                              ;   in Loop: Header=BB17_25 Depth=1
	s_and_not1_b32 vcc_lo, exec_lo, s1
	s_cbranch_vccnz .LBB17_54
; %bb.37:                               ;   in Loop: Header=BB17_25 Depth=1
	s_waitcnt vmcnt(0)
	v_mul_f32_e32 v33, s17, v36
	s_delay_alu instid0(VALU_DEP_1)
	v_fma_f32 v33, s16, v33, v35
	s_cbranch_execnz .LBB17_39
.LBB17_38:                              ;   in Loop: Header=BB17_25 Depth=1
	s_waitcnt vmcnt(0)
	v_fmac_f32_e32 v35, s17, v36
	s_delay_alu instid0(VALU_DEP_1)
	v_mov_b32_e32 v33, v35
.LBB17_39:                              ;   in Loop: Header=BB17_25 Depth=1
	s_and_not1_b32 vcc_lo, exec_lo, s1
	s_cbranch_vccnz .LBB17_55
; %bb.40:                               ;   in Loop: Header=BB17_25 Depth=1
	s_waitcnt vmcnt(0)
	v_mul_f32_e32 v34, s17, v32
	s_delay_alu instid0(VALU_DEP_1)
	v_fma_f32 v34, s16, v34, v37
	s_cbranch_execnz .LBB17_42
.LBB17_41:                              ;   in Loop: Header=BB17_25 Depth=1
	s_waitcnt vmcnt(0)
	v_fmac_f32_e32 v37, s17, v32
	s_delay_alu instid0(VALU_DEP_1)
	v_mov_b32_e32 v34, v37
.LBB17_42:                              ;   in Loop: Header=BB17_25 Depth=1
	s_and_not1_b32 vcc_lo, exec_lo, s1
	s_cbranch_vccnz .LBB17_56
; %bb.43:                               ;   in Loop: Header=BB17_25 Depth=1
	s_waitcnt vmcnt(0)
	v_mul_f32_e32 v32, s17, v38
	s_delay_alu instid0(VALU_DEP_1)
	v_fma_f32 v32, s16, v32, v39
	s_cbranch_execnz .LBB17_45
.LBB17_44:                              ;   in Loop: Header=BB17_25 Depth=1
	s_waitcnt vmcnt(0)
	v_fmac_f32_e32 v39, s17, v38
	s_delay_alu instid0(VALU_DEP_1)
	v_mov_b32_e32 v32, v39
.LBB17_45:                              ;   in Loop: Header=BB17_25 Depth=1
	s_mov_b32 s0, exec_lo
	v_cmpx_gt_u64_e64 s[8:9], v[0:1]
	s_xor_b32 s0, exec_lo, s0
	s_cbranch_execz .LBB17_47
; %bb.46:                               ;   in Loop: Header=BB17_25 Depth=1
	s_waitcnt vmcnt(1)
	v_add_co_u32 v35, vcc_lo, v12, s4
	s_waitcnt vmcnt(0)
	v_add_co_ci_u32_e32 v36, vcc_lo, s5, v13, vcc_lo
	global_store_b32 v[35:36], v40, off
.LBB17_47:                              ;   in Loop: Header=BB17_25 Depth=1
	s_or_b32 exec_lo, exec_lo, s0
	s_delay_alu instid0(SALU_CYCLE_1)
	s_mov_b32 s0, exec_lo
	v_cmpx_gt_u64_e64 s[8:9], v[2:3]
	s_cbranch_execnz .LBB17_50
; %bb.48:                               ;   in Loop: Header=BB17_25 Depth=1
	s_or_b32 exec_lo, exec_lo, s0
	s_delay_alu instid0(SALU_CYCLE_1)
	s_mov_b32 s0, exec_lo
	v_cmpx_gt_u64_e64 s[8:9], v[4:5]
	s_cbranch_execnz .LBB17_51
.LBB17_49:                              ;   in Loop: Header=BB17_25 Depth=1
	s_or_b32 exec_lo, exec_lo, s0
	s_delay_alu instid0(SALU_CYCLE_1)
	s_mov_b32 s0, exec_lo
	v_cmpx_gt_u64_e64 s[8:9], v[6:7]
	s_cbranch_execz .LBB17_24
	s_branch .LBB17_52
.LBB17_50:                              ;   in Loop: Header=BB17_25 Depth=1
	v_add_co_u32 v2, vcc_lo, v30, s4
	v_add_co_ci_u32_e32 v3, vcc_lo, s5, v31, vcc_lo
	s_waitcnt vmcnt(1)
	global_store_b32 v[2:3], v33, off
	s_or_b32 exec_lo, exec_lo, s0
	s_delay_alu instid0(SALU_CYCLE_1)
	s_mov_b32 s0, exec_lo
	v_cmpx_gt_u64_e64 s[8:9], v[4:5]
	s_cbranch_execz .LBB17_49
.LBB17_51:                              ;   in Loop: Header=BB17_25 Depth=1
	v_add_co_u32 v2, vcc_lo, v24, s4
	v_add_co_ci_u32_e32 v3, vcc_lo, s5, v25, vcc_lo
	s_waitcnt vmcnt(0)
	global_store_b32 v[2:3], v34, off
	s_or_b32 exec_lo, exec_lo, s0
	s_delay_alu instid0(SALU_CYCLE_1)
	s_mov_b32 s0, exec_lo
	v_cmpx_gt_u64_e64 s[8:9], v[6:7]
	s_cbranch_execz .LBB17_24
.LBB17_52:                              ;   in Loop: Header=BB17_25 Depth=1
	v_add_co_u32 v2, vcc_lo, v18, s4
	v_add_co_ci_u32_e32 v3, vcc_lo, s5, v19, vcc_lo
	s_waitcnt vmcnt(0)
	global_store_b32 v[2:3], v32, off
	s_branch .LBB17_24
.LBB17_53:                              ;   in Loop: Header=BB17_25 Depth=1
                                        ; implicit-def: $vgpr40
	s_branch .LBB17_35
.LBB17_54:                              ;   in Loop: Header=BB17_25 Depth=1
                                        ; implicit-def: $vgpr33
	s_branch .LBB17_38
.LBB17_55:                              ;   in Loop: Header=BB17_25 Depth=1
                                        ; implicit-def: $vgpr34
	s_branch .LBB17_41
.LBB17_56:                              ;   in Loop: Header=BB17_25 Depth=1
                                        ; implicit-def: $vgpr32
	s_branch .LBB17_44
.LBB17_57:
	s_nop 0
	s_sendmsg sendmsg(MSG_DEALLOC_VGPRS)
	s_endpgm
	.section	.rodata,"a",@progbits
	.p2align	6, 0x0
	.amdhsa_kernel _ZN2at6native12_GLOBAL__N_125multi_tensor_apply_kernelINS1_18TensorListMetadataILi4EEENS1_32PointwiseOpScalar0dTensorFunctorIfLi4ELi2ELi3EEEJSt10multipliesIfEfEEEvT_T0_DpT1_
		.amdhsa_group_segment_fixed_size 0
		.amdhsa_private_segment_fixed_size 0
		.amdhsa_kernarg_size 3312
		.amdhsa_user_sgpr_count 15
		.amdhsa_user_sgpr_dispatch_ptr 0
		.amdhsa_user_sgpr_queue_ptr 0
		.amdhsa_user_sgpr_kernarg_segment_ptr 1
		.amdhsa_user_sgpr_dispatch_id 0
		.amdhsa_user_sgpr_private_segment_size 0
		.amdhsa_wavefront_size32 1
		.amdhsa_uses_dynamic_stack 0
		.amdhsa_enable_private_segment 0
		.amdhsa_system_sgpr_workgroup_id_x 1
		.amdhsa_system_sgpr_workgroup_id_y 0
		.amdhsa_system_sgpr_workgroup_id_z 0
		.amdhsa_system_sgpr_workgroup_info 0
		.amdhsa_system_vgpr_workitem_id 0
		.amdhsa_next_free_vgpr 42
		.amdhsa_next_free_sgpr 30
		.amdhsa_reserve_vcc 1
		.amdhsa_float_round_mode_32 0
		.amdhsa_float_round_mode_16_64 0
		.amdhsa_float_denorm_mode_32 3
		.amdhsa_float_denorm_mode_16_64 3
		.amdhsa_dx10_clamp 1
		.amdhsa_ieee_mode 1
		.amdhsa_fp16_overflow 0
		.amdhsa_workgroup_processor_mode 1
		.amdhsa_memory_ordered 1
		.amdhsa_forward_progress 0
		.amdhsa_shared_vgpr_count 0
		.amdhsa_exception_fp_ieee_invalid_op 0
		.amdhsa_exception_fp_denorm_src 0
		.amdhsa_exception_fp_ieee_div_zero 0
		.amdhsa_exception_fp_ieee_overflow 0
		.amdhsa_exception_fp_ieee_underflow 0
		.amdhsa_exception_fp_ieee_inexact 0
		.amdhsa_exception_int_div_zero 0
	.end_amdhsa_kernel
	.section	.text._ZN2at6native12_GLOBAL__N_125multi_tensor_apply_kernelINS1_18TensorListMetadataILi4EEENS1_32PointwiseOpScalar0dTensorFunctorIfLi4ELi2ELi3EEEJSt10multipliesIfEfEEEvT_T0_DpT1_,"axG",@progbits,_ZN2at6native12_GLOBAL__N_125multi_tensor_apply_kernelINS1_18TensorListMetadataILi4EEENS1_32PointwiseOpScalar0dTensorFunctorIfLi4ELi2ELi3EEEJSt10multipliesIfEfEEEvT_T0_DpT1_,comdat
.Lfunc_end17:
	.size	_ZN2at6native12_GLOBAL__N_125multi_tensor_apply_kernelINS1_18TensorListMetadataILi4EEENS1_32PointwiseOpScalar0dTensorFunctorIfLi4ELi2ELi3EEEJSt10multipliesIfEfEEEvT_T0_DpT1_, .Lfunc_end17-_ZN2at6native12_GLOBAL__N_125multi_tensor_apply_kernelINS1_18TensorListMetadataILi4EEENS1_32PointwiseOpScalar0dTensorFunctorIfLi4ELi2ELi3EEEJSt10multipliesIfEfEEEvT_T0_DpT1_
                                        ; -- End function
	.section	.AMDGPU.csdata,"",@progbits
; Kernel info:
; codeLenInByte = 2136
; NumSgprs: 32
; NumVgprs: 42
; ScratchSize: 0
; MemoryBound: 1
; FloatMode: 240
; IeeeMode: 1
; LDSByteSize: 0 bytes/workgroup (compile time only)
; SGPRBlocks: 3
; VGPRBlocks: 5
; NumSGPRsForWavesPerEU: 32
; NumVGPRsForWavesPerEU: 42
; Occupancy: 16
; WaveLimiterHint : 0
; COMPUTE_PGM_RSRC2:SCRATCH_EN: 0
; COMPUTE_PGM_RSRC2:USER_SGPR: 15
; COMPUTE_PGM_RSRC2:TRAP_HANDLER: 0
; COMPUTE_PGM_RSRC2:TGID_X_EN: 1
; COMPUTE_PGM_RSRC2:TGID_Y_EN: 0
; COMPUTE_PGM_RSRC2:TGID_Z_EN: 0
; COMPUTE_PGM_RSRC2:TIDIG_COMP_CNT: 0
	.section	.text._ZN2at6native12_GLOBAL__N_125multi_tensor_apply_kernelINS1_18TensorListMetadataILi4EEENS1_32PointwiseOpScalar0dTensorFunctorIN3c107complexIdEELi4ELi2ELi3EEEJSt10multipliesIS8_ES8_EEEvT_T0_DpT1_,"axG",@progbits,_ZN2at6native12_GLOBAL__N_125multi_tensor_apply_kernelINS1_18TensorListMetadataILi4EEENS1_32PointwiseOpScalar0dTensorFunctorIN3c107complexIdEELi4ELi2ELi3EEEJSt10multipliesIS8_ES8_EEEvT_T0_DpT1_,comdat
	.globl	_ZN2at6native12_GLOBAL__N_125multi_tensor_apply_kernelINS1_18TensorListMetadataILi4EEENS1_32PointwiseOpScalar0dTensorFunctorIN3c107complexIdEELi4ELi2ELi3EEEJSt10multipliesIS8_ES8_EEEvT_T0_DpT1_ ; -- Begin function _ZN2at6native12_GLOBAL__N_125multi_tensor_apply_kernelINS1_18TensorListMetadataILi4EEENS1_32PointwiseOpScalar0dTensorFunctorIN3c107complexIdEELi4ELi2ELi3EEEJSt10multipliesIS8_ES8_EEEvT_T0_DpT1_
	.p2align	8
	.type	_ZN2at6native12_GLOBAL__N_125multi_tensor_apply_kernelINS1_18TensorListMetadataILi4EEENS1_32PointwiseOpScalar0dTensorFunctorIN3c107complexIdEELi4ELi2ELi3EEEJSt10multipliesIS8_ES8_EEEvT_T0_DpT1_,@function
_ZN2at6native12_GLOBAL__N_125multi_tensor_apply_kernelINS1_18TensorListMetadataILi4EEENS1_32PointwiseOpScalar0dTensorFunctorIN3c107complexIdEELi4ELi2ELi3EEEJSt10multipliesIS8_ES8_EEEvT_T0_DpT1_: ; @_ZN2at6native12_GLOBAL__N_125multi_tensor_apply_kernelINS1_18TensorListMetadataILi4EEENS1_32PointwiseOpScalar0dTensorFunctorIN3c107complexIdEELi4ELi2ELi3EEEJSt10multipliesIS8_ES8_EEEvT_T0_DpT1_
; %bb.0:
	v_mov_b32_e32 v1, s15
	s_add_u32 s2, s0, s15
	s_mul_hi_u32 s3, s15, 3
	s_mul_i32 s15, s15, 3
	s_addc_u32 s4, s1, 0
	global_load_u8 v1, v1, s[0:1] offset:1440
	s_add_u32 s2, s2, s15
	s_addc_u32 s3, s4, s3
	s_mov_b32 s29, 0
	s_load_b32 s4, s[2:3], 0x6e0
	s_mov_b32 s31, s29
	s_waitcnt lgkmcnt(0)
	s_ashr_i32 s5, s4, 31
	s_delay_alu instid0(SALU_CYCLE_1) | instskip(SKIP_2) | instid1(VALU_DEP_1)
	s_lshl_b64 s[12:13], s[4:5], 20
	s_waitcnt vmcnt(0)
	v_readfirstlane_b32 s2, v1
	s_lshl_b32 s2, s2, 3
	s_clause 0x4
	s_load_b64 s[18:19], s[0:1], s2 offset:0x0
	s_load_b64 s[8:9], s[0:1], s2 offset:0x120
	s_load_b64 s[20:21], s[0:1], s2 offset:0x240
	s_load_b64 s[22:23], s[0:1], s2 offset:0x360
	s_load_b64 s[10:11], s[0:1], s2 offset:0x480
	s_waitcnt lgkmcnt(0)
	s_add_u32 s3, s18, s12
	s_addc_u32 s16, s19, s13
	s_add_u32 s6, s8, s12
	s_delay_alu instid0(SALU_CYCLE_1)
	s_and_b32 s28, s6, 63
	s_add_u32 s17, s20, s12
	s_addc_u32 s24, s21, s13
	s_add_u32 s25, s22, s12
	s_addc_u32 s26, s23, s13
	s_or_b32 s2, s25, s17
	s_delay_alu instid0(SALU_CYCLE_1) | instskip(NEXT) | instid1(SALU_CYCLE_1)
	s_and_b32 s2, s2, 63
	s_cmp_lg_u32 s2, 0
	s_cselect_b32 s2, -1, 0
	s_lshl_b64 s[14:15], s[4:5], 16
	s_and_b32 s30, s3, 63
	s_cmp_lg_u64 s[28:29], 0
	s_load_b128 s[4:7], s[0:1], 0xbf0
	s_cselect_b32 s27, -1, 0
	s_delay_alu instid0(SALU_CYCLE_1)
	s_or_b32 s2, s2, s27
	s_sub_u32 s14, s10, s14
	s_subb_u32 s15, s11, s15
	s_and_b32 s28, s10, 3
	s_load_b128 s[8:11], s[8:9], 0x0
	s_or_b64 s[28:29], s[30:31], s[28:29]
	s_delay_alu instid0(SALU_CYCLE_1) | instskip(SKIP_1) | instid1(SALU_CYCLE_1)
	s_cmp_lg_u64 s[28:29], 0
	s_cselect_b32 s27, -1, 0
	s_or_b32 s2, s2, s27
	s_delay_alu instid0(SALU_CYCLE_1)
	s_and_not1_b32 vcc_lo, exec_lo, s2
	s_mov_b32 s2, -1
	s_cbranch_vccz .LBB18_13
; %bb.1:
	v_dual_mov_b32 v30, 0 :: v_dual_lshlrev_b32 v29, 2, v0
	s_mov_b32 s27, exec_lo
	s_delay_alu instid0(VALU_DEP_1)
	v_cmpx_gt_i64_e64 s[14:15], v[29:30]
	s_cbranch_execz .LBB18_12
; %bb.2:
	s_waitcnt lgkmcnt(0)
	v_cmp_neq_f64_e64 s2, s[4:5], 1.0
	v_cmp_neq_f64_e64 s28, s[6:7], 0
	s_load_b32 s29, s[0:1], 0xc0c
	v_lshlrev_b32_e32 v35, 6, v0
	s_waitcnt lgkmcnt(0)
	s_and_b32 s31, s29, 0xffff
	s_mov_b32 s29, 0
	v_add_lshl_u32 v29, v0, s31, 2
	s_lshl_b32 s30, s31, 2
	s_lshl_b32 s31, s31, 6
	s_delay_alu instid0(VALU_DEP_3)
	s_or_b32 s28, s2, s28
	s_branch .LBB18_4
.LBB18_3:                               ;   in Loop: Header=BB18_4 Depth=1
	v_add_f64 v[11:12], v[11:12], v[33:34]
	v_add_f64 v[9:10], v[9:10], v[31:32]
	;; [unrolled: 1-line block ×8, first 2 shown]
	v_cmp_le_i64_e32 vcc_lo, s[14:15], v[29:30]
	v_cmp_lt_u64_e64 s2, 0xffff, v[29:30]
	v_add_co_u32 v17, s33, s25, v35
	s_delay_alu instid0(VALU_DEP_1)
	v_add_co_ci_u32_e64 v18, null, s26, 0, s33
	s_clause 0x3
	global_store_b128 v[17:18], v[9:12], off
	global_store_b128 v[17:18], v[5:8], off offset:16
	global_store_b128 v[17:18], v[13:16], off offset:32
	;; [unrolled: 1-line block ×3, first 2 shown]
	s_or_b32 s2, vcc_lo, s2
	s_add_u32 s3, s3, s31
	s_addc_u32 s16, s16, 0
	s_add_u32 s25, s25, s31
	s_addc_u32 s26, s26, 0
	v_add_co_u32 v29, vcc_lo, v29, s30
	s_add_u32 s17, s17, s31
	s_addc_u32 s24, s24, 0
	v_add_co_ci_u32_e32 v30, vcc_lo, 0, v30, vcc_lo
	s_and_b32 s2, exec_lo, s2
	s_delay_alu instid0(SALU_CYCLE_1) | instskip(NEXT) | instid1(SALU_CYCLE_1)
	s_or_b32 s29, s2, s29
	s_and_not1_b32 exec_lo, exec_lo, s29
	s_cbranch_execz .LBB18_12
.LBB18_4:                               ; =>This Inner Loop Header: Depth=1
	v_add_co_u32 v21, s2, s17, v35
	s_delay_alu instid0(VALU_DEP_1) | instskip(SKIP_1) | instid1(VALU_DEP_1)
	v_add_co_ci_u32_e64 v22, null, s24, 0, s2
	v_add_co_u32 v9, s2, s3, v35
	v_add_co_ci_u32_e64 v10, null, s16, 0, s2
	s_clause 0x1
	global_load_b128 v[36:39], v[21:22], off
	global_load_b128 v[25:28], v[21:22], off offset:16
	s_clause 0x3
	global_load_b128 v[1:4], v[9:10], off offset:48
	global_load_b128 v[13:16], v[9:10], off offset:32
	;; [unrolled: 1-line block ×3, first 2 shown]
	global_load_b128 v[9:12], v[9:10], off
	s_clause 0x1
	global_load_b128 v[17:20], v[21:22], off offset:48
	global_load_b128 v[21:24], v[21:22], off offset:32
	s_and_not1_b32 vcc_lo, exec_lo, s28
	s_waitcnt vmcnt(7)
	v_mul_f64 v[31:32], s[10:11], v[38:39]
	v_mul_f64 v[33:34], s[8:9], v[38:39]
	s_delay_alu instid0(VALU_DEP_2) | instskip(NEXT) | instid1(VALU_DEP_2)
	v_fma_f64 v[31:32], s[8:9], v[36:37], -v[31:32]
	v_fma_f64 v[33:34], s[10:11], v[36:37], v[33:34]
	s_cbranch_vccnz .LBB18_6
; %bb.5:                                ;   in Loop: Header=BB18_4 Depth=1
	s_delay_alu instid0(VALU_DEP_1) | instskip(NEXT) | instid1(VALU_DEP_3)
	v_mul_f64 v[36:37], s[6:7], v[33:34]
	v_mul_f64 v[38:39], s[6:7], v[31:32]
	s_delay_alu instid0(VALU_DEP_2) | instskip(NEXT) | instid1(VALU_DEP_2)
	v_fma_f64 v[31:32], s[4:5], v[31:32], -v[36:37]
	v_fma_f64 v[33:34], s[4:5], v[33:34], v[38:39]
.LBB18_6:                               ;   in Loop: Header=BB18_4 Depth=1
	s_waitcnt vmcnt(6)
	v_mul_f64 v[36:37], s[10:11], v[27:28]
	v_mul_f64 v[38:39], s[8:9], v[27:28]
	s_and_not1_b32 vcc_lo, exec_lo, s28
	s_delay_alu instid0(VALU_DEP_2) | instskip(NEXT) | instid1(VALU_DEP_2)
	v_fma_f64 v[27:28], s[8:9], v[25:26], -v[36:37]
	v_fma_f64 v[25:26], s[10:11], v[25:26], v[38:39]
	s_cbranch_vccnz .LBB18_8
; %bb.7:                                ;   in Loop: Header=BB18_4 Depth=1
	s_delay_alu instid0(VALU_DEP_1) | instskip(NEXT) | instid1(VALU_DEP_3)
	v_mul_f64 v[36:37], s[6:7], v[25:26]
	v_mul_f64 v[38:39], s[6:7], v[27:28]
	s_delay_alu instid0(VALU_DEP_2) | instskip(NEXT) | instid1(VALU_DEP_2)
	v_fma_f64 v[27:28], s[4:5], v[27:28], -v[36:37]
	v_fma_f64 v[25:26], s[4:5], v[25:26], v[38:39]
.LBB18_8:                               ;   in Loop: Header=BB18_4 Depth=1
	s_waitcnt vmcnt(0)
	v_mul_f64 v[36:37], s[10:11], v[23:24]
	v_mul_f64 v[38:39], s[8:9], v[23:24]
	s_and_not1_b32 vcc_lo, exec_lo, s28
	s_delay_alu instid0(VALU_DEP_2) | instskip(NEXT) | instid1(VALU_DEP_2)
	v_fma_f64 v[23:24], s[8:9], v[21:22], -v[36:37]
	v_fma_f64 v[21:22], s[10:11], v[21:22], v[38:39]
	s_cbranch_vccnz .LBB18_10
; %bb.9:                                ;   in Loop: Header=BB18_4 Depth=1
	s_delay_alu instid0(VALU_DEP_1) | instskip(NEXT) | instid1(VALU_DEP_3)
	v_mul_f64 v[36:37], s[6:7], v[21:22]
	v_mul_f64 v[38:39], s[6:7], v[23:24]
	s_delay_alu instid0(VALU_DEP_2) | instskip(NEXT) | instid1(VALU_DEP_2)
	v_fma_f64 v[23:24], s[4:5], v[23:24], -v[36:37]
	v_fma_f64 v[21:22], s[4:5], v[21:22], v[38:39]
.LBB18_10:                              ;   in Loop: Header=BB18_4 Depth=1
	v_mul_f64 v[36:37], s[10:11], v[19:20]
	v_mul_f64 v[38:39], s[8:9], v[19:20]
	s_and_not1_b32 vcc_lo, exec_lo, s28
	s_delay_alu instid0(VALU_DEP_2) | instskip(NEXT) | instid1(VALU_DEP_2)
	v_fma_f64 v[19:20], s[8:9], v[17:18], -v[36:37]
	v_fma_f64 v[17:18], s[10:11], v[17:18], v[38:39]
	s_cbranch_vccnz .LBB18_3
; %bb.11:                               ;   in Loop: Header=BB18_4 Depth=1
	s_delay_alu instid0(VALU_DEP_1) | instskip(NEXT) | instid1(VALU_DEP_3)
	v_mul_f64 v[36:37], s[6:7], v[17:18]
	v_mul_f64 v[38:39], s[6:7], v[19:20]
	s_delay_alu instid0(VALU_DEP_2) | instskip(NEXT) | instid1(VALU_DEP_2)
	v_fma_f64 v[19:20], s[4:5], v[19:20], -v[36:37]
	v_fma_f64 v[17:18], s[4:5], v[17:18], v[38:39]
	s_branch .LBB18_3
.LBB18_12:
	s_or_b32 exec_lo, exec_lo, s27
	s_mov_b32 s2, 0
.LBB18_13:
	s_delay_alu instid0(SALU_CYCLE_1)
	s_and_not1_b32 vcc_lo, exec_lo, s2
	s_cbranch_vccnz .LBB18_41
; %bb.14:
	v_cmp_lt_i64_e64 s2, s[14:15], 1
	s_delay_alu instid0(VALU_DEP_1)
	s_and_b32 vcc_lo, exec_lo, s2
	s_cbranch_vccnz .LBB18_41
; %bb.15:
	s_waitcnt lgkmcnt(0)
	v_cmp_neq_f64_e64 s2, s[4:5], 1.0
	v_cmp_neq_f64_e64 s16, s[6:7], 0
	s_load_b32 s0, s[0:1], 0xc0c
	v_dual_mov_b32 v1, 0 :: v_dual_lshlrev_b32 v6, 4, v0
	v_cmp_gt_u64_e64 s17, 0x10000, s[14:15]
	s_mov_b32 s3, 0
	s_delay_alu instid0(VALU_DEP_2) | instskip(NEXT) | instid1(VALU_DEP_3)
	v_or_b32_e32 v2, 8, v6
	v_mov_b32_e32 v3, v1
	s_delay_alu instid0(VALU_DEP_2) | instskip(NEXT) | instid1(VALU_DEP_1)
	v_add_co_u32 v46, s1, s20, v2
	v_add_co_ci_u32_e64 v47, null, s21, 0, s1
	v_add_co_u32 v48, s1, s18, v2
	s_delay_alu instid0(VALU_DEP_1)
	v_add_co_ci_u32_e64 v49, null, s19, 0, s1
	s_waitcnt lgkmcnt(0)
	s_and_b32 s1, s0, 0xffff
	v_add_co_u32 v50, s0, s22, v2
	v_add_lshl_u32 v7, v0, s1, 4
	v_add_co_ci_u32_e64 v51, null, s23, 0, s0
	v_mad_u64_u32 v[4:5], null, s1, 48, v[2:3]
	s_delay_alu instid0(VALU_DEP_3) | instskip(NEXT) | instid1(VALU_DEP_1)
	v_add_co_u32 v52, s0, s22, v7
	v_add_co_ci_u32_e64 v53, null, s23, 0, s0
	v_add_co_u32 v54, s0, s18, v7
	s_delay_alu instid0(VALU_DEP_1)
	v_add_co_ci_u32_e64 v55, null, s19, 0, s0
	v_add_co_u32 v58, vcc_lo, s20, v4
	s_or_b32 s25, s2, s16
	s_and_b32 s0, s17, exec_lo
	v_add_co_u32 v56, s0, s20, v7
	s_cselect_b32 s17, s15, 0
	s_cselect_b32 s16, s14, 0x10000
	v_add_co_ci_u32_e64 v57, null, s21, 0, s0
	s_lshl_b32 s0, s1, 5
	v_add_co_ci_u32_e32 v59, vcc_lo, s21, v5, vcc_lo
	v_add_co_u32 v2, s0, s0, v6
	s_delay_alu instid0(VALU_DEP_1) | instskip(SKIP_2) | instid1(VALU_DEP_4)
	v_add_co_ci_u32_e64 v3, null, 0, 0, s0
	v_add_co_u32 v60, vcc_lo, s18, v4
	v_add_co_ci_u32_e32 v61, vcc_lo, s19, v5, vcc_lo
	v_add_co_u32 v62, vcc_lo, s22, v2
	s_delay_alu instid0(VALU_DEP_4)
	v_add_co_ci_u32_e32 v63, vcc_lo, s23, v3, vcc_lo
	v_add_co_u32 v64, vcc_lo, s22, v4
	v_add_co_ci_u32_e32 v65, vcc_lo, s23, v5, vcc_lo
	v_add_co_u32 v4, vcc_lo, v2, s20
	;; [unrolled: 2-line block ×3, first 2 shown]
	v_add_co_ci_u32_e32 v67, vcc_lo, s19, v3, vcc_lo
	s_delay_alu instid0(VALU_DEP_4) | instskip(NEXT) | instid1(VALU_DEP_4)
	v_add_co_u32 v68, vcc_lo, v4, 8
	v_add_co_ci_u32_e32 v69, vcc_lo, 0, v5, vcc_lo
	s_lshl_b32 s2, s1, 2
	s_mul_i32 s24, s1, 3
	s_lshl_b32 s26, s1, 1
	s_lshl_b32 s20, s1, 6
	s_mov_b64 s[18:19], s[2:3]
	s_branch .LBB18_17
.LBB18_16:                              ;   in Loop: Header=BB18_17 Depth=1
	s_or_b32 exec_lo, exec_lo, s0
	v_add_co_u32 v0, vcc_lo, v0, s2
	v_add_co_ci_u32_e32 v1, vcc_lo, 0, v1, vcc_lo
	v_add_co_u32 v46, vcc_lo, v46, s20
	v_add_co_ci_u32_e32 v47, vcc_lo, 0, v47, vcc_lo
	;; [unrolled: 2-line block ×11, first 2 shown]
	v_cmp_ge_i64_e64 s0, s[18:19], s[14:15]
	v_cmp_lt_u64_e64 s3, 0xffff, s[18:19]
	v_add_co_u32 v66, vcc_lo, v66, s20
	v_add_co_ci_u32_e32 v67, vcc_lo, 0, v67, vcc_lo
	v_add_co_u32 v68, vcc_lo, v68, s20
	v_add_co_ci_u32_e32 v69, vcc_lo, 0, v69, vcc_lo
	s_or_b32 s0, s0, s3
	s_add_u32 s18, s18, s2
	s_addc_u32 s19, s19, 0
	s_and_b32 vcc_lo, exec_lo, s0
	s_cbranch_vccnz .LBB18_41
.LBB18_17:                              ; =>This Inner Loop Header: Depth=1
	v_mov_b32_e32 v16, 0
	v_mov_b32_e32 v17, 0
	v_cmp_gt_i64_e32 vcc_lo, s[14:15], v[0:1]
	v_cmp_gt_u64_e64 s0, 0x10000, v[0:1]
	s_delay_alu instid0(VALU_DEP_4) | instskip(NEXT) | instid1(VALU_DEP_4)
	v_mov_b32_e32 v4, v16
	v_dual_mov_b32 v2, v16 :: v_dual_mov_b32 v3, v17
	v_dual_mov_b32 v21, v17 :: v_dual_mov_b32 v20, v16
	;; [unrolled: 1-line block ×3, first 2 shown]
	v_mov_b32_e32 v5, v17
	s_and_b32 s3, vcc_lo, s0
	s_delay_alu instid0(SALU_CYCLE_1)
	s_and_saveexec_b32 s0, s3
	s_cbranch_execz .LBB18_19
; %bb.18:                               ;   in Loop: Header=BB18_17 Depth=1
	v_add_co_u32 v2, vcc_lo, v48, s12
	v_add_co_ci_u32_e32 v3, vcc_lo, s13, v49, vcc_lo
	v_add_co_u32 v6, vcc_lo, v46, s12
	v_add_co_ci_u32_e32 v7, vcc_lo, s13, v47, vcc_lo
	global_load_b128 v[2:5], v[2:3], off offset:-8
	global_load_b128 v[18:21], v[6:7], off offset:-8
.LBB18_19:                              ;   in Loop: Header=BB18_17 Depth=1
	s_or_b32 exec_lo, exec_lo, s0
	v_add_co_u32 v34, vcc_lo, s1, v0
	v_add_co_ci_u32_e32 v35, vcc_lo, 0, v1, vcc_lo
	v_dual_mov_b32 v14, v16 :: v_dual_mov_b32 v15, v17
	v_dual_mov_b32 v8, v16 :: v_dual_mov_b32 v9, v17
	s_delay_alu instid0(VALU_DEP_3) | instskip(SKIP_2) | instid1(VALU_DEP_2)
	v_cmp_gt_i64_e32 vcc_lo, s[14:15], v[34:35]
	v_cmp_gt_u64_e64 s0, 0x10000, v[34:35]
	v_dual_mov_b32 v6, v16 :: v_dual_mov_b32 v7, v17
	s_and_b32 s3, vcc_lo, s0
	s_delay_alu instid0(SALU_CYCLE_1)
	s_and_saveexec_b32 s0, s3
	s_cbranch_execz .LBB18_21
; %bb.20:                               ;   in Loop: Header=BB18_17 Depth=1
	v_add_co_u32 v6, vcc_lo, v54, s12
	v_add_co_ci_u32_e32 v7, vcc_lo, s13, v55, vcc_lo
	v_add_co_u32 v10, vcc_lo, v56, s12
	v_add_co_ci_u32_e32 v11, vcc_lo, s13, v57, vcc_lo
	global_load_b128 v[6:9], v[6:7], off
	global_load_b128 v[14:17], v[10:11], off
.LBB18_21:                              ;   in Loop: Header=BB18_17 Depth=1
	s_or_b32 exec_lo, exec_lo, s0
	v_add_co_u32 v36, vcc_lo, s26, v0
	v_add_co_ci_u32_e32 v37, vcc_lo, 0, v1, vcc_lo
	v_mov_b32_e32 v28, 0
	v_mov_b32_e32 v29, 0
	s_delay_alu instid0(VALU_DEP_2) | instskip(NEXT) | instid1(VALU_DEP_4)
	v_mov_b32_e32 v12, v28
	v_cmp_gt_i64_e32 vcc_lo, s[14:15], v[36:37]
	v_cmp_gt_u64_e64 s0, 0x10000, v[36:37]
	s_delay_alu instid0(VALU_DEP_4) | instskip(SKIP_4) | instid1(SALU_CYCLE_1)
	v_dual_mov_b32 v10, v28 :: v_dual_mov_b32 v11, v29
	v_dual_mov_b32 v33, v29 :: v_dual_mov_b32 v32, v28
	;; [unrolled: 1-line block ×3, first 2 shown]
	v_mov_b32_e32 v13, v29
	s_and_b32 s3, vcc_lo, s0
	s_and_saveexec_b32 s0, s3
	s_cbranch_execz .LBB18_23
; %bb.22:                               ;   in Loop: Header=BB18_17 Depth=1
	v_add_co_u32 v10, vcc_lo, v66, s12
	v_add_co_ci_u32_e32 v11, vcc_lo, s13, v67, vcc_lo
	v_add_co_u32 v22, vcc_lo, v68, s12
	v_add_co_ci_u32_e32 v23, vcc_lo, s13, v69, vcc_lo
	global_load_b128 v[10:13], v[10:11], off
	global_load_b128 v[30:33], v[22:23], off offset:-8
.LBB18_23:                              ;   in Loop: Header=BB18_17 Depth=1
	s_or_b32 exec_lo, exec_lo, s0
	v_add_co_u32 v38, vcc_lo, s24, v0
	v_add_co_ci_u32_e32 v39, vcc_lo, 0, v1, vcc_lo
	v_dual_mov_b32 v26, v28 :: v_dual_mov_b32 v27, v29
	v_dual_mov_b32 v24, v28 :: v_dual_mov_b32 v25, v29
	s_delay_alu instid0(VALU_DEP_3) | instskip(SKIP_2) | instid1(VALU_DEP_2)
	v_cmp_gt_i64_e32 vcc_lo, s[14:15], v[38:39]
	v_cmp_gt_u64_e64 s0, 0x10000, v[38:39]
	v_dual_mov_b32 v22, v28 :: v_dual_mov_b32 v23, v29
	s_and_b32 s3, vcc_lo, s0
	s_delay_alu instid0(SALU_CYCLE_1)
	s_and_saveexec_b32 s0, s3
	s_cbranch_execz .LBB18_25
; %bb.24:                               ;   in Loop: Header=BB18_17 Depth=1
	v_add_co_u32 v22, vcc_lo, v60, s12
	v_add_co_ci_u32_e32 v23, vcc_lo, s13, v61, vcc_lo
	v_add_co_u32 v26, vcc_lo, v58, s12
	v_add_co_ci_u32_e32 v27, vcc_lo, s13, v59, vcc_lo
	global_load_b128 v[22:25], v[22:23], off offset:-8
	global_load_b128 v[26:29], v[26:27], off offset:-8
.LBB18_25:                              ;   in Loop: Header=BB18_17 Depth=1
	s_or_b32 exec_lo, exec_lo, s0
	s_waitcnt vmcnt(0)
	v_mul_f64 v[40:41], s[10:11], v[20:21]
	v_mul_f64 v[42:43], s[10:11], v[18:19]
	s_and_b32 vcc_lo, exec_lo, s25
	s_delay_alu instid0(VALU_DEP_2) | instskip(NEXT) | instid1(VALU_DEP_2)
	v_fma_f64 v[40:41], s[8:9], v[18:19], -v[40:41]
	v_fma_f64 v[44:45], s[8:9], v[20:21], v[42:43]
	s_cbranch_vccz .LBB18_27
; %bb.26:                               ;   in Loop: Header=BB18_17 Depth=1
	s_delay_alu instid0(VALU_DEP_1) | instskip(NEXT) | instid1(VALU_DEP_3)
	v_mul_f64 v[18:19], s[6:7], v[44:45]
	v_mul_f64 v[20:21], s[6:7], v[40:41]
	s_delay_alu instid0(VALU_DEP_2) | instskip(NEXT) | instid1(VALU_DEP_2)
	v_fma_f64 v[40:41], s[4:5], v[40:41], -v[18:19]
	v_fma_f64 v[44:45], s[4:5], v[44:45], v[20:21]
.LBB18_27:                              ;   in Loop: Header=BB18_17 Depth=1
	v_mul_f64 v[18:19], s[10:11], v[16:17]
	v_mul_f64 v[20:21], s[10:11], v[14:15]
	s_and_not1_b32 vcc_lo, exec_lo, s25
	s_delay_alu instid0(VALU_DEP_2) | instskip(NEXT) | instid1(VALU_DEP_2)
	v_fma_f64 v[18:19], s[8:9], v[14:15], -v[18:19]
	v_fma_f64 v[42:43], s[8:9], v[16:17], v[20:21]
	s_cbranch_vccnz .LBB18_29
; %bb.28:                               ;   in Loop: Header=BB18_17 Depth=1
	s_delay_alu instid0(VALU_DEP_1) | instskip(NEXT) | instid1(VALU_DEP_3)
	v_mul_f64 v[14:15], s[6:7], v[42:43]
	v_mul_f64 v[16:17], s[6:7], v[18:19]
	s_delay_alu instid0(VALU_DEP_2) | instskip(NEXT) | instid1(VALU_DEP_2)
	v_fma_f64 v[18:19], s[4:5], v[18:19], -v[14:15]
	v_fma_f64 v[42:43], s[4:5], v[42:43], v[16:17]
.LBB18_29:                              ;   in Loop: Header=BB18_17 Depth=1
	v_mul_f64 v[14:15], s[10:11], v[32:33]
	v_mul_f64 v[20:21], s[10:11], v[30:31]
	s_and_not1_b32 vcc_lo, exec_lo, s25
	s_delay_alu instid0(VALU_DEP_2) | instskip(NEXT) | instid1(VALU_DEP_2)
	v_fma_f64 v[16:17], s[8:9], v[30:31], -v[14:15]
	v_fma_f64 v[30:31], s[8:9], v[32:33], v[20:21]
	s_cbranch_vccnz .LBB18_31
; %bb.30:                               ;   in Loop: Header=BB18_17 Depth=1
	s_delay_alu instid0(VALU_DEP_1) | instskip(NEXT) | instid1(VALU_DEP_3)
	v_mul_f64 v[14:15], s[6:7], v[30:31]
	v_mul_f64 v[20:21], s[6:7], v[16:17]
	s_delay_alu instid0(VALU_DEP_2) | instskip(NEXT) | instid1(VALU_DEP_2)
	v_fma_f64 v[16:17], s[4:5], v[16:17], -v[14:15]
	v_fma_f64 v[30:31], s[4:5], v[30:31], v[20:21]
.LBB18_31:                              ;   in Loop: Header=BB18_17 Depth=1
	v_mul_f64 v[14:15], s[10:11], v[28:29]
	v_mul_f64 v[20:21], s[10:11], v[26:27]
	s_and_not1_b32 vcc_lo, exec_lo, s25
	s_delay_alu instid0(VALU_DEP_2) | instskip(NEXT) | instid1(VALU_DEP_2)
	v_fma_f64 v[14:15], s[8:9], v[26:27], -v[14:15]
	v_fma_f64 v[20:21], s[8:9], v[28:29], v[20:21]
	s_cbranch_vccz .LBB18_36
; %bb.32:                               ;   in Loop: Header=BB18_17 Depth=1
	s_mov_b32 s0, exec_lo
	v_cmpx_gt_u64_e64 s[16:17], v[0:1]
	s_xor_b32 s0, exec_lo, s0
	s_cbranch_execnz .LBB18_37
.LBB18_33:                              ;   in Loop: Header=BB18_17 Depth=1
	s_or_b32 exec_lo, exec_lo, s0
	s_delay_alu instid0(SALU_CYCLE_1)
	s_mov_b32 s0, exec_lo
	v_cmpx_gt_u64_e64 s[16:17], v[34:35]
	s_cbranch_execnz .LBB18_38
.LBB18_34:                              ;   in Loop: Header=BB18_17 Depth=1
	s_or_b32 exec_lo, exec_lo, s0
	s_delay_alu instid0(SALU_CYCLE_1)
	s_mov_b32 s0, exec_lo
	v_cmpx_gt_u64_e64 s[16:17], v[36:37]
	s_cbranch_execnz .LBB18_39
.LBB18_35:                              ;   in Loop: Header=BB18_17 Depth=1
	s_or_b32 exec_lo, exec_lo, s0
	s_delay_alu instid0(SALU_CYCLE_1)
	s_mov_b32 s0, exec_lo
	v_cmpx_gt_u64_e64 s[16:17], v[38:39]
	s_cbranch_execz .LBB18_16
	s_branch .LBB18_40
.LBB18_36:                              ;   in Loop: Header=BB18_17 Depth=1
	s_delay_alu instid0(VALU_DEP_1) | instskip(NEXT) | instid1(VALU_DEP_3)
	v_mul_f64 v[26:27], s[6:7], v[20:21]
	v_mul_f64 v[28:29], s[6:7], v[14:15]
	s_delay_alu instid0(VALU_DEP_2) | instskip(NEXT) | instid1(VALU_DEP_2)
	v_fma_f64 v[14:15], s[4:5], v[14:15], -v[26:27]
	v_fma_f64 v[20:21], s[4:5], v[20:21], v[28:29]
	s_mov_b32 s0, exec_lo
	v_cmpx_gt_u64_e64 s[16:17], v[0:1]
	s_xor_b32 s0, exec_lo, s0
	s_cbranch_execz .LBB18_33
.LBB18_37:                              ;   in Loop: Header=BB18_17 Depth=1
	v_add_f64 v[4:5], v[4:5], v[44:45]
	v_add_f64 v[2:3], v[2:3], v[40:41]
	v_add_co_u32 v26, vcc_lo, v50, s12
	v_add_co_ci_u32_e32 v27, vcc_lo, s13, v51, vcc_lo
	global_store_b128 v[26:27], v[2:5], off offset:-8
	s_or_b32 exec_lo, exec_lo, s0
	s_delay_alu instid0(SALU_CYCLE_1)
	s_mov_b32 s0, exec_lo
	v_cmpx_gt_u64_e64 s[16:17], v[34:35]
	s_cbranch_execz .LBB18_34
.LBB18_38:                              ;   in Loop: Header=BB18_17 Depth=1
	v_add_f64 v[4:5], v[8:9], v[42:43]
	v_add_f64 v[2:3], v[6:7], v[18:19]
	v_add_co_u32 v6, vcc_lo, v52, s12
	v_add_co_ci_u32_e32 v7, vcc_lo, s13, v53, vcc_lo
	global_store_b128 v[6:7], v[2:5], off
	s_or_b32 exec_lo, exec_lo, s0
	s_delay_alu instid0(SALU_CYCLE_1)
	s_mov_b32 s0, exec_lo
	v_cmpx_gt_u64_e64 s[16:17], v[36:37]
	s_cbranch_execz .LBB18_35
.LBB18_39:                              ;   in Loop: Header=BB18_17 Depth=1
	v_add_f64 v[4:5], v[12:13], v[30:31]
	v_add_f64 v[2:3], v[10:11], v[16:17]
	v_add_co_u32 v6, vcc_lo, v62, s12
	v_add_co_ci_u32_e32 v7, vcc_lo, s13, v63, vcc_lo
	global_store_b128 v[6:7], v[2:5], off
	s_or_b32 exec_lo, exec_lo, s0
	s_delay_alu instid0(SALU_CYCLE_1)
	s_mov_b32 s0, exec_lo
	v_cmpx_gt_u64_e64 s[16:17], v[38:39]
	s_cbranch_execz .LBB18_16
.LBB18_40:                              ;   in Loop: Header=BB18_17 Depth=1
	v_add_f64 v[4:5], v[24:25], v[20:21]
	v_add_f64 v[2:3], v[22:23], v[14:15]
	v_add_co_u32 v6, vcc_lo, v64, s12
	v_add_co_ci_u32_e32 v7, vcc_lo, s13, v65, vcc_lo
	global_store_b128 v[6:7], v[2:5], off offset:-8
	s_branch .LBB18_16
.LBB18_41:
	s_nop 0
	s_sendmsg sendmsg(MSG_DEALLOC_VGPRS)
	s_endpgm
	.section	.rodata,"a",@progbits
	.p2align	6, 0x0
	.amdhsa_kernel _ZN2at6native12_GLOBAL__N_125multi_tensor_apply_kernelINS1_18TensorListMetadataILi4EEENS1_32PointwiseOpScalar0dTensorFunctorIN3c107complexIdEELi4ELi2ELi3EEEJSt10multipliesIS8_ES8_EEEvT_T0_DpT1_
		.amdhsa_group_segment_fixed_size 0
		.amdhsa_private_segment_fixed_size 0
		.amdhsa_kernarg_size 3328
		.amdhsa_user_sgpr_count 15
		.amdhsa_user_sgpr_dispatch_ptr 0
		.amdhsa_user_sgpr_queue_ptr 0
		.amdhsa_user_sgpr_kernarg_segment_ptr 1
		.amdhsa_user_sgpr_dispatch_id 0
		.amdhsa_user_sgpr_private_segment_size 0
		.amdhsa_wavefront_size32 1
		.amdhsa_uses_dynamic_stack 0
		.amdhsa_enable_private_segment 0
		.amdhsa_system_sgpr_workgroup_id_x 1
		.amdhsa_system_sgpr_workgroup_id_y 0
		.amdhsa_system_sgpr_workgroup_id_z 0
		.amdhsa_system_sgpr_workgroup_info 0
		.amdhsa_system_vgpr_workitem_id 0
		.amdhsa_next_free_vgpr 70
		.amdhsa_next_free_sgpr 34
		.amdhsa_reserve_vcc 1
		.amdhsa_float_round_mode_32 0
		.amdhsa_float_round_mode_16_64 0
		.amdhsa_float_denorm_mode_32 3
		.amdhsa_float_denorm_mode_16_64 3
		.amdhsa_dx10_clamp 1
		.amdhsa_ieee_mode 1
		.amdhsa_fp16_overflow 0
		.amdhsa_workgroup_processor_mode 1
		.amdhsa_memory_ordered 1
		.amdhsa_forward_progress 0
		.amdhsa_shared_vgpr_count 0
		.amdhsa_exception_fp_ieee_invalid_op 0
		.amdhsa_exception_fp_denorm_src 0
		.amdhsa_exception_fp_ieee_div_zero 0
		.amdhsa_exception_fp_ieee_overflow 0
		.amdhsa_exception_fp_ieee_underflow 0
		.amdhsa_exception_fp_ieee_inexact 0
		.amdhsa_exception_int_div_zero 0
	.end_amdhsa_kernel
	.section	.text._ZN2at6native12_GLOBAL__N_125multi_tensor_apply_kernelINS1_18TensorListMetadataILi4EEENS1_32PointwiseOpScalar0dTensorFunctorIN3c107complexIdEELi4ELi2ELi3EEEJSt10multipliesIS8_ES8_EEEvT_T0_DpT1_,"axG",@progbits,_ZN2at6native12_GLOBAL__N_125multi_tensor_apply_kernelINS1_18TensorListMetadataILi4EEENS1_32PointwiseOpScalar0dTensorFunctorIN3c107complexIdEELi4ELi2ELi3EEEJSt10multipliesIS8_ES8_EEEvT_T0_DpT1_,comdat
.Lfunc_end18:
	.size	_ZN2at6native12_GLOBAL__N_125multi_tensor_apply_kernelINS1_18TensorListMetadataILi4EEENS1_32PointwiseOpScalar0dTensorFunctorIN3c107complexIdEELi4ELi2ELi3EEEJSt10multipliesIS8_ES8_EEEvT_T0_DpT1_, .Lfunc_end18-_ZN2at6native12_GLOBAL__N_125multi_tensor_apply_kernelINS1_18TensorListMetadataILi4EEENS1_32PointwiseOpScalar0dTensorFunctorIN3c107complexIdEELi4ELi2ELi3EEEJSt10multipliesIS8_ES8_EEEvT_T0_DpT1_
                                        ; -- End function
	.section	.AMDGPU.csdata,"",@progbits
; Kernel info:
; codeLenInByte = 2812
; NumSgprs: 36
; NumVgprs: 70
; ScratchSize: 0
; MemoryBound: 1
; FloatMode: 240
; IeeeMode: 1
; LDSByteSize: 0 bytes/workgroup (compile time only)
; SGPRBlocks: 4
; VGPRBlocks: 8
; NumSGPRsForWavesPerEU: 36
; NumVGPRsForWavesPerEU: 70
; Occupancy: 16
; WaveLimiterHint : 0
; COMPUTE_PGM_RSRC2:SCRATCH_EN: 0
; COMPUTE_PGM_RSRC2:USER_SGPR: 15
; COMPUTE_PGM_RSRC2:TRAP_HANDLER: 0
; COMPUTE_PGM_RSRC2:TGID_X_EN: 1
; COMPUTE_PGM_RSRC2:TGID_Y_EN: 0
; COMPUTE_PGM_RSRC2:TGID_Z_EN: 0
; COMPUTE_PGM_RSRC2:TIDIG_COMP_CNT: 0
	.section	.text._ZN2at6native12_GLOBAL__N_125multi_tensor_apply_kernelINS1_18TensorListMetadataILi4EEENS1_32PointwiseOpScalar0dTensorFunctorIN3c107complexIfEELi4ELi2ELi3EEEJSt10multipliesIS8_ES8_EEEvT_T0_DpT1_,"axG",@progbits,_ZN2at6native12_GLOBAL__N_125multi_tensor_apply_kernelINS1_18TensorListMetadataILi4EEENS1_32PointwiseOpScalar0dTensorFunctorIN3c107complexIfEELi4ELi2ELi3EEEJSt10multipliesIS8_ES8_EEEvT_T0_DpT1_,comdat
	.globl	_ZN2at6native12_GLOBAL__N_125multi_tensor_apply_kernelINS1_18TensorListMetadataILi4EEENS1_32PointwiseOpScalar0dTensorFunctorIN3c107complexIfEELi4ELi2ELi3EEEJSt10multipliesIS8_ES8_EEEvT_T0_DpT1_ ; -- Begin function _ZN2at6native12_GLOBAL__N_125multi_tensor_apply_kernelINS1_18TensorListMetadataILi4EEENS1_32PointwiseOpScalar0dTensorFunctorIN3c107complexIfEELi4ELi2ELi3EEEJSt10multipliesIS8_ES8_EEEvT_T0_DpT1_
	.p2align	8
	.type	_ZN2at6native12_GLOBAL__N_125multi_tensor_apply_kernelINS1_18TensorListMetadataILi4EEENS1_32PointwiseOpScalar0dTensorFunctorIN3c107complexIfEELi4ELi2ELi3EEEJSt10multipliesIS8_ES8_EEEvT_T0_DpT1_,@function
_ZN2at6native12_GLOBAL__N_125multi_tensor_apply_kernelINS1_18TensorListMetadataILi4EEENS1_32PointwiseOpScalar0dTensorFunctorIN3c107complexIfEELi4ELi2ELi3EEEJSt10multipliesIS8_ES8_EEEvT_T0_DpT1_: ; @_ZN2at6native12_GLOBAL__N_125multi_tensor_apply_kernelINS1_18TensorListMetadataILi4EEENS1_32PointwiseOpScalar0dTensorFunctorIN3c107complexIfEELi4ELi2ELi3EEEJSt10multipliesIS8_ES8_EEEvT_T0_DpT1_
; %bb.0:
	v_mov_b32_e32 v1, s15
	s_add_u32 s2, s0, s15
	s_mul_hi_u32 s3, s15, 3
	s_mul_i32 s15, s15, 3
	s_addc_u32 s4, s1, 0
	global_load_u8 v1, v1, s[0:1] offset:1440
	s_add_u32 s2, s2, s15
	s_addc_u32 s3, s4, s3
	s_mov_b32 s29, 0
	s_load_b32 s2, s[2:3], 0x6e0
	s_mov_b32 s31, s29
	s_waitcnt vmcnt(0)
	v_readfirstlane_b32 s3, v1
	s_delay_alu instid0(VALU_DEP_1)
	s_lshl_b32 s4, s3, 3
	s_waitcnt lgkmcnt(0)
	s_ashr_i32 s3, s2, 31
	s_clause 0x3
	s_load_b64 s[14:15], s[0:1], s4 offset:0x0
	s_load_b64 s[12:13], s[0:1], s4 offset:0x120
	;; [unrolled: 1-line block ×4, first 2 shown]
	s_lshl_b64 s[6:7], s[2:3], 19
	s_load_b64 s[26:27], s[0:1], s4 offset:0x480
	s_waitcnt lgkmcnt(0)
	s_add_u32 s5, s14, s6
	s_addc_u32 s20, s15, s7
	s_add_u32 s8, s12, s6
	s_load_b64 s[12:13], s[12:13], 0x0
	s_and_b32 s28, s8, 31
	s_load_b64 s[8:9], s[0:1], 0xbf0
	s_add_u32 s21, s16, s6
	s_addc_u32 s22, s17, s7
	s_add_u32 s23, s18, s6
	s_addc_u32 s24, s19, s7
	s_or_b32 s4, s23, s21
	s_delay_alu instid0(SALU_CYCLE_1) | instskip(NEXT) | instid1(SALU_CYCLE_1)
	s_and_b32 s4, s4, 31
	s_cmp_lg_u32 s4, 0
	s_cselect_b32 s4, -1, 0
	s_lshl_b64 s[2:3], s[2:3], 16
	s_and_b32 s30, s5, 31
	s_cmp_lg_u64 s[28:29], 0
	s_cselect_b32 s10, -1, 0
	s_delay_alu instid0(SALU_CYCLE_1) | instskip(SKIP_3) | instid1(SALU_CYCLE_1)
	s_or_b32 s4, s4, s10
	s_sub_u32 s10, s26, s2
	s_subb_u32 s11, s27, s3
	s_and_b32 s28, s26, 3
	s_or_b64 s[2:3], s[30:31], s[28:29]
	s_delay_alu instid0(SALU_CYCLE_1) | instskip(SKIP_1) | instid1(SALU_CYCLE_1)
	s_cmp_lg_u64 s[2:3], 0
	s_cselect_b32 s2, -1, 0
	s_or_b32 s2, s4, s2
	s_delay_alu instid0(SALU_CYCLE_1)
	s_and_not1_b32 vcc_lo, exec_lo, s2
	s_mov_b32 s2, -1
	s_cbranch_vccz .LBB19_5
; %bb.1:
	v_dual_mov_b32 v2, 0 :: v_dual_lshlrev_b32 v1, 2, v0
	s_mov_b32 s25, exec_lo
	s_delay_alu instid0(VALU_DEP_1)
	v_cmpx_gt_i64_e64 s[10:11], v[1:2]
	s_cbranch_execz .LBB19_4
; %bb.2:
	s_load_b32 s2, s[0:1], 0xc04
	s_waitcnt lgkmcnt(0)
	s_and_b32 s3, s9, 0x7fffffff
	v_lshlrev_b32_e32 v3, 5, v0
	s_cmp_eq_u32 s3, 0
	v_cmp_eq_f32_e64 s3, s8, 1.0
	s_cselect_b32 s4, -1, 0
	s_mov_b32 s26, 0
	s_delay_alu instid0(VALU_DEP_1) | instskip(SKIP_1) | instid1(SALU_CYCLE_1)
	s_and_b32 vcc_lo, s3, s4
	s_and_b32 s2, s2, 0xffff
	v_add_lshl_u32 v1, v0, s2, 2
	s_lshl_b32 s27, s2, 2
	s_lshl_b32 s28, s2, 5
.LBB19_3:                               ; =>This Inner Loop Header: Depth=1
	v_add_co_u32 v8, s2, s21, v3
	s_delay_alu instid0(VALU_DEP_1) | instskip(SKIP_1) | instid1(VALU_DEP_1)
	v_add_co_ci_u32_e64 v9, null, s22, 0, s2
	v_add_co_u32 v16, s2, s5, v3
	v_add_co_ci_u32_e64 v17, null, s20, 0, s2
	s_clause 0x1
	global_load_b128 v[4:7], v[8:9], off
	global_load_b128 v[8:11], v[8:9], off offset:16
	s_clause 0x1
	global_load_b128 v[12:15], v[16:17], off
	global_load_b128 v[16:19], v[16:17], off offset:16
	v_cmp_le_i64_e64 s2, s[10:11], v[1:2]
	v_cmp_lt_u64_e64 s3, 0xffff, v[1:2]
	v_add_co_u32 v20, s4, s23, v3
	s_delay_alu instid0(VALU_DEP_1) | instskip(SKIP_1) | instid1(VALU_DEP_4)
	v_add_co_ci_u32_e64 v21, null, s24, 0, s4
	v_add_co_u32 v1, s4, v1, s27
	s_or_b32 s2, s2, s3
	s_add_u32 s5, s5, s28
	s_addc_u32 s20, s20, 0
	s_add_u32 s23, s23, s28
	s_addc_u32 s24, s24, 0
	s_add_u32 s21, s21, s28
	v_add_co_ci_u32_e64 v2, s4, 0, v2, s4
	s_addc_u32 s22, s22, 0
	s_and_b32 s2, exec_lo, s2
	s_delay_alu instid0(SALU_CYCLE_1) | instskip(SKIP_4) | instid1(VALU_DEP_2)
	s_or_b32 s26, s2, s26
	s_waitcnt vmcnt(3)
	v_dual_mul_f32 v22, s13, v5 :: v_dual_mul_f32 v23, s13, v7
	s_waitcnt vmcnt(2)
	v_dual_mul_f32 v7, s12, v7 :: v_dual_mul_f32 v24, s13, v9
	v_fma_f32 v22, v4, s12, -v22
	s_delay_alu instid0(VALU_DEP_2) | instskip(SKIP_1) | instid1(VALU_DEP_1)
	v_fmac_f32_e32 v7, s13, v6
	v_mul_f32_e32 v5, s12, v5
	v_fmac_f32_e32 v5, s13, v4
	v_mul_f32_e32 v25, s13, v11
	v_mul_f32_e32 v11, s12, v11
	v_fma_f32 v4, v6, s12, -v23
	v_fma_f32 v6, v8, s12, -v24
	v_dual_mul_f32 v24, s9, v7 :: v_dual_mul_f32 v23, s9, v22
	s_delay_alu instid0(VALU_DEP_4) | instskip(SKIP_1) | instid1(VALU_DEP_3)
	v_fmac_f32_e32 v11, s13, v10
	v_mul_f32_e32 v9, s12, v9
	v_fma_f32 v24, v4, s8, -v24
	s_delay_alu instid0(VALU_DEP_2) | instskip(SKIP_2) | instid1(VALU_DEP_2)
	v_dual_mul_f32 v28, s9, v11 :: v_dual_fmac_f32 v9, s13, v8
	v_fma_f32 v8, v10, s12, -v25
	v_mul_f32_e32 v10, s9, v5
	v_fma_f32 v28, v8, s8, -v28
	s_delay_alu instid0(VALU_DEP_2) | instskip(NEXT) | instid1(VALU_DEP_1)
	v_fma_f32 v10, v22, s8, -v10
	v_dual_mul_f32 v29, s9, v8 :: v_dual_cndmask_b32 v10, v10, v22
	v_cndmask_b32_e32 v22, v24, v4, vcc_lo
	v_mul_f32_e32 v25, s9, v4
	s_delay_alu instid0(VALU_DEP_3)
	v_dual_cndmask_b32 v24, v28, v8 :: v_dual_fmac_f32 v29, s8, v11
	s_waitcnt vmcnt(1)
	v_add_f32_e32 v4, v12, v10
	v_mul_f32_e32 v26, s9, v9
	s_waitcnt vmcnt(0)
	v_dual_add_f32 v10, v18, v24 :: v_dual_fmac_f32 v23, s8, v5
	v_cndmask_b32_e32 v11, v29, v11, vcc_lo
	s_delay_alu instid0(VALU_DEP_3) | instskip(NEXT) | instid1(VALU_DEP_3)
	v_fma_f32 v26, v6, s8, -v26
	v_cndmask_b32_e32 v5, v23, v5, vcc_lo
	s_delay_alu instid0(VALU_DEP_3) | instskip(NEXT) | instid1(VALU_DEP_3)
	v_add_f32_e32 v11, v19, v11
	v_cndmask_b32_e32 v23, v26, v6, vcc_lo
	v_mul_f32_e32 v27, s9, v6
	v_dual_add_f32 v6, v14, v22 :: v_dual_fmac_f32 v25, s8, v7
	s_delay_alu instid0(VALU_DEP_3) | instskip(NEXT) | instid1(VALU_DEP_3)
	v_dual_add_f32 v5, v13, v5 :: v_dual_add_f32 v8, v16, v23
	v_fmac_f32_e32 v27, s8, v9
	s_delay_alu instid0(VALU_DEP_3) | instskip(NEXT) | instid1(VALU_DEP_2)
	v_cndmask_b32_e32 v7, v25, v7, vcc_lo
	v_cndmask_b32_e32 v9, v27, v9, vcc_lo
	s_delay_alu instid0(VALU_DEP_2) | instskip(NEXT) | instid1(VALU_DEP_2)
	v_add_f32_e32 v7, v15, v7
	v_add_f32_e32 v9, v17, v9
	s_clause 0x1
	global_store_b128 v[20:21], v[4:7], off
	global_store_b128 v[20:21], v[8:11], off offset:16
	s_and_not1_b32 exec_lo, exec_lo, s26
	s_cbranch_execnz .LBB19_3
.LBB19_4:
	s_or_b32 exec_lo, exec_lo, s25
	s_mov_b32 s2, 0
.LBB19_5:
	s_delay_alu instid0(SALU_CYCLE_1)
	s_and_not1_b32 vcc_lo, exec_lo, s2
	s_cbranch_vccnz .LBB19_25
; %bb.6:
	v_cmp_lt_i64_e64 s2, s[10:11], 1
	s_delay_alu instid0(VALU_DEP_1)
	s_and_b32 vcc_lo, exec_lo, s2
	s_cbranch_vccnz .LBB19_25
; %bb.7:
	s_load_b32 s0, s[0:1], 0xc04
	v_dual_mov_b32 v1, 0 :: v_dual_lshlrev_b32 v6, 3, v0
	s_waitcnt lgkmcnt(0)
	s_and_b32 s2, s9, 0x7fffffff
	v_cmp_eq_f32_e64 s1, s8, 1.0
	v_cmp_gt_u64_e64 s4, 0x10000, s[10:11]
	v_or_b32_e32 v2, 4, v6
	v_mov_b32_e32 v3, v1
	s_mov_b32 s3, 0
	s_delay_alu instid0(VALU_DEP_2) | instskip(NEXT) | instid1(VALU_DEP_1)
	v_add_co_u32 v24, s5, s16, v2
	v_add_co_ci_u32_e64 v25, null, s17, 0, s5
	s_and_b32 s20, s0, 0xffff
	s_cmp_eq_u32 s2, 0
	v_add_lshl_u32 v7, v0, s20, 3
	s_cselect_b32 s0, -1, 0
	v_mad_u64_u32 v[4:5], null, s20, 24, v[2:3]
	s_and_b32 s0, s1, s0
	s_and_b32 s1, s4, exec_lo
	v_add_co_u32 v26, s1, s18, v7
	s_delay_alu instid0(VALU_DEP_1) | instskip(SKIP_1) | instid1(VALU_DEP_1)
	v_add_co_ci_u32_e64 v27, null, s19, 0, s1
	v_add_co_u32 v28, s1, s14, v2
	v_add_co_ci_u32_e64 v29, null, s15, 0, s1
	v_add_co_u32 v30, s1, s14, v7
	s_delay_alu instid0(VALU_DEP_1) | instskip(SKIP_1) | instid1(VALU_DEP_1)
	v_add_co_ci_u32_e64 v31, null, s15, 0, s1
	v_add_co_u32 v32, s1, s18, v2
	v_add_co_ci_u32_e64 v33, null, s19, 0, s1
	v_add_co_u32 v34, s1, s16, v7
	s_cselect_b32 s5, s11, 0
	s_cselect_b32 s4, s10, 0x10000
	v_add_co_ci_u32_e64 v35, null, s17, 0, s1
	s_lshl_b32 s1, s20, 4
	v_add_co_u32 v36, vcc_lo, s16, v4
	v_add_co_u32 v2, s1, s1, v6
	v_add_co_ci_u32_e32 v37, vcc_lo, s17, v5, vcc_lo
	v_add_co_ci_u32_e64 v3, null, 0, 0, s1
	v_add_co_u32 v38, vcc_lo, s14, v4
	v_add_co_ci_u32_e32 v39, vcc_lo, s15, v5, vcc_lo
	v_add_co_u32 v40, vcc_lo, s18, v2
	s_delay_alu instid0(VALU_DEP_4)
	v_add_co_ci_u32_e32 v41, vcc_lo, s19, v3, vcc_lo
	v_add_co_u32 v42, vcc_lo, s18, v4
	v_add_co_ci_u32_e32 v43, vcc_lo, s19, v5, vcc_lo
	v_add_co_u32 v4, vcc_lo, v2, s16
	;; [unrolled: 2-line block ×3, first 2 shown]
	v_add_co_ci_u32_e32 v45, vcc_lo, s15, v3, vcc_lo
	s_delay_alu instid0(VALU_DEP_4) | instskip(NEXT) | instid1(VALU_DEP_4)
	v_add_co_u32 v46, vcc_lo, v4, 4
	v_add_co_ci_u32_e32 v47, vcc_lo, 0, v5, vcc_lo
	s_lshl_b32 s2, s20, 2
	s_mul_i32 s21, s20, 3
	s_lshl_b32 s22, s20, 1
	s_lshl_b32 s16, s20, 5
	s_mov_b64 s[14:15], s[2:3]
	s_branch .LBB19_9
.LBB19_8:                               ;   in Loop: Header=BB19_9 Depth=1
	s_or_b32 exec_lo, exec_lo, s1
	v_add_co_u32 v0, vcc_lo, v0, s2
	v_add_co_ci_u32_e32 v1, vcc_lo, 0, v1, vcc_lo
	v_add_co_u32 v24, vcc_lo, v24, s16
	v_add_co_ci_u32_e32 v25, vcc_lo, 0, v25, vcc_lo
	v_add_co_u32 v26, vcc_lo, v26, s16
	v_add_co_ci_u32_e32 v27, vcc_lo, 0, v27, vcc_lo
	v_add_co_u32 v28, vcc_lo, v28, s16
	v_add_co_ci_u32_e32 v29, vcc_lo, 0, v29, vcc_lo
	v_add_co_u32 v30, vcc_lo, v30, s16
	v_add_co_ci_u32_e32 v31, vcc_lo, 0, v31, vcc_lo
	v_add_co_u32 v32, vcc_lo, v32, s16
	v_add_co_ci_u32_e32 v33, vcc_lo, 0, v33, vcc_lo
	v_add_co_u32 v34, vcc_lo, v34, s16
	v_add_co_ci_u32_e32 v35, vcc_lo, 0, v35, vcc_lo
	v_add_co_u32 v36, vcc_lo, v36, s16
	v_add_co_ci_u32_e32 v37, vcc_lo, 0, v37, vcc_lo
	v_add_co_u32 v38, vcc_lo, v38, s16
	v_add_co_ci_u32_e32 v39, vcc_lo, 0, v39, vcc_lo
	v_add_co_u32 v40, vcc_lo, v40, s16
	v_add_co_ci_u32_e32 v41, vcc_lo, 0, v41, vcc_lo
	v_add_co_u32 v42, vcc_lo, v42, s16
	v_add_co_ci_u32_e32 v43, vcc_lo, 0, v43, vcc_lo
	v_cmp_ge_i64_e64 s1, s[14:15], s[10:11]
	v_cmp_lt_u64_e64 s3, 0xffff, s[14:15]
	v_add_co_u32 v44, vcc_lo, v44, s16
	v_add_co_ci_u32_e32 v45, vcc_lo, 0, v45, vcc_lo
	v_add_co_u32 v46, vcc_lo, v46, s16
	v_add_co_ci_u32_e32 v47, vcc_lo, 0, v47, vcc_lo
	s_or_b32 s1, s1, s3
	s_add_u32 s14, s14, s2
	s_addc_u32 s15, s15, 0
	s_and_b32 vcc_lo, exec_lo, s1
	s_cbranch_vccnz .LBB19_25
.LBB19_9:                               ; =>This Inner Loop Header: Depth=1
	v_cmp_gt_i64_e32 vcc_lo, s[10:11], v[0:1]
	v_cmp_gt_u64_e64 s1, 0x10000, v[0:1]
	s_waitcnt vmcnt(0)
	v_dual_mov_b32 v9, 0 :: v_dual_mov_b32 v8, 0
	v_dual_mov_b32 v5, 0 :: v_dual_mov_b32 v4, 0
	s_delay_alu instid0(VALU_DEP_3) | instskip(NEXT) | instid1(SALU_CYCLE_1)
	s_and_b32 s3, vcc_lo, s1
	s_and_saveexec_b32 s1, s3
	s_cbranch_execz .LBB19_11
; %bb.10:                               ;   in Loop: Header=BB19_9 Depth=1
	v_add_co_u32 v2, vcc_lo, v28, s6
	v_add_co_ci_u32_e32 v3, vcc_lo, s7, v29, vcc_lo
	v_add_co_u32 v6, vcc_lo, v24, s6
	v_add_co_ci_u32_e32 v7, vcc_lo, s7, v25, vcc_lo
	global_load_b64 v[4:5], v[2:3], off offset:-4
	global_load_b64 v[8:9], v[6:7], off offset:-4
.LBB19_11:                              ;   in Loop: Header=BB19_9 Depth=1
	s_or_b32 exec_lo, exec_lo, s1
	v_add_co_u32 v10, vcc_lo, s20, v0
	v_add_co_ci_u32_e32 v11, vcc_lo, 0, v1, vcc_lo
	v_dual_mov_b32 v3, 0 :: v_dual_mov_b32 v12, 0
	v_dual_mov_b32 v13, 0 :: v_dual_mov_b32 v6, 0
	s_delay_alu instid0(VALU_DEP_3) | instskip(SKIP_2) | instid1(VALU_DEP_2)
	v_cmp_gt_i64_e32 vcc_lo, s[10:11], v[10:11]
	v_cmp_gt_u64_e64 s1, 0x10000, v[10:11]
	v_mov_b32_e32 v7, 0
	s_and_b32 s3, vcc_lo, s1
	s_delay_alu instid0(SALU_CYCLE_1)
	s_and_saveexec_b32 s1, s3
	s_cbranch_execz .LBB19_13
; %bb.12:                               ;   in Loop: Header=BB19_9 Depth=1
	v_add_co_u32 v6, vcc_lo, v30, s6
	v_add_co_ci_u32_e32 v7, vcc_lo, s7, v31, vcc_lo
	v_add_co_u32 v12, vcc_lo, v34, s6
	v_add_co_ci_u32_e32 v13, vcc_lo, s7, v35, vcc_lo
	global_load_b64 v[6:7], v[6:7], off
	global_load_b64 v[12:13], v[12:13], off
.LBB19_13:                              ;   in Loop: Header=BB19_9 Depth=1
	s_or_b32 exec_lo, exec_lo, s1
	v_add_co_u32 v16, vcc_lo, s22, v0
	v_add_co_ci_u32_e32 v17, vcc_lo, 0, v1, vcc_lo
	v_dual_mov_b32 v2, 0 :: v_dual_mov_b32 v15, 0
	v_mov_b32_e32 v14, 0
	s_delay_alu instid0(VALU_DEP_3) | instskip(SKIP_1) | instid1(VALU_DEP_1)
	v_cmp_gt_i64_e32 vcc_lo, s[10:11], v[16:17]
	v_cmp_gt_u64_e64 s1, 0x10000, v[16:17]
	s_and_b32 s3, vcc_lo, s1
	s_delay_alu instid0(SALU_CYCLE_1)
	s_and_saveexec_b32 s1, s3
	s_cbranch_execz .LBB19_15
; %bb.14:                               ;   in Loop: Header=BB19_9 Depth=1
	v_add_co_u32 v2, vcc_lo, v44, s6
	v_add_co_ci_u32_e32 v3, vcc_lo, s7, v45, vcc_lo
	v_add_co_u32 v18, vcc_lo, v46, s6
	v_add_co_ci_u32_e32 v19, vcc_lo, s7, v47, vcc_lo
	global_load_b64 v[14:15], v[2:3], off
	global_load_b64 v[2:3], v[18:19], off offset:-4
.LBB19_15:                              ;   in Loop: Header=BB19_9 Depth=1
	s_or_b32 exec_lo, exec_lo, s1
	v_add_co_u32 v20, vcc_lo, s21, v0
	v_add_co_ci_u32_e32 v21, vcc_lo, 0, v1, vcc_lo
	v_dual_mov_b32 v23, 0 :: v_dual_mov_b32 v22, 0
	v_dual_mov_b32 v19, 0 :: v_dual_mov_b32 v18, 0
	s_delay_alu instid0(VALU_DEP_3) | instskip(SKIP_1) | instid1(VALU_DEP_1)
	v_cmp_gt_i64_e32 vcc_lo, s[10:11], v[20:21]
	v_cmp_gt_u64_e64 s1, 0x10000, v[20:21]
	s_and_b32 s3, vcc_lo, s1
	s_delay_alu instid0(SALU_CYCLE_1)
	s_and_saveexec_b32 s1, s3
	s_cbranch_execnz .LBB19_20
; %bb.16:                               ;   in Loop: Header=BB19_9 Depth=1
	s_or_b32 exec_lo, exec_lo, s1
	s_delay_alu instid0(SALU_CYCLE_1)
	s_mov_b32 s1, exec_lo
	v_cmpx_gt_u64_e64 s[4:5], v[0:1]
	s_cbranch_execnz .LBB19_21
.LBB19_17:                              ;   in Loop: Header=BB19_9 Depth=1
	s_or_b32 exec_lo, exec_lo, s1
	s_delay_alu instid0(SALU_CYCLE_1)
	s_mov_b32 s1, exec_lo
	v_cmpx_gt_u64_e64 s[4:5], v[10:11]
	s_cbranch_execnz .LBB19_22
.LBB19_18:                              ;   in Loop: Header=BB19_9 Depth=1
	s_or_b32 exec_lo, exec_lo, s1
	s_delay_alu instid0(SALU_CYCLE_1)
	s_mov_b32 s1, exec_lo
	v_cmpx_gt_u64_e64 s[4:5], v[16:17]
	s_cbranch_execnz .LBB19_23
.LBB19_19:                              ;   in Loop: Header=BB19_9 Depth=1
	s_or_b32 exec_lo, exec_lo, s1
	s_delay_alu instid0(SALU_CYCLE_1)
	s_mov_b32 s1, exec_lo
	v_cmpx_gt_u64_e64 s[4:5], v[20:21]
	s_cbranch_execz .LBB19_8
	s_branch .LBB19_24
.LBB19_20:                              ;   in Loop: Header=BB19_9 Depth=1
	v_add_co_u32 v18, vcc_lo, v38, s6
	v_add_co_ci_u32_e32 v19, vcc_lo, s7, v39, vcc_lo
	v_add_co_u32 v22, vcc_lo, v36, s6
	v_add_co_ci_u32_e32 v23, vcc_lo, s7, v37, vcc_lo
	global_load_b64 v[18:19], v[18:19], off offset:-4
	global_load_b64 v[22:23], v[22:23], off offset:-4
	s_or_b32 exec_lo, exec_lo, s1
	s_delay_alu instid0(SALU_CYCLE_1)
	s_mov_b32 s1, exec_lo
	v_cmpx_gt_u64_e64 s[4:5], v[0:1]
	s_cbranch_execz .LBB19_17
.LBB19_21:                              ;   in Loop: Header=BB19_9 Depth=1
	s_waitcnt vmcnt(0)
	v_dual_mul_f32 v48, s13, v9 :: v_dual_mul_f32 v49, s13, v8
	s_delay_alu instid0(VALU_DEP_1) | instskip(NEXT) | instid1(VALU_DEP_2)
	v_fma_f32 v8, v8, s12, -v48
	v_fmac_f32_e32 v49, s12, v9
	s_delay_alu instid0(VALU_DEP_1) | instskip(NEXT) | instid1(VALU_DEP_1)
	v_dual_mul_f32 v9, s9, v8 :: v_dual_mul_f32 v48, s9, v49
	v_fma_f32 v48, v8, s8, -v48
	s_delay_alu instid0(VALU_DEP_1) | instskip(NEXT) | instid1(VALU_DEP_1)
	v_cndmask_b32_e64 v8, v48, v8, s0
	v_dual_add_f32 v4, v4, v8 :: v_dual_fmac_f32 v9, s8, v49
	v_add_co_u32 v8, vcc_lo, v32, s6
	s_delay_alu instid0(VALU_DEP_2) | instskip(NEXT) | instid1(VALU_DEP_1)
	v_cndmask_b32_e64 v9, v9, v49, s0
	v_add_f32_e32 v5, v5, v9
	v_add_co_ci_u32_e32 v9, vcc_lo, s7, v33, vcc_lo
	global_store_b64 v[8:9], v[4:5], off offset:-4
	s_or_b32 exec_lo, exec_lo, s1
	s_delay_alu instid0(SALU_CYCLE_1)
	s_mov_b32 s1, exec_lo
	v_cmpx_gt_u64_e64 s[4:5], v[10:11]
	s_cbranch_execz .LBB19_18
.LBB19_22:                              ;   in Loop: Header=BB19_9 Depth=1
	s_waitcnt vmcnt(0)
	v_dual_mul_f32 v4, s13, v12 :: v_dual_mul_f32 v5, s13, v13
	s_delay_alu instid0(VALU_DEP_1) | instskip(NEXT) | instid1(VALU_DEP_2)
	v_fmac_f32_e32 v4, s12, v13
	v_fma_f32 v5, v12, s12, -v5
	s_delay_alu instid0(VALU_DEP_1) | instskip(NEXT) | instid1(VALU_DEP_1)
	v_dual_mul_f32 v8, s9, v4 :: v_dual_mul_f32 v9, s9, v5
	v_fma_f32 v8, v5, s8, -v8
	s_delay_alu instid0(VALU_DEP_1) | instskip(NEXT) | instid1(VALU_DEP_3)
	v_cndmask_b32_e64 v5, v8, v5, s0
	v_fmac_f32_e32 v9, s8, v4
	s_delay_alu instid0(VALU_DEP_1) | instskip(NEXT) | instid1(VALU_DEP_3)
	v_cndmask_b32_e64 v8, v9, v4, s0
	v_add_f32_e32 v4, v6, v5
	v_add_co_u32 v6, vcc_lo, v26, s6
	s_delay_alu instid0(VALU_DEP_3) | instskip(SKIP_3) | instid1(SALU_CYCLE_1)
	v_add_f32_e32 v5, v7, v8
	v_add_co_ci_u32_e32 v7, vcc_lo, s7, v27, vcc_lo
	global_store_b64 v[6:7], v[4:5], off
	s_or_b32 exec_lo, exec_lo, s1
	s_mov_b32 s1, exec_lo
	v_cmpx_gt_u64_e64 s[4:5], v[16:17]
	s_cbranch_execz .LBB19_19
.LBB19_23:                              ;   in Loop: Header=BB19_9 Depth=1
	s_waitcnt vmcnt(0)
	v_dual_mul_f32 v4, s13, v2 :: v_dual_mul_f32 v5, s13, v3
	s_delay_alu instid0(VALU_DEP_1) | instskip(NEXT) | instid1(VALU_DEP_1)
	v_fma_f32 v2, v2, s12, -v5
	v_dual_fmac_f32 v4, s12, v3 :: v_dual_mul_f32 v5, s9, v2
	s_delay_alu instid0(VALU_DEP_1) | instskip(NEXT) | instid1(VALU_DEP_2)
	v_mul_f32_e32 v3, s9, v4
	v_fmac_f32_e32 v5, s8, v4
	s_delay_alu instid0(VALU_DEP_2) | instskip(NEXT) | instid1(VALU_DEP_1)
	v_fma_f32 v3, v2, s8, -v3
	v_cndmask_b32_e64 v2, v3, v2, s0
	s_delay_alu instid0(VALU_DEP_3) | instskip(SKIP_2) | instid1(VALU_DEP_3)
	v_cndmask_b32_e64 v3, v5, v4, s0
	v_add_co_u32 v4, vcc_lo, v40, s6
	v_add_co_ci_u32_e32 v5, vcc_lo, s7, v41, vcc_lo
	v_dual_add_f32 v2, v14, v2 :: v_dual_add_f32 v3, v15, v3
	global_store_b64 v[4:5], v[2:3], off
	s_or_b32 exec_lo, exec_lo, s1
	s_delay_alu instid0(SALU_CYCLE_1)
	s_mov_b32 s1, exec_lo
	v_cmpx_gt_u64_e64 s[4:5], v[20:21]
	s_cbranch_execz .LBB19_8
.LBB19_24:                              ;   in Loop: Header=BB19_9 Depth=1
	s_waitcnt vmcnt(0)
	v_dual_mul_f32 v2, s13, v22 :: v_dual_mul_f32 v3, s13, v23
	s_delay_alu instid0(VALU_DEP_1) | instskip(NEXT) | instid1(VALU_DEP_2)
	v_fmac_f32_e32 v2, s12, v23
	v_fma_f32 v3, v22, s12, -v3
	s_delay_alu instid0(VALU_DEP_1) | instskip(NEXT) | instid1(VALU_DEP_1)
	v_dual_mul_f32 v4, s9, v2 :: v_dual_mul_f32 v5, s9, v3
	v_fma_f32 v4, v3, s8, -v4
	s_delay_alu instid0(VALU_DEP_1) | instskip(NEXT) | instid1(VALU_DEP_3)
	v_cndmask_b32_e64 v3, v4, v3, s0
	v_fmac_f32_e32 v5, s8, v2
	s_delay_alu instid0(VALU_DEP_1) | instskip(NEXT) | instid1(VALU_DEP_1)
	v_cndmask_b32_e64 v4, v5, v2, s0
	v_dual_add_f32 v2, v18, v3 :: v_dual_add_f32 v3, v19, v4
	v_add_co_u32 v4, vcc_lo, v42, s6
	v_add_co_ci_u32_e32 v5, vcc_lo, s7, v43, vcc_lo
	global_store_b64 v[4:5], v[2:3], off offset:-4
	s_branch .LBB19_8
.LBB19_25:
	s_nop 0
	s_sendmsg sendmsg(MSG_DEALLOC_VGPRS)
	s_endpgm
	.section	.rodata,"a",@progbits
	.p2align	6, 0x0
	.amdhsa_kernel _ZN2at6native12_GLOBAL__N_125multi_tensor_apply_kernelINS1_18TensorListMetadataILi4EEENS1_32PointwiseOpScalar0dTensorFunctorIN3c107complexIfEELi4ELi2ELi3EEEJSt10multipliesIS8_ES8_EEEvT_T0_DpT1_
		.amdhsa_group_segment_fixed_size 0
		.amdhsa_private_segment_fixed_size 0
		.amdhsa_kernarg_size 3320
		.amdhsa_user_sgpr_count 15
		.amdhsa_user_sgpr_dispatch_ptr 0
		.amdhsa_user_sgpr_queue_ptr 0
		.amdhsa_user_sgpr_kernarg_segment_ptr 1
		.amdhsa_user_sgpr_dispatch_id 0
		.amdhsa_user_sgpr_private_segment_size 0
		.amdhsa_wavefront_size32 1
		.amdhsa_uses_dynamic_stack 0
		.amdhsa_enable_private_segment 0
		.amdhsa_system_sgpr_workgroup_id_x 1
		.amdhsa_system_sgpr_workgroup_id_y 0
		.amdhsa_system_sgpr_workgroup_id_z 0
		.amdhsa_system_sgpr_workgroup_info 0
		.amdhsa_system_vgpr_workitem_id 0
		.amdhsa_next_free_vgpr 50
		.amdhsa_next_free_sgpr 32
		.amdhsa_reserve_vcc 1
		.amdhsa_float_round_mode_32 0
		.amdhsa_float_round_mode_16_64 0
		.amdhsa_float_denorm_mode_32 3
		.amdhsa_float_denorm_mode_16_64 3
		.amdhsa_dx10_clamp 1
		.amdhsa_ieee_mode 1
		.amdhsa_fp16_overflow 0
		.amdhsa_workgroup_processor_mode 1
		.amdhsa_memory_ordered 1
		.amdhsa_forward_progress 0
		.amdhsa_shared_vgpr_count 0
		.amdhsa_exception_fp_ieee_invalid_op 0
		.amdhsa_exception_fp_denorm_src 0
		.amdhsa_exception_fp_ieee_div_zero 0
		.amdhsa_exception_fp_ieee_overflow 0
		.amdhsa_exception_fp_ieee_underflow 0
		.amdhsa_exception_fp_ieee_inexact 0
		.amdhsa_exception_int_div_zero 0
	.end_amdhsa_kernel
	.section	.text._ZN2at6native12_GLOBAL__N_125multi_tensor_apply_kernelINS1_18TensorListMetadataILi4EEENS1_32PointwiseOpScalar0dTensorFunctorIN3c107complexIfEELi4ELi2ELi3EEEJSt10multipliesIS8_ES8_EEEvT_T0_DpT1_,"axG",@progbits,_ZN2at6native12_GLOBAL__N_125multi_tensor_apply_kernelINS1_18TensorListMetadataILi4EEENS1_32PointwiseOpScalar0dTensorFunctorIN3c107complexIfEELi4ELi2ELi3EEEJSt10multipliesIS8_ES8_EEEvT_T0_DpT1_,comdat
.Lfunc_end19:
	.size	_ZN2at6native12_GLOBAL__N_125multi_tensor_apply_kernelINS1_18TensorListMetadataILi4EEENS1_32PointwiseOpScalar0dTensorFunctorIN3c107complexIfEELi4ELi2ELi3EEEJSt10multipliesIS8_ES8_EEEvT_T0_DpT1_, .Lfunc_end19-_ZN2at6native12_GLOBAL__N_125multi_tensor_apply_kernelINS1_18TensorListMetadataILi4EEENS1_32PointwiseOpScalar0dTensorFunctorIN3c107complexIfEELi4ELi2ELi3EEEJSt10multipliesIS8_ES8_EEEvT_T0_DpT1_
                                        ; -- End function
	.section	.AMDGPU.csdata,"",@progbits
; Kernel info:
; codeLenInByte = 2492
; NumSgprs: 34
; NumVgprs: 50
; ScratchSize: 0
; MemoryBound: 0
; FloatMode: 240
; IeeeMode: 1
; LDSByteSize: 0 bytes/workgroup (compile time only)
; SGPRBlocks: 4
; VGPRBlocks: 6
; NumSGPRsForWavesPerEU: 34
; NumVGPRsForWavesPerEU: 50
; Occupancy: 16
; WaveLimiterHint : 0
; COMPUTE_PGM_RSRC2:SCRATCH_EN: 0
; COMPUTE_PGM_RSRC2:USER_SGPR: 15
; COMPUTE_PGM_RSRC2:TRAP_HANDLER: 0
; COMPUTE_PGM_RSRC2:TGID_X_EN: 1
; COMPUTE_PGM_RSRC2:TGID_Y_EN: 0
; COMPUTE_PGM_RSRC2:TGID_Z_EN: 0
; COMPUTE_PGM_RSRC2:TIDIG_COMP_CNT: 0
	.section	.text._ZN2at6native12_GLOBAL__N_125multi_tensor_apply_kernelINS1_18TensorListMetadataILi4EEENS1_32PointwiseOpScalar0dTensorFunctorIN3c104HalfELi4ELi2ELi3EEEJSt10multipliesIfEfEEEvT_T0_DpT1_,"axG",@progbits,_ZN2at6native12_GLOBAL__N_125multi_tensor_apply_kernelINS1_18TensorListMetadataILi4EEENS1_32PointwiseOpScalar0dTensorFunctorIN3c104HalfELi4ELi2ELi3EEEJSt10multipliesIfEfEEEvT_T0_DpT1_,comdat
	.globl	_ZN2at6native12_GLOBAL__N_125multi_tensor_apply_kernelINS1_18TensorListMetadataILi4EEENS1_32PointwiseOpScalar0dTensorFunctorIN3c104HalfELi4ELi2ELi3EEEJSt10multipliesIfEfEEEvT_T0_DpT1_ ; -- Begin function _ZN2at6native12_GLOBAL__N_125multi_tensor_apply_kernelINS1_18TensorListMetadataILi4EEENS1_32PointwiseOpScalar0dTensorFunctorIN3c104HalfELi4ELi2ELi3EEEJSt10multipliesIfEfEEEvT_T0_DpT1_
	.p2align	8
	.type	_ZN2at6native12_GLOBAL__N_125multi_tensor_apply_kernelINS1_18TensorListMetadataILi4EEENS1_32PointwiseOpScalar0dTensorFunctorIN3c104HalfELi4ELi2ELi3EEEJSt10multipliesIfEfEEEvT_T0_DpT1_,@function
_ZN2at6native12_GLOBAL__N_125multi_tensor_apply_kernelINS1_18TensorListMetadataILi4EEENS1_32PointwiseOpScalar0dTensorFunctorIN3c104HalfELi4ELi2ELi3EEEJSt10multipliesIfEfEEEvT_T0_DpT1_: ; @_ZN2at6native12_GLOBAL__N_125multi_tensor_apply_kernelINS1_18TensorListMetadataILi4EEENS1_32PointwiseOpScalar0dTensorFunctorIN3c104HalfELi4ELi2ELi3EEEJSt10multipliesIfEfEEEvT_T0_DpT1_
; %bb.0:
	v_dual_mov_b32 v1, s15 :: v_dual_mov_b32 v2, 0
	s_add_u32 s2, s0, s15
	s_mul_i32 s4, s15, 3
	s_addc_u32 s3, s1, 0
	global_load_u8 v1, v1, s[0:1] offset:1440
	s_mul_hi_u32 s5, s15, 3
	s_add_u32 s2, s2, s4
	s_addc_u32 s3, s3, s5
	s_mov_b32 s21, 0
	s_load_b32 s6, s[2:3], 0x6e0
	s_mov_b32 s17, s21
	s_waitcnt lgkmcnt(0)
	s_ashr_i32 s7, s6, 31
	s_delay_alu instid0(SALU_CYCLE_1) | instskip(SKIP_2) | instid1(VALU_DEP_1)
	s_lshl_b64 s[4:5], s[6:7], 17
	s_waitcnt vmcnt(0)
	v_readfirstlane_b32 s2, v1
	s_lshl_b32 s9, s2, 3
	s_clause 0x4
	s_load_b64 s[2:3], s[0:1], s9 offset:0x120
	s_load_b64 s[10:11], s[0:1], s9 offset:0x240
	;; [unrolled: 1-line block ×5, first 2 shown]
	s_waitcnt lgkmcnt(0)
	global_load_u16 v1, v2, s[2:3]
	s_add_u32 s3, s14, s4
	s_addc_u32 s8, s15, s5
	s_add_u32 s2, s2, s4
	s_and_b32 s20, s3, 7
	s_and_b32 s16, s2, 7
	s_delay_alu instid0(SALU_CYCLE_1)
	s_cmp_lg_u64 s[16:17], 0
	s_cselect_b32 s2, -1, 0
	s_add_u32 s9, s10, s4
	s_addc_u32 s17, s11, s5
	s_add_u32 s18, s12, s4
	s_addc_u32 s19, s13, s5
	s_or_b32 s16, s18, s9
	s_delay_alu instid0(SALU_CYCLE_1) | instskip(NEXT) | instid1(SALU_CYCLE_1)
	s_and_b32 s16, s16, 7
	s_cmp_lg_u32 s16, 0
	s_cselect_b32 s16, -1, 0
	s_lshl_b64 s[6:7], s[6:7], 16
	s_or_b32 s2, s16, s2
	s_load_b32 s16, s[0:1], 0xbec
	s_sub_u32 s6, s22, s6
	s_subb_u32 s7, s23, s7
	s_and_b32 s22, s22, 3
	s_mov_b32 s23, s21
	s_delay_alu instid0(SALU_CYCLE_1) | instskip(NEXT) | instid1(SALU_CYCLE_1)
	s_or_b64 s[20:21], s[20:21], s[22:23]
	s_cmp_lg_u64 s[20:21], 0
	s_cselect_b32 s20, -1, 0
	s_delay_alu instid0(SALU_CYCLE_1) | instskip(NEXT) | instid1(SALU_CYCLE_1)
	s_or_b32 s2, s2, s20
	s_and_not1_b32 vcc_lo, exec_lo, s2
	s_mov_b32 s2, -1
	s_waitcnt vmcnt(0)
	v_cvt_f32_f16_e32 v8, v1
	s_cbranch_vccz .LBB20_21
; %bb.1:
	v_lshlrev_b32_e32 v1, 2, v0
	s_mov_b32 s20, exec_lo
	s_delay_alu instid0(VALU_DEP_1)
	v_cmpx_gt_i64_e64 s[6:7], v[1:2]
	s_cbranch_execz .LBB20_20
; %bb.2:
	s_load_b32 s2, s[0:1], 0xbfc
	v_dual_mov_b32 v2, 0 :: v_dual_lshlrev_b32 v7, 3, v0
	s_waitcnt lgkmcnt(0)
	v_cmp_neq_f32_e64 s21, s16, 1.0
	s_mov_b32 s22, 0
	s_and_b32 s2, s2, 0xffff
	s_delay_alu instid0(SALU_CYCLE_1)
	v_add_lshl_u32 v1, v0, s2, 2
	s_lshl_b32 s23, s2, 2
	s_lshl_b32 s24, s2, 3
	s_branch .LBB20_4
.LBB20_3:                               ;   in Loop: Header=BB20_4 Depth=1
	v_cmp_le_i64_e32 vcc_lo, s[6:7], v[1:2]
	v_cmp_lt_u64_e64 s2, 0xffff, v[1:2]
	v_cvt_f16_f32_e32 v5, v5
	v_cvt_f16_f32_e32 v11, v3
	;; [unrolled: 1-line block ×4, first 2 shown]
	v_add_co_u32 v3, s25, s18, v7
	s_or_b32 s2, vcc_lo, s2
	s_add_u32 s3, s3, s24
	s_addc_u32 s8, s8, 0
	s_add_u32 s18, s18, s24
	v_add_co_ci_u32_e64 v4, null, s19, 0, s25
	v_add_co_u32 v1, vcc_lo, v1, s23
	s_addc_u32 s19, s19, 0
	s_add_u32 s9, s9, s24
	v_pack_b32_f16 v6, v5, v6
	v_pack_b32_f16 v5, v9, v11
	v_add_co_ci_u32_e32 v2, vcc_lo, 0, v2, vcc_lo
	s_addc_u32 s17, s17, 0
	s_and_b32 s2, exec_lo, s2
	global_store_b64 v[3:4], v[5:6], off
	s_or_b32 s22, s2, s22
	s_delay_alu instid0(SALU_CYCLE_1)
	s_and_not1_b32 exec_lo, exec_lo, s22
	s_cbranch_execz .LBB20_20
.LBB20_4:                               ; =>This Inner Loop Header: Depth=1
	v_add_co_u32 v3, s2, s3, v7
	s_delay_alu instid0(VALU_DEP_1) | instskip(SKIP_1) | instid1(VALU_DEP_1)
	v_add_co_ci_u32_e64 v4, null, s8, 0, s2
	v_add_co_u32 v5, s2, s9, v7
	v_add_co_ci_u32_e64 v6, null, s17, 0, s2
	global_load_b64 v[3:4], v[3:4], off
	global_load_b64 v[5:6], v[5:6], off
	s_and_b32 vcc_lo, exec_lo, s21
	s_waitcnt vmcnt(1)
	v_cvt_f32_f16_e32 v10, v3
	s_waitcnt vmcnt(0)
	v_cvt_f32_f16_e32 v11, v5
	s_cbranch_vccz .LBB20_15
; %bb.5:                                ;   in Loop: Header=BB20_4 Depth=1
	s_delay_alu instid0(VALU_DEP_1) | instskip(NEXT) | instid1(VALU_DEP_1)
	v_mul_f32_e32 v9, v8, v11
	v_fma_f32 v9, s16, v9, v10
	s_cbranch_execnz .LBB20_7
.LBB20_6:                               ;   in Loop: Header=BB20_4 Depth=1
	s_delay_alu instid0(VALU_DEP_1) | instskip(NEXT) | instid1(VALU_DEP_1)
	v_fmac_f32_e32 v10, v8, v11
	v_mov_b32_e32 v9, v10
.LBB20_7:                               ;   in Loop: Header=BB20_4 Depth=1
	v_lshrrev_b32_e32 v3, 16, v3
	v_lshrrev_b32_e32 v10, 16, v5
	s_and_not1_b32 vcc_lo, exec_lo, s21
	s_delay_alu instid0(VALU_DEP_2) | instskip(NEXT) | instid1(VALU_DEP_2)
	v_cvt_f32_f16_e32 v5, v3
	v_cvt_f32_f16_e32 v10, v10
	s_cbranch_vccnz .LBB20_16
; %bb.8:                                ;   in Loop: Header=BB20_4 Depth=1
	s_delay_alu instid0(VALU_DEP_1) | instskip(NEXT) | instid1(VALU_DEP_1)
	v_mul_f32_e32 v3, v8, v10
	v_fma_f32 v3, s16, v3, v5
	s_cbranch_execnz .LBB20_10
.LBB20_9:                               ;   in Loop: Header=BB20_4 Depth=1
	s_delay_alu instid0(VALU_DEP_1) | instskip(NEXT) | instid1(VALU_DEP_1)
	v_fmac_f32_e32 v5, v8, v10
	v_mov_b32_e32 v3, v5
.LBB20_10:                              ;   in Loop: Header=BB20_4 Depth=1
	v_cvt_f32_f16_e32 v10, v4
	v_cvt_f32_f16_e32 v11, v6
	s_and_not1_b32 vcc_lo, exec_lo, s21
	s_cbranch_vccnz .LBB20_17
; %bb.11:                               ;   in Loop: Header=BB20_4 Depth=1
	s_delay_alu instid0(VALU_DEP_1) | instskip(NEXT) | instid1(VALU_DEP_1)
	v_mul_f32_e32 v5, v8, v11
	v_fma_f32 v5, s16, v5, v10
	s_cbranch_execnz .LBB20_13
.LBB20_12:                              ;   in Loop: Header=BB20_4 Depth=1
	s_delay_alu instid0(VALU_DEP_1) | instskip(NEXT) | instid1(VALU_DEP_1)
	v_fmac_f32_e32 v10, v8, v11
	v_mov_b32_e32 v5, v10
.LBB20_13:                              ;   in Loop: Header=BB20_4 Depth=1
	v_lshrrev_b32_e32 v4, 16, v4
	v_lshrrev_b32_e32 v6, 16, v6
	s_and_not1_b32 vcc_lo, exec_lo, s21
	s_delay_alu instid0(VALU_DEP_2) | instskip(NEXT) | instid1(VALU_DEP_2)
	v_cvt_f32_f16_e32 v4, v4
	v_cvt_f32_f16_e32 v6, v6
	s_cbranch_vccnz .LBB20_18
; %bb.14:                               ;   in Loop: Header=BB20_4 Depth=1
	s_delay_alu instid0(VALU_DEP_1) | instskip(NEXT) | instid1(VALU_DEP_1)
	v_mul_f32_e32 v10, v8, v6
	v_fma_f32 v10, s16, v10, v4
	s_cbranch_execnz .LBB20_3
	s_branch .LBB20_19
.LBB20_15:                              ;   in Loop: Header=BB20_4 Depth=1
                                        ; implicit-def: $vgpr9
	s_branch .LBB20_6
.LBB20_16:                              ;   in Loop: Header=BB20_4 Depth=1
                                        ; implicit-def: $vgpr3
	s_branch .LBB20_9
.LBB20_17:                              ;   in Loop: Header=BB20_4 Depth=1
                                        ; implicit-def: $vgpr5
	s_branch .LBB20_12
.LBB20_18:                              ;   in Loop: Header=BB20_4 Depth=1
                                        ; implicit-def: $vgpr10
.LBB20_19:                              ;   in Loop: Header=BB20_4 Depth=1
	s_delay_alu instid0(VALU_DEP_1) | instskip(NEXT) | instid1(VALU_DEP_1)
	v_fmac_f32_e32 v4, v8, v6
	v_mov_b32_e32 v10, v4
	s_branch .LBB20_3
.LBB20_20:
	s_or_b32 exec_lo, exec_lo, s20
	s_mov_b32 s2, 0
.LBB20_21:
	s_delay_alu instid0(SALU_CYCLE_1)
	s_and_not1_b32 vcc_lo, exec_lo, s2
	s_cbranch_vccnz .LBB20_57
; %bb.22:
	v_cmp_lt_i64_e64 s2, s[6:7], 1
	s_delay_alu instid0(VALU_DEP_1)
	s_and_b32 vcc_lo, exec_lo, s2
	s_cbranch_vccnz .LBB20_57
; %bb.23:
	s_load_b32 s0, s[0:1], 0xbfc
	v_dual_mov_b32 v1, 0 :: v_dual_lshlrev_b32 v2, 1, v0
	v_cmp_gt_u64_e64 s2, 0x10000, s[6:7]
	s_waitcnt lgkmcnt(0)
	v_cmp_neq_f32_e64 s1, s16, 1.0
	s_mov_b32 s3, 0
	v_mov_b32_e32 v3, v1
	v_add_co_u32 v9, s8, s14, v2
	s_delay_alu instid0(VALU_DEP_1) | instskip(SKIP_1) | instid1(VALU_DEP_1)
	v_add_co_ci_u32_e64 v10, null, s15, 0, s8
	v_add_co_u32 v11, s8, s10, v2
	v_add_co_ci_u32_e64 v12, null, s11, 0, s8
	s_and_b32 s17, s0, 0xffff
	v_add_co_u32 v13, s0, s12, v2
	v_mad_u64_u32 v[4:5], null, s17, 6, v[2:3]
	v_add_co_ci_u32_e64 v14, null, s13, 0, s0
	s_and_b32 s0, s2, exec_lo
	s_cselect_b32 s9, s7, 0
	s_cselect_b32 s8, s6, 0x10000
	s_lshl_b32 s2, s17, 2
	s_delay_alu instid0(VALU_DEP_2) | instskip(NEXT) | instid1(VALU_DEP_3)
	v_add_co_u32 v15, vcc_lo, s14, v4
	v_add_co_ci_u32_e32 v16, vcc_lo, s15, v5, vcc_lo
	v_add_co_u32 v17, vcc_lo, s10, v4
	v_add_co_u32 v2, s0, s2, v2
	v_add_co_ci_u32_e32 v18, vcc_lo, s11, v5, vcc_lo
	v_add_co_ci_u32_e64 v3, null, 0, 0, s0
	v_add_co_u32 v19, vcc_lo, s12, v4
	v_add_lshl_u32 v4, v0, s17, 1
	v_add_co_ci_u32_e32 v20, vcc_lo, s13, v5, vcc_lo
	v_add_co_u32 v21, vcc_lo, s14, v2
	v_add_co_ci_u32_e32 v22, vcc_lo, s15, v3, vcc_lo
	s_delay_alu instid0(VALU_DEP_4)
	v_add_co_u32 v27, s0, s14, v4
	v_add_co_u32 v23, vcc_lo, s10, v2
	v_add_co_ci_u32_e64 v28, null, s15, 0, s0
	v_add_co_u32 v29, s0, s10, v4
	v_add_co_ci_u32_e32 v24, vcc_lo, s11, v3, vcc_lo
	v_add_co_u32 v25, vcc_lo, s12, v2
	v_add_co_ci_u32_e64 v30, null, s11, 0, s0
	v_add_co_u32 v31, s0, s12, v4
	v_add_co_ci_u32_e32 v26, vcc_lo, s13, v3, vcc_lo
	v_add_co_ci_u32_e64 v32, null, s13, 0, s0
	s_lshl_b32 s18, s17, 1
	s_mul_i32 s12, s17, 3
	s_lshl_b32 s13, s17, 3
	s_mov_b64 s[10:11], s[2:3]
	s_branch .LBB20_25
.LBB20_24:                              ;   in Loop: Header=BB20_25 Depth=1
	s_or_b32 exec_lo, exec_lo, s0
	v_add_co_u32 v9, vcc_lo, v9, s13
	v_add_co_ci_u32_e32 v10, vcc_lo, 0, v10, vcc_lo
	v_add_co_u32 v11, vcc_lo, v11, s13
	v_add_co_ci_u32_e32 v12, vcc_lo, 0, v12, vcc_lo
	;; [unrolled: 2-line block ×11, first 2 shown]
	v_cmp_ge_i64_e64 s0, s[10:11], s[6:7]
	v_cmp_lt_u64_e64 s3, 0xffff, s[10:11]
	v_add_co_u32 v29, vcc_lo, v29, s13
	v_add_co_ci_u32_e32 v30, vcc_lo, 0, v30, vcc_lo
	v_add_co_u32 v31, vcc_lo, v31, s13
	v_add_co_ci_u32_e32 v32, vcc_lo, 0, v32, vcc_lo
	s_or_b32 s0, s0, s3
	s_add_u32 s10, s10, s2
	s_addc_u32 s11, s11, 0
	s_and_b32 vcc_lo, exec_lo, s0
	s_cbranch_vccnz .LBB20_57
.LBB20_25:                              ; =>This Inner Loop Header: Depth=1
	v_cmp_gt_i64_e32 vcc_lo, s[6:7], v[0:1]
	v_cmp_gt_u64_e64 s0, 0x10000, v[0:1]
	v_mov_b32_e32 v34, 0
	v_mov_b32_e32 v40, 0
	s_delay_alu instid0(VALU_DEP_3) | instskip(NEXT) | instid1(SALU_CYCLE_1)
	s_and_b32 s3, vcc_lo, s0
	s_and_saveexec_b32 s0, s3
	s_cbranch_execz .LBB20_27
; %bb.26:                               ;   in Loop: Header=BB20_25 Depth=1
	v_add_co_u32 v2, vcc_lo, v9, s4
	v_add_co_ci_u32_e32 v3, vcc_lo, s5, v10, vcc_lo
	v_add_co_u32 v4, vcc_lo, v11, s4
	v_add_co_ci_u32_e32 v5, vcc_lo, s5, v12, vcc_lo
	global_load_u16 v40, v[2:3], off
	global_load_u16 v34, v[4:5], off
.LBB20_27:                              ;   in Loop: Header=BB20_25 Depth=1
	s_or_b32 exec_lo, exec_lo, s0
	v_add_co_u32 v2, vcc_lo, s17, v0
	v_add_co_ci_u32_e32 v3, vcc_lo, 0, v1, vcc_lo
	v_dual_mov_b32 v33, 0 :: v_dual_mov_b32 v36, 0
	v_mov_b32_e32 v39, 0
	s_delay_alu instid0(VALU_DEP_3) | instskip(SKIP_1) | instid1(VALU_DEP_1)
	v_cmp_gt_i64_e32 vcc_lo, s[6:7], v[2:3]
	v_cmp_gt_u64_e64 s0, 0x10000, v[2:3]
	s_and_b32 s3, vcc_lo, s0
	s_delay_alu instid0(SALU_CYCLE_1)
	s_and_saveexec_b32 s0, s3
	s_cbranch_execz .LBB20_29
; %bb.28:                               ;   in Loop: Header=BB20_25 Depth=1
	v_add_co_u32 v4, vcc_lo, v27, s4
	v_add_co_ci_u32_e32 v5, vcc_lo, s5, v28, vcc_lo
	v_add_co_u32 v6, vcc_lo, v29, s4
	v_add_co_ci_u32_e32 v7, vcc_lo, s5, v30, vcc_lo
	global_load_u16 v39, v[4:5], off
	global_load_u16 v36, v[6:7], off
.LBB20_29:                              ;   in Loop: Header=BB20_25 Depth=1
	s_or_b32 exec_lo, exec_lo, s0
	v_add_co_u32 v4, vcc_lo, s18, v0
	v_add_co_ci_u32_e32 v5, vcc_lo, 0, v1, vcc_lo
	v_mov_b32_e32 v37, 0
	s_delay_alu instid0(VALU_DEP_2) | instskip(SKIP_1) | instid1(VALU_DEP_1)
	v_cmp_gt_i64_e32 vcc_lo, s[6:7], v[4:5]
	v_cmp_gt_u64_e64 s0, 0x10000, v[4:5]
	s_and_b32 s3, vcc_lo, s0
	s_delay_alu instid0(SALU_CYCLE_1)
	s_and_saveexec_b32 s0, s3
	s_cbranch_execz .LBB20_31
; %bb.30:                               ;   in Loop: Header=BB20_25 Depth=1
	v_add_co_u32 v6, vcc_lo, v21, s4
	v_add_co_ci_u32_e32 v7, vcc_lo, s5, v22, vcc_lo
	v_add_co_u32 v41, vcc_lo, v23, s4
	v_add_co_ci_u32_e32 v42, vcc_lo, s5, v24, vcc_lo
	global_load_u16 v37, v[6:7], off
	global_load_u16 v33, v[41:42], off
.LBB20_31:                              ;   in Loop: Header=BB20_25 Depth=1
	s_or_b32 exec_lo, exec_lo, s0
	v_add_co_u32 v6, vcc_lo, s12, v0
	v_add_co_ci_u32_e32 v7, vcc_lo, 0, v1, vcc_lo
	v_dual_mov_b32 v35, 0 :: v_dual_mov_b32 v38, 0
	s_delay_alu instid0(VALU_DEP_2) | instskip(SKIP_1) | instid1(VALU_DEP_1)
	v_cmp_gt_i64_e32 vcc_lo, s[6:7], v[6:7]
	v_cmp_gt_u64_e64 s0, 0x10000, v[6:7]
	s_and_b32 s3, vcc_lo, s0
	s_delay_alu instid0(SALU_CYCLE_1)
	s_and_saveexec_b32 s0, s3
	s_cbranch_execz .LBB20_33
; %bb.32:                               ;   in Loop: Header=BB20_25 Depth=1
	v_add_co_u32 v41, vcc_lo, v15, s4
	v_add_co_ci_u32_e32 v42, vcc_lo, s5, v16, vcc_lo
	v_add_co_u32 v43, vcc_lo, v17, s4
	v_add_co_ci_u32_e32 v44, vcc_lo, s5, v18, vcc_lo
	global_load_u16 v38, v[41:42], off
	global_load_u16 v35, v[43:44], off
.LBB20_33:                              ;   in Loop: Header=BB20_25 Depth=1
	s_or_b32 exec_lo, exec_lo, s0
	s_waitcnt vmcnt(1)
	v_cvt_f32_f16_e32 v40, v40
	s_waitcnt vmcnt(0)
	v_cvt_f32_f16_e32 v41, v34
	s_and_b32 vcc_lo, exec_lo, s1
	s_cbranch_vccz .LBB20_53
; %bb.34:                               ;   in Loop: Header=BB20_25 Depth=1
	s_delay_alu instid0(VALU_DEP_1) | instskip(NEXT) | instid1(VALU_DEP_1)
	v_mul_f32_e32 v34, v8, v41
	v_fma_f32 v34, s16, v34, v40
	s_cbranch_execnz .LBB20_36
.LBB20_35:                              ;   in Loop: Header=BB20_25 Depth=1
	s_delay_alu instid0(VALU_DEP_1) | instskip(NEXT) | instid1(VALU_DEP_1)
	v_fmac_f32_e32 v40, v8, v41
	v_mov_b32_e32 v34, v40
.LBB20_36:                              ;   in Loop: Header=BB20_25 Depth=1
	v_cvt_f32_f16_e32 v39, v39
	v_cvt_f32_f16_e32 v40, v36
	s_and_not1_b32 vcc_lo, exec_lo, s1
	s_cbranch_vccnz .LBB20_54
; %bb.37:                               ;   in Loop: Header=BB20_25 Depth=1
	s_delay_alu instid0(VALU_DEP_1) | instskip(NEXT) | instid1(VALU_DEP_1)
	v_mul_f32_e32 v36, v8, v40
	v_fma_f32 v36, s16, v36, v39
	s_cbranch_execnz .LBB20_39
.LBB20_38:                              ;   in Loop: Header=BB20_25 Depth=1
	s_delay_alu instid0(VALU_DEP_1) | instskip(NEXT) | instid1(VALU_DEP_1)
	v_fmac_f32_e32 v39, v8, v40
	v_mov_b32_e32 v36, v39
.LBB20_39:                              ;   in Loop: Header=BB20_25 Depth=1
	v_cvt_f32_f16_e32 v37, v37
	v_cvt_f32_f16_e32 v39, v33
	s_and_not1_b32 vcc_lo, exec_lo, s1
	s_cbranch_vccnz .LBB20_55
; %bb.40:                               ;   in Loop: Header=BB20_25 Depth=1
	s_delay_alu instid0(VALU_DEP_1) | instskip(NEXT) | instid1(VALU_DEP_1)
	v_mul_f32_e32 v33, v8, v39
	v_fma_f32 v33, s16, v33, v37
	s_cbranch_execnz .LBB20_42
.LBB20_41:                              ;   in Loop: Header=BB20_25 Depth=1
	s_delay_alu instid0(VALU_DEP_1) | instskip(NEXT) | instid1(VALU_DEP_1)
	v_fmac_f32_e32 v37, v8, v39
	v_mov_b32_e32 v33, v37
.LBB20_42:                              ;   in Loop: Header=BB20_25 Depth=1
	v_cvt_f32_f16_e32 v37, v38
	v_cvt_f32_f16_e32 v38, v35
	s_and_not1_b32 vcc_lo, exec_lo, s1
	s_cbranch_vccnz .LBB20_56
; %bb.43:                               ;   in Loop: Header=BB20_25 Depth=1
	s_delay_alu instid0(VALU_DEP_1) | instskip(NEXT) | instid1(VALU_DEP_1)
	v_mul_f32_e32 v35, v8, v38
	v_fma_f32 v35, s16, v35, v37
	s_cbranch_execnz .LBB20_45
.LBB20_44:                              ;   in Loop: Header=BB20_25 Depth=1
	s_delay_alu instid0(VALU_DEP_1) | instskip(NEXT) | instid1(VALU_DEP_1)
	v_fmac_f32_e32 v37, v8, v38
	v_mov_b32_e32 v35, v37
.LBB20_45:                              ;   in Loop: Header=BB20_25 Depth=1
	s_mov_b32 s0, exec_lo
	v_cmpx_gt_u64_e64 s[8:9], v[0:1]
	s_xor_b32 s0, exec_lo, s0
	s_cbranch_execz .LBB20_47
; %bb.46:                               ;   in Loop: Header=BB20_25 Depth=1
	v_add_co_u32 v37, vcc_lo, v13, s4
	v_cvt_f16_f32_e32 v34, v34
	v_add_co_ci_u32_e32 v38, vcc_lo, s5, v14, vcc_lo
	global_store_b16 v[37:38], v34, off
.LBB20_47:                              ;   in Loop: Header=BB20_25 Depth=1
	s_or_b32 exec_lo, exec_lo, s0
	s_delay_alu instid0(SALU_CYCLE_1)
	s_mov_b32 s0, exec_lo
	v_cmpx_gt_u64_e64 s[8:9], v[2:3]
	s_cbranch_execnz .LBB20_50
; %bb.48:                               ;   in Loop: Header=BB20_25 Depth=1
	s_or_b32 exec_lo, exec_lo, s0
	s_delay_alu instid0(SALU_CYCLE_1)
	s_mov_b32 s0, exec_lo
	v_cmpx_gt_u64_e64 s[8:9], v[4:5]
	s_cbranch_execnz .LBB20_51
.LBB20_49:                              ;   in Loop: Header=BB20_25 Depth=1
	s_or_b32 exec_lo, exec_lo, s0
	s_delay_alu instid0(SALU_CYCLE_1)
	s_mov_b32 s0, exec_lo
	v_cmpx_gt_u64_e64 s[8:9], v[6:7]
	s_cbranch_execz .LBB20_24
	s_branch .LBB20_52
.LBB20_50:                              ;   in Loop: Header=BB20_25 Depth=1
	v_add_co_u32 v2, vcc_lo, v31, s4
	v_cvt_f16_f32_e32 v34, v36
	v_add_co_ci_u32_e32 v3, vcc_lo, s5, v32, vcc_lo
	global_store_b16 v[2:3], v34, off
	s_or_b32 exec_lo, exec_lo, s0
	s_delay_alu instid0(SALU_CYCLE_1)
	s_mov_b32 s0, exec_lo
	v_cmpx_gt_u64_e64 s[8:9], v[4:5]
	s_cbranch_execz .LBB20_49
.LBB20_51:                              ;   in Loop: Header=BB20_25 Depth=1
	v_add_co_u32 v2, vcc_lo, v25, s4
	v_cvt_f16_f32_e32 v4, v33
	v_add_co_ci_u32_e32 v3, vcc_lo, s5, v26, vcc_lo
	global_store_b16 v[2:3], v4, off
	s_or_b32 exec_lo, exec_lo, s0
	s_delay_alu instid0(SALU_CYCLE_1)
	s_mov_b32 s0, exec_lo
	v_cmpx_gt_u64_e64 s[8:9], v[6:7]
	s_cbranch_execz .LBB20_24
.LBB20_52:                              ;   in Loop: Header=BB20_25 Depth=1
	v_add_co_u32 v2, vcc_lo, v19, s4
	v_cvt_f16_f32_e32 v4, v35
	v_add_co_ci_u32_e32 v3, vcc_lo, s5, v20, vcc_lo
	global_store_b16 v[2:3], v4, off
	s_branch .LBB20_24
.LBB20_53:                              ;   in Loop: Header=BB20_25 Depth=1
                                        ; implicit-def: $vgpr34
	s_branch .LBB20_35
.LBB20_54:                              ;   in Loop: Header=BB20_25 Depth=1
                                        ; implicit-def: $vgpr36
	s_branch .LBB20_38
.LBB20_55:                              ;   in Loop: Header=BB20_25 Depth=1
                                        ; implicit-def: $vgpr33
	s_branch .LBB20_41
.LBB20_56:                              ;   in Loop: Header=BB20_25 Depth=1
                                        ; implicit-def: $vgpr35
	s_branch .LBB20_44
.LBB20_57:
	s_nop 0
	s_sendmsg sendmsg(MSG_DEALLOC_VGPRS)
	s_endpgm
	.section	.rodata,"a",@progbits
	.p2align	6, 0x0
	.amdhsa_kernel _ZN2at6native12_GLOBAL__N_125multi_tensor_apply_kernelINS1_18TensorListMetadataILi4EEENS1_32PointwiseOpScalar0dTensorFunctorIN3c104HalfELi4ELi2ELi3EEEJSt10multipliesIfEfEEEvT_T0_DpT1_
		.amdhsa_group_segment_fixed_size 0
		.amdhsa_private_segment_fixed_size 0
		.amdhsa_kernarg_size 3312
		.amdhsa_user_sgpr_count 15
		.amdhsa_user_sgpr_dispatch_ptr 0
		.amdhsa_user_sgpr_queue_ptr 0
		.amdhsa_user_sgpr_kernarg_segment_ptr 1
		.amdhsa_user_sgpr_dispatch_id 0
		.amdhsa_user_sgpr_private_segment_size 0
		.amdhsa_wavefront_size32 1
		.amdhsa_uses_dynamic_stack 0
		.amdhsa_enable_private_segment 0
		.amdhsa_system_sgpr_workgroup_id_x 1
		.amdhsa_system_sgpr_workgroup_id_y 0
		.amdhsa_system_sgpr_workgroup_id_z 0
		.amdhsa_system_sgpr_workgroup_info 0
		.amdhsa_system_vgpr_workitem_id 0
		.amdhsa_next_free_vgpr 45
		.amdhsa_next_free_sgpr 26
		.amdhsa_reserve_vcc 1
		.amdhsa_float_round_mode_32 0
		.amdhsa_float_round_mode_16_64 0
		.amdhsa_float_denorm_mode_32 3
		.amdhsa_float_denorm_mode_16_64 3
		.amdhsa_dx10_clamp 1
		.amdhsa_ieee_mode 1
		.amdhsa_fp16_overflow 0
		.amdhsa_workgroup_processor_mode 1
		.amdhsa_memory_ordered 1
		.amdhsa_forward_progress 0
		.amdhsa_shared_vgpr_count 0
		.amdhsa_exception_fp_ieee_invalid_op 0
		.amdhsa_exception_fp_denorm_src 0
		.amdhsa_exception_fp_ieee_div_zero 0
		.amdhsa_exception_fp_ieee_overflow 0
		.amdhsa_exception_fp_ieee_underflow 0
		.amdhsa_exception_fp_ieee_inexact 0
		.amdhsa_exception_int_div_zero 0
	.end_amdhsa_kernel
	.section	.text._ZN2at6native12_GLOBAL__N_125multi_tensor_apply_kernelINS1_18TensorListMetadataILi4EEENS1_32PointwiseOpScalar0dTensorFunctorIN3c104HalfELi4ELi2ELi3EEEJSt10multipliesIfEfEEEvT_T0_DpT1_,"axG",@progbits,_ZN2at6native12_GLOBAL__N_125multi_tensor_apply_kernelINS1_18TensorListMetadataILi4EEENS1_32PointwiseOpScalar0dTensorFunctorIN3c104HalfELi4ELi2ELi3EEEJSt10multipliesIfEfEEEvT_T0_DpT1_,comdat
.Lfunc_end20:
	.size	_ZN2at6native12_GLOBAL__N_125multi_tensor_apply_kernelINS1_18TensorListMetadataILi4EEENS1_32PointwiseOpScalar0dTensorFunctorIN3c104HalfELi4ELi2ELi3EEEJSt10multipliesIfEfEEEvT_T0_DpT1_, .Lfunc_end20-_ZN2at6native12_GLOBAL__N_125multi_tensor_apply_kernelINS1_18TensorListMetadataILi4EEENS1_32PointwiseOpScalar0dTensorFunctorIN3c104HalfELi4ELi2ELi3EEEJSt10multipliesIfEfEEEvT_T0_DpT1_
                                        ; -- End function
	.section	.AMDGPU.csdata,"",@progbits
; Kernel info:
; codeLenInByte = 2204
; NumSgprs: 28
; NumVgprs: 45
; ScratchSize: 0
; MemoryBound: 0
; FloatMode: 240
; IeeeMode: 1
; LDSByteSize: 0 bytes/workgroup (compile time only)
; SGPRBlocks: 3
; VGPRBlocks: 5
; NumSGPRsForWavesPerEU: 28
; NumVGPRsForWavesPerEU: 45
; Occupancy: 16
; WaveLimiterHint : 0
; COMPUTE_PGM_RSRC2:SCRATCH_EN: 0
; COMPUTE_PGM_RSRC2:USER_SGPR: 15
; COMPUTE_PGM_RSRC2:TRAP_HANDLER: 0
; COMPUTE_PGM_RSRC2:TGID_X_EN: 1
; COMPUTE_PGM_RSRC2:TGID_Y_EN: 0
; COMPUTE_PGM_RSRC2:TGID_Z_EN: 0
; COMPUTE_PGM_RSRC2:TIDIG_COMP_CNT: 0
	.section	.text._ZN2at6native12_GLOBAL__N_125multi_tensor_apply_kernelINS1_18TensorListMetadataILi4EEENS1_32PointwiseOpScalar0dTensorFunctorIN3c108BFloat16ELi4ELi2ELi3EEEJSt10multipliesIfEfEEEvT_T0_DpT1_,"axG",@progbits,_ZN2at6native12_GLOBAL__N_125multi_tensor_apply_kernelINS1_18TensorListMetadataILi4EEENS1_32PointwiseOpScalar0dTensorFunctorIN3c108BFloat16ELi4ELi2ELi3EEEJSt10multipliesIfEfEEEvT_T0_DpT1_,comdat
	.globl	_ZN2at6native12_GLOBAL__N_125multi_tensor_apply_kernelINS1_18TensorListMetadataILi4EEENS1_32PointwiseOpScalar0dTensorFunctorIN3c108BFloat16ELi4ELi2ELi3EEEJSt10multipliesIfEfEEEvT_T0_DpT1_ ; -- Begin function _ZN2at6native12_GLOBAL__N_125multi_tensor_apply_kernelINS1_18TensorListMetadataILi4EEENS1_32PointwiseOpScalar0dTensorFunctorIN3c108BFloat16ELi4ELi2ELi3EEEJSt10multipliesIfEfEEEvT_T0_DpT1_
	.p2align	8
	.type	_ZN2at6native12_GLOBAL__N_125multi_tensor_apply_kernelINS1_18TensorListMetadataILi4EEENS1_32PointwiseOpScalar0dTensorFunctorIN3c108BFloat16ELi4ELi2ELi3EEEJSt10multipliesIfEfEEEvT_T0_DpT1_,@function
_ZN2at6native12_GLOBAL__N_125multi_tensor_apply_kernelINS1_18TensorListMetadataILi4EEENS1_32PointwiseOpScalar0dTensorFunctorIN3c108BFloat16ELi4ELi2ELi3EEEJSt10multipliesIfEfEEEvT_T0_DpT1_: ; @_ZN2at6native12_GLOBAL__N_125multi_tensor_apply_kernelINS1_18TensorListMetadataILi4EEENS1_32PointwiseOpScalar0dTensorFunctorIN3c108BFloat16ELi4ELi2ELi3EEEJSt10multipliesIfEfEEEvT_T0_DpT1_
; %bb.0:
	v_dual_mov_b32 v1, s15 :: v_dual_mov_b32 v2, 0
	s_add_u32 s2, s0, s15
	s_mul_i32 s4, s15, 3
	s_addc_u32 s3, s1, 0
	global_load_u8 v1, v1, s[0:1] offset:1440
	s_load_b32 s16, s[0:1], 0xbec
	s_mul_hi_u32 s5, s15, 3
	s_add_u32 s2, s2, s4
	s_addc_u32 s3, s3, s5
	s_mov_b32 s19, 0
	s_load_b32 s2, s[2:3], 0x6e0
	s_waitcnt vmcnt(0)
	v_readfirstlane_b32 s3, v1
	s_delay_alu instid0(VALU_DEP_1)
	s_lshl_b32 s8, s3, 3
	s_waitcnt lgkmcnt(0)
	s_ashr_i32 s3, s2, 31
	s_clause 0x4
	s_load_b64 s[6:7], s[0:1], s8 offset:0x120
	s_load_b64 s[12:13], s[0:1], s8 offset:0x240
	;; [unrolled: 1-line block ×5, first 2 shown]
	s_lshl_b64 s[4:5], s[2:3], 17
	s_waitcnt lgkmcnt(0)
	global_load_u16 v1, v2, s[6:7]
	s_add_u32 s6, s6, s4
	s_mov_b32 s7, s19
	s_and_b32 s6, s6, 7
	s_and_b32 s18, s14, 7
	s_cmp_lg_u64 s[6:7], 0
	s_cselect_b32 s6, -1, 0
	s_add_u32 s7, s12, s4
	s_delay_alu instid0(SALU_CYCLE_1) | instskip(NEXT) | instid1(SALU_CYCLE_1)
	s_or_b32 s7, s10, s7
	s_and_b32 s7, s7, 7
	s_delay_alu instid0(SALU_CYCLE_1)
	s_cmp_lg_u32 s7, 0
	s_cselect_b32 s7, -1, 0
	s_lshl_b64 s[2:3], s[2:3], 16
	s_or_b32 s17, s7, s6
	s_sub_u32 s6, s8, s2
	s_subb_u32 s7, s9, s3
	s_and_b32 s2, s8, 3
	s_mov_b32 s3, s19
	s_delay_alu instid0(SALU_CYCLE_1) | instskip(NEXT) | instid1(SALU_CYCLE_1)
	s_or_b64 s[2:3], s[18:19], s[2:3]
	s_cmp_lg_u64 s[2:3], 0
	s_cselect_b32 s2, -1, 0
	s_delay_alu instid0(SALU_CYCLE_1) | instskip(NEXT) | instid1(SALU_CYCLE_1)
	s_or_b32 s2, s17, s2
	s_and_not1_b32 vcc_lo, exec_lo, s2
	s_mov_b32 s2, -1
	s_waitcnt vmcnt(0)
	v_lshlrev_b32_e32 v12, 16, v1
	s_cbranch_vccz .LBB21_21
; %bb.1:
	v_lshlrev_b32_e32 v1, 2, v0
	s_mov_b32 s8, exec_lo
	s_delay_alu instid0(VALU_DEP_1)
	v_cmpx_gt_i64_e64 s[6:7], v[1:2]
	s_cbranch_execz .LBB21_20
; %bb.2:
	s_load_b32 s2, s[0:1], 0xbfc
	v_dual_mov_b32 v2, 0 :: v_dual_lshlrev_b32 v1, 3, v0
	v_cmp_neq_f32_e64 s9, s16, 1.0
	s_mov_b32 s17, 0
	s_delay_alu instid0(VALU_DEP_2) | instskip(NEXT) | instid1(VALU_DEP_1)
	v_add_co_u32 v7, s3, s4, v1
	v_add_co_ci_u32_e64 v8, null, s5, 0, s3
	s_waitcnt lgkmcnt(0)
	s_and_b32 s2, s2, 0xffff
	s_delay_alu instid0(SALU_CYCLE_1)
	v_add_lshl_u32 v1, v0, s2, 2
	s_lshl_b32 s18, s2, 3
	s_lshl_b32 s19, s2, 2
	s_branch .LBB21_4
.LBB21_3:                               ;   in Loop: Header=BB21_4 Depth=1
	v_bfe_u32 v5, v9, 16, 1
	v_bfe_u32 v6, v10, 16, 1
	;; [unrolled: 1-line block ×3, first 2 shown]
	v_cmp_o_f32_e32 vcc_lo, v9, v9
	v_bfe_u32 v13, v4, 16, 1
	v_add3_u32 v5, v9, v5, 0x7fff
	v_add3_u32 v6, v10, v6, 0x7fff
	;; [unrolled: 1-line block ×3, first 2 shown]
	v_cmp_lt_u64_e64 s2, 0xffff, v[1:2]
	v_add3_u32 v13, v4, v13, 0x7fff
	v_lshrrev_b32_e32 v5, 16, v5
	v_and_b32_e32 v6, 0xffff0000, v6
	v_lshrrev_b32_e32 v11, 16, v11
	s_delay_alu instid0(VALU_DEP_4) | instskip(NEXT) | instid1(VALU_DEP_4)
	v_and_b32_e32 v13, 0xffff0000, v13
	v_cndmask_b32_e32 v5, 0x7fc0, v5, vcc_lo
	v_cmp_o_f32_e32 vcc_lo, v10, v10
	v_cndmask_b32_e32 v6, 0x7fc00000, v6, vcc_lo
	v_cmp_o_f32_e32 vcc_lo, v3, v3
	s_delay_alu instid0(VALU_DEP_2) | instskip(SKIP_4) | instid1(VALU_DEP_2)
	v_or_b32_e32 v5, v6, v5
	v_cndmask_b32_e32 v3, 0x7fc0, v11, vcc_lo
	v_cmp_o_f32_e32 vcc_lo, v4, v4
	v_cndmask_b32_e32 v4, 0x7fc00000, v13, vcc_lo
	v_cmp_le_i64_e32 vcc_lo, s[6:7], v[1:2]
	v_or3_b32 v4, 0, v3, v4
	v_or3_b32 v3, v5, 0, 0
	v_add_co_u32 v5, s3, s10, v7
	s_or_b32 s2, vcc_lo, s2
	v_add_co_u32 v7, vcc_lo, v7, s18
	v_add_co_ci_u32_e64 v6, s3, s11, v8, s3
	v_add_co_ci_u32_e32 v8, vcc_lo, 0, v8, vcc_lo
	v_add_co_u32 v1, vcc_lo, v1, s19
	v_add_co_ci_u32_e32 v2, vcc_lo, 0, v2, vcc_lo
	s_and_b32 s2, exec_lo, s2
	global_store_b64 v[5:6], v[3:4], off
	s_or_b32 s17, s2, s17
	s_delay_alu instid0(SALU_CYCLE_1)
	s_and_not1_b32 exec_lo, exec_lo, s17
	s_cbranch_execz .LBB21_20
.LBB21_4:                               ; =>This Inner Loop Header: Depth=1
	v_add_co_u32 v3, vcc_lo, s14, v7
	v_add_co_ci_u32_e32 v4, vcc_lo, s15, v8, vcc_lo
	v_add_co_u32 v5, vcc_lo, s12, v7
	v_add_co_ci_u32_e32 v6, vcc_lo, s13, v8, vcc_lo
	s_and_b32 vcc_lo, exec_lo, s9
	global_load_b64 v[3:4], v[3:4], off
	global_load_b64 v[5:6], v[5:6], off
	s_waitcnt vmcnt(1)
	v_lshlrev_b32_e32 v10, 16, v3
	s_waitcnt vmcnt(0)
	v_lshlrev_b32_e32 v11, 16, v5
	s_cbranch_vccz .LBB21_15
; %bb.5:                                ;   in Loop: Header=BB21_4 Depth=1
	s_delay_alu instid0(VALU_DEP_1) | instskip(NEXT) | instid1(VALU_DEP_1)
	v_mul_f32_e32 v9, v12, v11
	v_fma_f32 v9, s16, v9, v10
	s_cbranch_execnz .LBB21_7
.LBB21_6:                               ;   in Loop: Header=BB21_4 Depth=1
	s_delay_alu instid0(VALU_DEP_1) | instskip(NEXT) | instid1(VALU_DEP_1)
	v_fmac_f32_e32 v10, v12, v11
	v_mov_b32_e32 v9, v10
.LBB21_7:                               ;   in Loop: Header=BB21_4 Depth=1
	v_and_b32_e32 v11, 0xffff0000, v3
	v_and_b32_e32 v13, 0xffff0000, v5
	s_and_not1_b32 vcc_lo, exec_lo, s9
	s_cbranch_vccnz .LBB21_16
; %bb.8:                                ;   in Loop: Header=BB21_4 Depth=1
	s_delay_alu instid0(VALU_DEP_1) | instskip(NEXT) | instid1(VALU_DEP_1)
	v_mul_f32_e32 v10, v12, v13
	v_fma_f32 v10, s16, v10, v11
	s_cbranch_execnz .LBB21_10
.LBB21_9:                               ;   in Loop: Header=BB21_4 Depth=1
	s_delay_alu instid0(VALU_DEP_1) | instskip(NEXT) | instid1(VALU_DEP_1)
	v_fmac_f32_e32 v11, v12, v13
	v_mov_b32_e32 v10, v11
.LBB21_10:                              ;   in Loop: Header=BB21_4 Depth=1
	v_alignbit_b32 v3, v4, v3, 16
	v_alignbit_b32 v11, v6, v5, 16
	s_and_not1_b32 vcc_lo, exec_lo, s9
	s_delay_alu instid0(VALU_DEP_2) | instskip(NEXT) | instid1(VALU_DEP_2)
	v_and_b32_e32 v5, 0xffff0000, v3
	v_and_b32_e32 v11, 0xffff0000, v11
	s_cbranch_vccnz .LBB21_17
; %bb.11:                               ;   in Loop: Header=BB21_4 Depth=1
	s_delay_alu instid0(VALU_DEP_1) | instskip(NEXT) | instid1(VALU_DEP_1)
	v_mul_f32_e32 v3, v12, v11
	v_fma_f32 v3, s16, v3, v5
	s_cbranch_execnz .LBB21_13
.LBB21_12:                              ;   in Loop: Header=BB21_4 Depth=1
	s_delay_alu instid0(VALU_DEP_1) | instskip(NEXT) | instid1(VALU_DEP_1)
	v_fmac_f32_e32 v5, v12, v11
	v_mov_b32_e32 v3, v5
.LBB21_13:                              ;   in Loop: Header=BB21_4 Depth=1
	v_and_b32_e32 v5, 0xffff0000, v4
	v_and_b32_e32 v6, 0xffff0000, v6
	s_and_not1_b32 vcc_lo, exec_lo, s9
	s_cbranch_vccnz .LBB21_18
; %bb.14:                               ;   in Loop: Header=BB21_4 Depth=1
	s_delay_alu instid0(VALU_DEP_1) | instskip(NEXT) | instid1(VALU_DEP_1)
	v_mul_f32_e32 v4, v12, v6
	v_fma_f32 v4, s16, v4, v5
	s_cbranch_execnz .LBB21_3
	s_branch .LBB21_19
.LBB21_15:                              ;   in Loop: Header=BB21_4 Depth=1
                                        ; implicit-def: $vgpr9
	s_branch .LBB21_6
.LBB21_16:                              ;   in Loop: Header=BB21_4 Depth=1
                                        ; implicit-def: $vgpr10
	s_branch .LBB21_9
.LBB21_17:                              ;   in Loop: Header=BB21_4 Depth=1
                                        ; implicit-def: $vgpr3
	s_branch .LBB21_12
.LBB21_18:                              ;   in Loop: Header=BB21_4 Depth=1
                                        ; implicit-def: $vgpr4
.LBB21_19:                              ;   in Loop: Header=BB21_4 Depth=1
	s_delay_alu instid0(VALU_DEP_1) | instskip(NEXT) | instid1(VALU_DEP_1)
	v_fmac_f32_e32 v5, v12, v6
	v_mov_b32_e32 v4, v5
	s_branch .LBB21_3
.LBB21_20:
	s_or_b32 exec_lo, exec_lo, s8
	s_mov_b32 s2, 0
.LBB21_21:
	s_delay_alu instid0(SALU_CYCLE_1)
	s_and_not1_b32 vcc_lo, exec_lo, s2
	s_cbranch_vccnz .LBB21_57
; %bb.22:
	v_cmp_lt_i64_e64 s2, s[6:7], 1
	s_delay_alu instid0(VALU_DEP_1)
	s_and_b32 vcc_lo, exec_lo, s2
	s_cbranch_vccnz .LBB21_57
; %bb.23:
	s_load_b32 s0, s[0:1], 0xbfc
	v_dual_mov_b32 v1, 0 :: v_dual_lshlrev_b32 v2, 1, v0
	v_cmp_gt_u64_e64 s2, 0x10000, s[6:7]
	v_cmp_neq_f32_e64 s1, s16, 1.0
	s_mov_b32 s3, 0
	s_delay_alu instid0(VALU_DEP_3) | instskip(SKIP_1) | instid1(VALU_DEP_1)
	v_mov_b32_e32 v3, v1
	v_add_co_u32 v13, s8, s14, v2
	v_add_co_ci_u32_e64 v14, null, s15, 0, s8
	v_add_co_u32 v15, s8, s12, v2
	s_delay_alu instid0(VALU_DEP_1)
	v_add_co_ci_u32_e64 v16, null, s13, 0, s8
	s_waitcnt lgkmcnt(0)
	s_and_b32 s17, s0, 0xffff
	v_add_co_u32 v17, s0, s10, v2
	v_mad_u64_u32 v[4:5], null, s17, 6, v[2:3]
	v_add_co_ci_u32_e64 v18, null, s11, 0, s0
	s_and_b32 s0, s2, exec_lo
	s_cselect_b32 s9, s7, 0
	s_cselect_b32 s8, s6, 0x10000
	s_lshl_b32 s2, s17, 2
	s_delay_alu instid0(VALU_DEP_2) | instskip(NEXT) | instid1(VALU_DEP_3)
	v_add_co_u32 v19, vcc_lo, s14, v4
	v_add_co_ci_u32_e32 v20, vcc_lo, s15, v5, vcc_lo
	v_add_co_u32 v21, vcc_lo, s12, v4
	v_add_co_u32 v2, s0, s2, v2
	v_add_co_ci_u32_e32 v22, vcc_lo, s13, v5, vcc_lo
	v_add_co_ci_u32_e64 v3, null, 0, 0, s0
	v_add_co_u32 v23, vcc_lo, s10, v4
	v_add_lshl_u32 v4, v0, s17, 1
	v_add_co_ci_u32_e32 v24, vcc_lo, s11, v5, vcc_lo
	v_add_co_u32 v25, vcc_lo, s14, v2
	v_add_co_ci_u32_e32 v26, vcc_lo, s15, v3, vcc_lo
	s_delay_alu instid0(VALU_DEP_4)
	v_add_co_u32 v31, s0, s14, v4
	v_add_co_u32 v27, vcc_lo, s12, v2
	v_add_co_ci_u32_e64 v32, null, s15, 0, s0
	v_add_co_u32 v33, s0, s12, v4
	v_add_co_ci_u32_e32 v28, vcc_lo, s13, v3, vcc_lo
	v_add_co_u32 v29, vcc_lo, s10, v2
	v_add_co_ci_u32_e64 v34, null, s13, 0, s0
	v_add_co_u32 v35, s0, s10, v4
	v_add_co_ci_u32_e32 v30, vcc_lo, s11, v3, vcc_lo
	v_add_co_ci_u32_e64 v36, null, s11, 0, s0
	s_lshl_b32 s18, s17, 1
	s_mul_i32 s12, s17, 3
	s_lshl_b32 s13, s17, 3
	s_mov_b64 s[10:11], s[2:3]
	s_branch .LBB21_25
.LBB21_24:                              ;   in Loop: Header=BB21_25 Depth=1
	s_or_b32 exec_lo, exec_lo, s0
	v_add_co_u32 v13, vcc_lo, v13, s13
	v_add_co_ci_u32_e32 v14, vcc_lo, 0, v14, vcc_lo
	v_add_co_u32 v15, vcc_lo, v15, s13
	v_add_co_ci_u32_e32 v16, vcc_lo, 0, v16, vcc_lo
	;; [unrolled: 2-line block ×11, first 2 shown]
	v_cmp_ge_i64_e64 s0, s[10:11], s[6:7]
	v_cmp_lt_u64_e64 s14, 0xffff, s[10:11]
	v_add_co_u32 v33, vcc_lo, v33, s13
	v_add_co_ci_u32_e32 v34, vcc_lo, 0, v34, vcc_lo
	v_add_co_u32 v35, vcc_lo, v35, s13
	v_add_co_ci_u32_e32 v36, vcc_lo, 0, v36, vcc_lo
	s_or_b32 s0, s0, s14
	s_add_u32 s10, s10, s2
	s_addc_u32 s11, s11, 0
	s_and_b32 vcc_lo, exec_lo, s0
	s_cbranch_vccnz .LBB21_57
.LBB21_25:                              ; =>This Inner Loop Header: Depth=1
	v_mov_b32_e32 v6, 0
	v_mov_b32_e32 v7, 0
	v_cmp_gt_i64_e32 vcc_lo, s[6:7], v[0:1]
	v_cmp_gt_u64_e64 s0, 0x10000, v[0:1]
	s_delay_alu instid0(VALU_DEP_3) | instskip(NEXT) | instid1(VALU_DEP_2)
	v_dual_mov_b32 v9, v7 :: v_dual_mov_b32 v8, v6
	s_and_b32 s14, vcc_lo, s0
	s_delay_alu instid0(SALU_CYCLE_1)
	s_and_saveexec_b32 s0, s14
	s_cbranch_execz .LBB21_27
; %bb.26:                               ;   in Loop: Header=BB21_25 Depth=1
	v_add_co_u32 v2, vcc_lo, v13, s4
	v_add_co_ci_u32_e32 v3, vcc_lo, s5, v14, vcc_lo
	v_add_co_u32 v4, vcc_lo, v15, s4
	v_add_co_ci_u32_e32 v5, vcc_lo, s5, v16, vcc_lo
	global_load_u16 v2, v[2:3], off
	global_load_u16 v3, v[4:5], off
	v_mov_b32_e32 v9, s3
	s_waitcnt vmcnt(1)
	v_dual_mov_b32 v7, s3 :: v_dual_and_b32 v8, 0xffff, v2
	s_waitcnt vmcnt(0)
	v_and_b32_e32 v6, 0xffff, v3
.LBB21_27:                              ;   in Loop: Header=BB21_25 Depth=1
	s_or_b32 exec_lo, exec_lo, s0
	v_add_co_u32 v2, vcc_lo, s17, v0
	v_add_co_ci_u32_e32 v3, vcc_lo, 0, v1, vcc_lo
	s_delay_alu instid0(VALU_DEP_1) | instskip(SKIP_1) | instid1(VALU_DEP_1)
	v_cmp_gt_i64_e32 vcc_lo, s[6:7], v[2:3]
	v_cmp_gt_u64_e64 s0, 0x10000, v[2:3]
	s_and_b32 s14, vcc_lo, s0
	s_delay_alu instid0(SALU_CYCLE_1)
	s_and_saveexec_b32 s0, s14
	s_cbranch_execz .LBB21_29
; %bb.28:                               ;   in Loop: Header=BB21_25 Depth=1
	v_add_co_u32 v4, vcc_lo, v31, s4
	v_add_co_ci_u32_e32 v5, vcc_lo, s5, v32, vcc_lo
	v_add_co_u32 v10, vcc_lo, v33, s4
	v_add_co_ci_u32_e32 v11, vcc_lo, s5, v34, vcc_lo
	global_load_u16 v4, v[4:5], off
	global_load_u16 v5, v[10:11], off
	s_waitcnt vmcnt(1)
	v_lshl_or_b32 v8, v4, 16, v8
	s_waitcnt vmcnt(0)
	v_lshl_or_b32 v6, v5, 16, v6
.LBB21_29:                              ;   in Loop: Header=BB21_25 Depth=1
	s_or_b32 exec_lo, exec_lo, s0
	v_add_co_u32 v4, vcc_lo, s18, v0
	v_add_co_ci_u32_e32 v5, vcc_lo, 0, v1, vcc_lo
	s_delay_alu instid0(VALU_DEP_1) | instskip(SKIP_1) | instid1(VALU_DEP_1)
	v_cmp_gt_i64_e32 vcc_lo, s[6:7], v[4:5]
	v_cmp_gt_u64_e64 s0, 0x10000, v[4:5]
	s_and_b32 s14, vcc_lo, s0
	s_delay_alu instid0(SALU_CYCLE_1)
	s_and_saveexec_b32 s0, s14
	s_cbranch_execz .LBB21_31
; %bb.30:                               ;   in Loop: Header=BB21_25 Depth=1
	v_add_co_u32 v10, vcc_lo, v25, s4
	v_add_co_ci_u32_e32 v11, vcc_lo, s5, v26, vcc_lo
	v_add_co_u32 v37, vcc_lo, v27, s4
	v_add_co_ci_u32_e32 v38, vcc_lo, s5, v28, vcc_lo
	global_load_u16 v10, v[10:11], off
	global_load_u16 v11, v[37:38], off
	s_waitcnt vmcnt(1)
	v_or_b32_e32 v9, v10, v9
	s_waitcnt vmcnt(0)
	v_or_b32_e32 v7, v11, v7
.LBB21_31:                              ;   in Loop: Header=BB21_25 Depth=1
	s_or_b32 exec_lo, exec_lo, s0
	v_add_co_u32 v10, vcc_lo, s12, v0
	v_add_co_ci_u32_e32 v11, vcc_lo, 0, v1, vcc_lo
	s_delay_alu instid0(VALU_DEP_1) | instskip(SKIP_1) | instid1(VALU_DEP_1)
	v_cmp_gt_i64_e32 vcc_lo, s[6:7], v[10:11]
	v_cmp_gt_u64_e64 s0, 0x10000, v[10:11]
	s_and_b32 s14, vcc_lo, s0
	s_delay_alu instid0(SALU_CYCLE_1)
	s_and_saveexec_b32 s0, s14
	s_cbranch_execz .LBB21_33
; %bb.32:                               ;   in Loop: Header=BB21_25 Depth=1
	v_add_co_u32 v37, vcc_lo, v21, s4
	v_add_co_ci_u32_e32 v38, vcc_lo, s5, v22, vcc_lo
	v_add_co_u32 v39, vcc_lo, v19, s4
	v_add_co_ci_u32_e32 v40, vcc_lo, s5, v20, vcc_lo
	v_dual_mov_b32 v41, 0 :: v_dual_mov_b32 v42, 0
	global_load_d16_hi_b16 v41, v[39:40], off
	global_load_d16_hi_b16 v42, v[37:38], off
	s_waitcnt vmcnt(1)
	v_or_b32_e32 v9, v41, v9
	s_waitcnt vmcnt(0)
	v_or_b32_e32 v7, v42, v7
.LBB21_33:                              ;   in Loop: Header=BB21_25 Depth=1
	s_or_b32 exec_lo, exec_lo, s0
	v_lshlrev_b32_e32 v38, 16, v8
	v_lshlrev_b32_e32 v39, 16, v6
	s_and_b32 vcc_lo, exec_lo, s1
	s_cbranch_vccz .LBB21_53
; %bb.34:                               ;   in Loop: Header=BB21_25 Depth=1
	s_delay_alu instid0(VALU_DEP_1) | instskip(NEXT) | instid1(VALU_DEP_1)
	v_mul_f32_e32 v37, v12, v39
	v_fma_f32 v37, s16, v37, v38
	s_cbranch_execnz .LBB21_36
.LBB21_35:                              ;   in Loop: Header=BB21_25 Depth=1
	s_delay_alu instid0(VALU_DEP_1) | instskip(NEXT) | instid1(VALU_DEP_1)
	v_fmac_f32_e32 v38, v12, v39
	v_mov_b32_e32 v37, v38
.LBB21_36:                              ;   in Loop: Header=BB21_25 Depth=1
	v_and_b32_e32 v39, 0xffff0000, v8
	v_and_b32_e32 v40, 0xffff0000, v6
	s_and_not1_b32 vcc_lo, exec_lo, s1
	s_cbranch_vccnz .LBB21_54
; %bb.37:                               ;   in Loop: Header=BB21_25 Depth=1
	s_delay_alu instid0(VALU_DEP_1) | instskip(NEXT) | instid1(VALU_DEP_1)
	v_mul_f32_e32 v38, v12, v40
	v_fma_f32 v38, s16, v38, v39
	s_cbranch_execnz .LBB21_39
.LBB21_38:                              ;   in Loop: Header=BB21_25 Depth=1
	s_delay_alu instid0(VALU_DEP_1) | instskip(NEXT) | instid1(VALU_DEP_1)
	v_fmac_f32_e32 v39, v12, v40
	v_mov_b32_e32 v38, v39
.LBB21_39:                              ;   in Loop: Header=BB21_25 Depth=1
	v_alignbit_b32 v8, v9, v8, 16
	v_alignbit_b32 v6, v7, v6, 16
	s_and_not1_b32 vcc_lo, exec_lo, s1
	s_delay_alu instid0(VALU_DEP_2) | instskip(NEXT) | instid1(VALU_DEP_2)
	v_and_b32_e32 v8, 0xffff0000, v8
	v_and_b32_e32 v39, 0xffff0000, v6
	s_cbranch_vccnz .LBB21_55
; %bb.40:                               ;   in Loop: Header=BB21_25 Depth=1
	s_delay_alu instid0(VALU_DEP_1) | instskip(NEXT) | instid1(VALU_DEP_1)
	v_mul_f32_e32 v6, v12, v39
	v_fma_f32 v6, s16, v6, v8
	s_cbranch_execnz .LBB21_42
.LBB21_41:                              ;   in Loop: Header=BB21_25 Depth=1
	s_delay_alu instid0(VALU_DEP_1) | instskip(NEXT) | instid1(VALU_DEP_1)
	v_fmac_f32_e32 v8, v12, v39
	v_mov_b32_e32 v6, v8
.LBB21_42:                              ;   in Loop: Header=BB21_25 Depth=1
	v_and_b32_e32 v8, 0xffff0000, v9
	v_and_b32_e32 v9, 0xffff0000, v7
	s_and_not1_b32 vcc_lo, exec_lo, s1
	s_cbranch_vccnz .LBB21_56
; %bb.43:                               ;   in Loop: Header=BB21_25 Depth=1
	s_delay_alu instid0(VALU_DEP_1) | instskip(NEXT) | instid1(VALU_DEP_1)
	v_mul_f32_e32 v7, v12, v9
	v_fma_f32 v7, s16, v7, v8
	s_cbranch_execnz .LBB21_45
.LBB21_44:                              ;   in Loop: Header=BB21_25 Depth=1
	s_delay_alu instid0(VALU_DEP_1) | instskip(NEXT) | instid1(VALU_DEP_1)
	v_fmac_f32_e32 v8, v12, v9
	v_mov_b32_e32 v7, v8
.LBB21_45:                              ;   in Loop: Header=BB21_25 Depth=1
	s_mov_b32 s0, exec_lo
	v_cmpx_gt_u64_e64 s[8:9], v[0:1]
	s_xor_b32 s0, exec_lo, s0
	s_cbranch_execz .LBB21_47
; %bb.46:                               ;   in Loop: Header=BB21_25 Depth=1
	v_bfe_u32 v8, v37, 16, 1
	v_cmp_o_f32_e32 vcc_lo, v37, v37
	s_delay_alu instid0(VALU_DEP_2) | instskip(NEXT) | instid1(VALU_DEP_1)
	v_add3_u32 v8, v37, v8, 0x7fff
	v_lshrrev_b32_e32 v8, 16, v8
	s_delay_alu instid0(VALU_DEP_1)
	v_cndmask_b32_e32 v37, 0x7fc0, v8, vcc_lo
	v_add_co_u32 v8, vcc_lo, v17, s4
	v_add_co_ci_u32_e32 v9, vcc_lo, s5, v18, vcc_lo
	global_store_b16 v[8:9], v37, off
.LBB21_47:                              ;   in Loop: Header=BB21_25 Depth=1
	s_or_b32 exec_lo, exec_lo, s0
	s_delay_alu instid0(SALU_CYCLE_1)
	s_mov_b32 s0, exec_lo
	v_cmpx_gt_u64_e64 s[8:9], v[2:3]
	s_cbranch_execnz .LBB21_50
; %bb.48:                               ;   in Loop: Header=BB21_25 Depth=1
	s_or_b32 exec_lo, exec_lo, s0
	s_delay_alu instid0(SALU_CYCLE_1)
	s_mov_b32 s0, exec_lo
	v_cmpx_gt_u64_e64 s[8:9], v[4:5]
	s_cbranch_execnz .LBB21_51
.LBB21_49:                              ;   in Loop: Header=BB21_25 Depth=1
	s_or_b32 exec_lo, exec_lo, s0
	s_delay_alu instid0(SALU_CYCLE_1)
	s_mov_b32 s0, exec_lo
	v_cmpx_gt_u64_e64 s[8:9], v[10:11]
	s_cbranch_execz .LBB21_24
	s_branch .LBB21_52
.LBB21_50:                              ;   in Loop: Header=BB21_25 Depth=1
	v_bfe_u32 v2, v38, 16, 1
	v_cmp_o_f32_e32 vcc_lo, v38, v38
	s_delay_alu instid0(VALU_DEP_2) | instskip(NEXT) | instid1(VALU_DEP_1)
	v_add3_u32 v2, v38, v2, 0x7fff
	v_lshrrev_b32_e32 v2, 16, v2
	s_delay_alu instid0(VALU_DEP_1) | instskip(SKIP_4) | instid1(SALU_CYCLE_1)
	v_cndmask_b32_e32 v8, 0x7fc0, v2, vcc_lo
	v_add_co_u32 v2, vcc_lo, v35, s4
	v_add_co_ci_u32_e32 v3, vcc_lo, s5, v36, vcc_lo
	global_store_b16 v[2:3], v8, off
	s_or_b32 exec_lo, exec_lo, s0
	s_mov_b32 s0, exec_lo
	v_cmpx_gt_u64_e64 s[8:9], v[4:5]
	s_cbranch_execz .LBB21_49
.LBB21_51:                              ;   in Loop: Header=BB21_25 Depth=1
	v_bfe_u32 v2, v6, 16, 1
	v_cmp_o_f32_e32 vcc_lo, v6, v6
	s_delay_alu instid0(VALU_DEP_2) | instskip(NEXT) | instid1(VALU_DEP_1)
	v_add3_u32 v2, v6, v2, 0x7fff
	v_lshrrev_b32_e32 v2, 16, v2
	s_delay_alu instid0(VALU_DEP_1) | instskip(SKIP_4) | instid1(SALU_CYCLE_1)
	v_cndmask_b32_e32 v4, 0x7fc0, v2, vcc_lo
	v_add_co_u32 v2, vcc_lo, v29, s4
	v_add_co_ci_u32_e32 v3, vcc_lo, s5, v30, vcc_lo
	global_store_b16 v[2:3], v4, off
	s_or_b32 exec_lo, exec_lo, s0
	s_mov_b32 s0, exec_lo
	v_cmpx_gt_u64_e64 s[8:9], v[10:11]
	s_cbranch_execz .LBB21_24
.LBB21_52:                              ;   in Loop: Header=BB21_25 Depth=1
	v_bfe_u32 v2, v7, 16, 1
	v_cmp_o_f32_e32 vcc_lo, v7, v7
	s_delay_alu instid0(VALU_DEP_2) | instskip(NEXT) | instid1(VALU_DEP_1)
	v_add3_u32 v2, v7, v2, 0x7fff
	v_lshrrev_b32_e32 v2, 16, v2
	s_delay_alu instid0(VALU_DEP_1)
	v_cndmask_b32_e32 v4, 0x7fc0, v2, vcc_lo
	v_add_co_u32 v2, vcc_lo, v23, s4
	v_add_co_ci_u32_e32 v3, vcc_lo, s5, v24, vcc_lo
	global_store_b16 v[2:3], v4, off
	s_branch .LBB21_24
.LBB21_53:                              ;   in Loop: Header=BB21_25 Depth=1
                                        ; implicit-def: $vgpr37
	s_branch .LBB21_35
.LBB21_54:                              ;   in Loop: Header=BB21_25 Depth=1
                                        ; implicit-def: $vgpr38
	s_branch .LBB21_38
.LBB21_55:                              ;   in Loop: Header=BB21_25 Depth=1
                                        ; implicit-def: $vgpr6
	s_branch .LBB21_41
.LBB21_56:                              ;   in Loop: Header=BB21_25 Depth=1
                                        ; implicit-def: $vgpr7
	s_branch .LBB21_44
.LBB21_57:
	s_nop 0
	s_sendmsg sendmsg(MSG_DEALLOC_VGPRS)
	s_endpgm
	.section	.rodata,"a",@progbits
	.p2align	6, 0x0
	.amdhsa_kernel _ZN2at6native12_GLOBAL__N_125multi_tensor_apply_kernelINS1_18TensorListMetadataILi4EEENS1_32PointwiseOpScalar0dTensorFunctorIN3c108BFloat16ELi4ELi2ELi3EEEJSt10multipliesIfEfEEEvT_T0_DpT1_
		.amdhsa_group_segment_fixed_size 0
		.amdhsa_private_segment_fixed_size 0
		.amdhsa_kernarg_size 3312
		.amdhsa_user_sgpr_count 15
		.amdhsa_user_sgpr_dispatch_ptr 0
		.amdhsa_user_sgpr_queue_ptr 0
		.amdhsa_user_sgpr_kernarg_segment_ptr 1
		.amdhsa_user_sgpr_dispatch_id 0
		.amdhsa_user_sgpr_private_segment_size 0
		.amdhsa_wavefront_size32 1
		.amdhsa_uses_dynamic_stack 0
		.amdhsa_enable_private_segment 0
		.amdhsa_system_sgpr_workgroup_id_x 1
		.amdhsa_system_sgpr_workgroup_id_y 0
		.amdhsa_system_sgpr_workgroup_id_z 0
		.amdhsa_system_sgpr_workgroup_info 0
		.amdhsa_system_vgpr_workitem_id 0
		.amdhsa_next_free_vgpr 43
		.amdhsa_next_free_sgpr 20
		.amdhsa_reserve_vcc 1
		.amdhsa_float_round_mode_32 0
		.amdhsa_float_round_mode_16_64 0
		.amdhsa_float_denorm_mode_32 3
		.amdhsa_float_denorm_mode_16_64 3
		.amdhsa_dx10_clamp 1
		.amdhsa_ieee_mode 1
		.amdhsa_fp16_overflow 0
		.amdhsa_workgroup_processor_mode 1
		.amdhsa_memory_ordered 1
		.amdhsa_forward_progress 0
		.amdhsa_shared_vgpr_count 0
		.amdhsa_exception_fp_ieee_invalid_op 0
		.amdhsa_exception_fp_denorm_src 0
		.amdhsa_exception_fp_ieee_div_zero 0
		.amdhsa_exception_fp_ieee_overflow 0
		.amdhsa_exception_fp_ieee_underflow 0
		.amdhsa_exception_fp_ieee_inexact 0
		.amdhsa_exception_int_div_zero 0
	.end_amdhsa_kernel
	.section	.text._ZN2at6native12_GLOBAL__N_125multi_tensor_apply_kernelINS1_18TensorListMetadataILi4EEENS1_32PointwiseOpScalar0dTensorFunctorIN3c108BFloat16ELi4ELi2ELi3EEEJSt10multipliesIfEfEEEvT_T0_DpT1_,"axG",@progbits,_ZN2at6native12_GLOBAL__N_125multi_tensor_apply_kernelINS1_18TensorListMetadataILi4EEENS1_32PointwiseOpScalar0dTensorFunctorIN3c108BFloat16ELi4ELi2ELi3EEEJSt10multipliesIfEfEEEvT_T0_DpT1_,comdat
.Lfunc_end21:
	.size	_ZN2at6native12_GLOBAL__N_125multi_tensor_apply_kernelINS1_18TensorListMetadataILi4EEENS1_32PointwiseOpScalar0dTensorFunctorIN3c108BFloat16ELi4ELi2ELi3EEEJSt10multipliesIfEfEEEvT_T0_DpT1_, .Lfunc_end21-_ZN2at6native12_GLOBAL__N_125multi_tensor_apply_kernelINS1_18TensorListMetadataILi4EEENS1_32PointwiseOpScalar0dTensorFunctorIN3c108BFloat16ELi4ELi2ELi3EEEJSt10multipliesIfEfEEEvT_T0_DpT1_
                                        ; -- End function
	.section	.AMDGPU.csdata,"",@progbits
; Kernel info:
; codeLenInByte = 2624
; NumSgprs: 22
; NumVgprs: 43
; ScratchSize: 0
; MemoryBound: 0
; FloatMode: 240
; IeeeMode: 1
; LDSByteSize: 0 bytes/workgroup (compile time only)
; SGPRBlocks: 2
; VGPRBlocks: 5
; NumSGPRsForWavesPerEU: 22
; NumVGPRsForWavesPerEU: 43
; Occupancy: 16
; WaveLimiterHint : 0
; COMPUTE_PGM_RSRC2:SCRATCH_EN: 0
; COMPUTE_PGM_RSRC2:USER_SGPR: 15
; COMPUTE_PGM_RSRC2:TRAP_HANDLER: 0
; COMPUTE_PGM_RSRC2:TGID_X_EN: 1
; COMPUTE_PGM_RSRC2:TGID_Y_EN: 0
; COMPUTE_PGM_RSRC2:TGID_Z_EN: 0
; COMPUTE_PGM_RSRC2:TIDIG_COMP_CNT: 0
	.section	.text._ZN2at6native12_GLOBAL__N_125multi_tensor_apply_kernelINS1_18TensorListMetadataILi3EEENS1_24PointwiseOpScalarFunctorIhLi3ELi3ELi0EEEJSt10multipliesIhEhEEEvT_T0_DpT1_,"axG",@progbits,_ZN2at6native12_GLOBAL__N_125multi_tensor_apply_kernelINS1_18TensorListMetadataILi3EEENS1_24PointwiseOpScalarFunctorIhLi3ELi3ELi0EEEJSt10multipliesIhEhEEEvT_T0_DpT1_,comdat
	.globl	_ZN2at6native12_GLOBAL__N_125multi_tensor_apply_kernelINS1_18TensorListMetadataILi3EEENS1_24PointwiseOpScalarFunctorIhLi3ELi3ELi0EEEJSt10multipliesIhEhEEEvT_T0_DpT1_ ; -- Begin function _ZN2at6native12_GLOBAL__N_125multi_tensor_apply_kernelINS1_18TensorListMetadataILi3EEENS1_24PointwiseOpScalarFunctorIhLi3ELi3ELi0EEEJSt10multipliesIhEhEEEvT_T0_DpT1_
	.p2align	8
	.type	_ZN2at6native12_GLOBAL__N_125multi_tensor_apply_kernelINS1_18TensorListMetadataILi3EEENS1_24PointwiseOpScalarFunctorIhLi3ELi3ELi0EEEJSt10multipliesIhEhEEEvT_T0_DpT1_,@function
_ZN2at6native12_GLOBAL__N_125multi_tensor_apply_kernelINS1_18TensorListMetadataILi3EEENS1_24PointwiseOpScalarFunctorIhLi3ELi3ELi0EEEJSt10multipliesIhEhEEEvT_T0_DpT1_: ; @_ZN2at6native12_GLOBAL__N_125multi_tensor_apply_kernelINS1_18TensorListMetadataILi3EEENS1_24PointwiseOpScalarFunctorIhLi3ELi3ELi0EEEJSt10multipliesIhEhEEEvT_T0_DpT1_
; %bb.0:
	v_mov_b32_e32 v1, s15
	s_add_u32 s2, s0, s15
	s_mul_hi_u32 s3, s15, 3
	s_mul_i32 s15, s15, 3
	s_addc_u32 s4, s1, 0
	global_load_u8 v1, v1, s[0:1] offset:1536
	s_load_b32 s20, s[0:1], 0xc48
	s_add_u32 s2, s2, s15
	s_addc_u32 s3, s4, s3
	s_load_b32 s6, s[2:3], 0x740
	s_waitcnt vmcnt(0)
	v_readfirstlane_b32 s2, v1
	s_delay_alu instid0(VALU_DEP_1)
	s_lshl_b32 s7, s2, 3
	s_clause 0x3
	s_load_b64 s[2:3], s[0:1], s7 offset:0x0
	s_load_b64 s[4:5], s[0:1], s7 offset:0x180
	s_load_b64 s[12:13], s[0:1], s7 offset:0x300
	s_load_b64 s[10:11], s[0:1], s7 offset:0x480
	s_waitcnt lgkmcnt(0)
	s_ashr_i32 s7, s6, 31
	s_delay_alu instid0(SALU_CYCLE_1) | instskip(NEXT) | instid1(SALU_CYCLE_1)
	s_lshl_b64 s[14:15], s[6:7], 16
	s_add_u32 s6, s2, s14
	s_addc_u32 s7, s3, s15
	s_add_u32 s16, s4, s14
	s_addc_u32 s17, s5, s15
	;; [unrolled: 2-line block ×3, first 2 shown]
	s_or_b32 s8, s18, s16
	s_delay_alu instid0(SALU_CYCLE_1) | instskip(NEXT) | instid1(SALU_CYCLE_1)
	s_and_b32 s8, s8, 3
	s_cmp_eq_u32 s8, 0
	s_cselect_b32 s21, -1, 0
	s_sub_u32 s8, s10, s14
	s_subb_u32 s9, s11, s15
	s_or_b64 s[10:11], s[10:11], s[6:7]
	s_mov_b32 s11, 0
	s_and_b32 s10, s10, 3
	s_delay_alu instid0(SALU_CYCLE_1) | instskip(SKIP_1) | instid1(SALU_CYCLE_1)
	s_cmp_eq_u64 s[10:11], 0
	s_cselect_b32 s10, -1, 0
	s_and_b32 s10, s21, s10
	s_delay_alu instid0(SALU_CYCLE_1)
	s_and_b32 vcc_lo, exec_lo, s10
	s_mov_b32 s10, -1
	s_cbranch_vccnz .LBB22_29
; %bb.1:
	v_cmp_lt_i64_e64 s10, s[8:9], 1
	s_delay_alu instid0(VALU_DEP_1)
	s_and_b32 vcc_lo, exec_lo, s10
	s_cbranch_vccnz .LBB22_28
; %bb.2:
	s_load_b32 s10, s[0:1], 0xc5c
	v_add_co_u32 v21, s11, s14, v0
	s_delay_alu instid0(VALU_DEP_1) | instskip(SKIP_1) | instid1(VALU_DEP_3)
	v_add_co_ci_u32_e64 v22, null, s15, 0, s11
	v_cmp_gt_u64_e64 s11, 0x10000, s[8:9]
	v_add_co_u32 v1, vcc_lo, s2, v21
	s_delay_alu instid0(VALU_DEP_3)
	v_add_co_ci_u32_e32 v2, vcc_lo, s3, v22, vcc_lo
	v_add_co_u32 v3, vcc_lo, s4, v21
	v_add_co_ci_u32_e32 v4, vcc_lo, s5, v22, vcc_lo
	v_add_co_u32 v5, vcc_lo, s12, v21
	v_add_co_ci_u32_e32 v6, vcc_lo, s13, v22, vcc_lo
	s_waitcnt lgkmcnt(0)
	s_and_b32 s22, s10, 0xffff
	s_and_b32 s10, s11, exec_lo
	s_mul_i32 s24, s22, 3
	s_cselect_b32 s11, s9, 0
	s_cselect_b32 s10, s8, 0x10000
	s_lshl_b32 s23, s22, 1
	s_lshl_b32 s21, s22, 2
	s_add_u32 s25, s14, s24
	s_addc_u32 s26, s15, 0
	v_add_co_u32 v11, s25, s25, v0
	s_delay_alu instid0(VALU_DEP_1) | instskip(SKIP_1) | instid1(VALU_DEP_2)
	v_add_co_ci_u32_e64 v12, null, s26, 0, s25
	s_add_u32 s14, s14, s23
	v_add_co_u32 v7, vcc_lo, s2, v11
	s_delay_alu instid0(VALU_DEP_2)
	v_add_co_ci_u32_e32 v8, vcc_lo, s3, v12, vcc_lo
	v_add_co_u32 v9, vcc_lo, s4, v11
	s_addc_u32 s15, s15, 0
	v_add_co_u32 v19, s14, s14, v0
	v_add_co_ci_u32_e32 v10, vcc_lo, s5, v12, vcc_lo
	v_add_co_u32 v11, vcc_lo, s12, v11
	v_add_co_ci_u32_e64 v20, null, s15, 0, s14
	v_add_co_ci_u32_e32 v12, vcc_lo, s13, v12, vcc_lo
	v_add_co_u32 v15, vcc_lo, s2, v19
	s_delay_alu instid0(VALU_DEP_3)
	v_add_co_ci_u32_e32 v16, vcc_lo, s3, v20, vcc_lo
	v_add_co_u32 v17, vcc_lo, s4, v19
	v_add_co_ci_u32_e32 v18, vcc_lo, s5, v20, vcc_lo
	v_add_co_u32 v19, vcc_lo, s12, v19
	;; [unrolled: 2-line block ×3, first 2 shown]
	v_add_co_ci_u32_e32 v28, vcc_lo, 0, v22, vcc_lo
	v_add_co_u32 v13, s14, s24, v0
	s_delay_alu instid0(VALU_DEP_3) | instskip(NEXT) | instid1(VALU_DEP_3)
	v_add_co_u32 v23, vcc_lo, s2, v27
	v_add_co_ci_u32_e32 v24, vcc_lo, s3, v28, vcc_lo
	v_add_co_u32 v25, vcc_lo, s4, v27
	v_add_co_ci_u32_e32 v26, vcc_lo, s5, v28, vcc_lo
	v_add_co_ci_u32_e64 v14, null, 0, 0, s14
	v_add_co_u32 v21, s14, s23, v0
	v_add_co_u32 v27, vcc_lo, s12, v27
	v_add_co_u32 v29, s2, v0, s22
	v_add_co_ci_u32_e64 v22, null, 0, 0, s14
	v_add_co_ci_u32_e32 v28, vcc_lo, s13, v28, vcc_lo
	v_add_co_ci_u32_e64 v30, null, 0, 0, s2
	s_mov_b64 s[12:13], 0
	s_lshr_b32 s14, s20, 16
	s_branch .LBB22_4
.LBB22_3:                               ;   in Loop: Header=BB22_4 Depth=1
	s_or_b32 exec_lo, exec_lo, s2
	s_add_u32 s12, s12, s21
	s_addc_u32 s13, s13, 0
	s_delay_alu instid0(SALU_CYCLE_1) | instskip(SKIP_1) | instid1(VALU_DEP_1)
	v_cmp_lt_i64_e64 s2, s[12:13], s[8:9]
	v_cmp_gt_u64_e64 s3, 0x10000, s[12:13]
	s_and_b32 s2, s2, s3
	s_delay_alu instid0(SALU_CYCLE_1)
	s_and_b32 vcc_lo, exec_lo, s2
	s_cbranch_vccz .LBB22_28
.LBB22_4:                               ; =>This Inner Loop Header: Depth=1
	s_waitcnt vmcnt(1)
	v_add_co_u32 v31, s2, v0, s12
	s_waitcnt vmcnt(0)
	v_add_co_ci_u32_e64 v32, null, 0, s13, s2
	s_delay_alu instid0(VALU_DEP_1)
	v_cmp_gt_u64_e32 vcc_lo, s[10:11], v[31:32]
	v_dual_mov_b32 v31, 0 :: v_dual_mov_b32 v32, 0
	s_and_saveexec_b32 s3, vcc_lo
	s_cbranch_execz .LBB22_6
; %bb.5:                                ;   in Loop: Header=BB22_4 Depth=1
	v_add_co_u32 v31, s2, v1, s12
	s_delay_alu instid0(VALU_DEP_1) | instskip(SKIP_1) | instid1(VALU_DEP_1)
	v_add_co_ci_u32_e64 v32, s2, s13, v2, s2
	v_add_co_u32 v33, s2, v3, s12
	v_add_co_ci_u32_e64 v34, s2, s13, v4, s2
	global_load_u8 v31, v[31:32], off
	global_load_u8 v32, v[33:34], off
.LBB22_6:                               ;   in Loop: Header=BB22_4 Depth=1
	s_or_b32 exec_lo, exec_lo, s3
	v_dual_mov_b32 v33, 0 :: v_dual_mov_b32 v34, 0
	s_and_saveexec_b32 s3, vcc_lo
	s_cbranch_execz .LBB22_8
; %bb.7:                                ;   in Loop: Header=BB22_4 Depth=1
	v_add_co_u32 v34, s2, v5, s12
	s_delay_alu instid0(VALU_DEP_1)
	v_add_co_ci_u32_e64 v35, s2, s13, v6, s2
	global_load_u8 v34, v[34:35], off
.LBB22_8:                               ;   in Loop: Header=BB22_4 Depth=1
	s_or_b32 exec_lo, exec_lo, s3
	v_add_co_u32 v35, s2, v29, s12
	s_delay_alu instid0(VALU_DEP_1) | instskip(NEXT) | instid1(VALU_DEP_1)
	v_add_co_ci_u32_e64 v36, s2, s13, v30, s2
	v_cmp_gt_u64_e64 s2, s[10:11], v[35:36]
	v_mov_b32_e32 v35, 0
	s_delay_alu instid0(VALU_DEP_2)
	s_and_saveexec_b32 s4, s2
	s_cbranch_execz .LBB22_10
; %bb.9:                                ;   in Loop: Header=BB22_4 Depth=1
	v_add_co_u32 v35, s3, v23, s12
	s_delay_alu instid0(VALU_DEP_1) | instskip(SKIP_1) | instid1(VALU_DEP_1)
	v_add_co_ci_u32_e64 v36, s3, s13, v24, s3
	v_add_co_u32 v37, s3, v25, s12
	v_add_co_ci_u32_e64 v38, s3, s13, v26, s3
	global_load_u8 v33, v[35:36], off
	global_load_u8 v35, v[37:38], off
.LBB22_10:                              ;   in Loop: Header=BB22_4 Depth=1
	s_or_b32 exec_lo, exec_lo, s4
	v_dual_mov_b32 v36, 0 :: v_dual_mov_b32 v37, 0
	s_and_saveexec_b32 s4, s2
	s_cbranch_execz .LBB22_12
; %bb.11:                               ;   in Loop: Header=BB22_4 Depth=1
	v_add_co_u32 v37, s3, v27, s12
	s_delay_alu instid0(VALU_DEP_1)
	v_add_co_ci_u32_e64 v38, s3, s13, v28, s3
	global_load_u8 v37, v[37:38], off
.LBB22_12:                              ;   in Loop: Header=BB22_4 Depth=1
	s_or_b32 exec_lo, exec_lo, s4
	v_add_co_u32 v38, s3, v21, s12
	s_delay_alu instid0(VALU_DEP_1) | instskip(NEXT) | instid1(VALU_DEP_1)
	v_add_co_ci_u32_e64 v39, s3, s13, v22, s3
	v_cmp_gt_u64_e64 s3, s[10:11], v[38:39]
	v_mov_b32_e32 v38, 0
	s_delay_alu instid0(VALU_DEP_2)
	s_and_saveexec_b32 s5, s3
	s_cbranch_execz .LBB22_14
; %bb.13:                               ;   in Loop: Header=BB22_4 Depth=1
	v_add_co_u32 v38, s4, v15, s12
	s_delay_alu instid0(VALU_DEP_1) | instskip(SKIP_1) | instid1(VALU_DEP_1)
	v_add_co_ci_u32_e64 v39, s4, s13, v16, s4
	v_add_co_u32 v40, s4, v17, s12
	v_add_co_ci_u32_e64 v41, s4, s13, v18, s4
	global_load_u8 v36, v[38:39], off
	global_load_u8 v38, v[40:41], off
.LBB22_14:                              ;   in Loop: Header=BB22_4 Depth=1
	s_or_b32 exec_lo, exec_lo, s5
	v_dual_mov_b32 v39, 0 :: v_dual_mov_b32 v40, 0
	s_and_saveexec_b32 s5, s3
	s_cbranch_execz .LBB22_16
; %bb.15:                               ;   in Loop: Header=BB22_4 Depth=1
	v_add_co_u32 v40, s4, v19, s12
	s_delay_alu instid0(VALU_DEP_1)
	v_add_co_ci_u32_e64 v41, s4, s13, v20, s4
	global_load_u8 v40, v[40:41], off
.LBB22_16:                              ;   in Loop: Header=BB22_4 Depth=1
	s_or_b32 exec_lo, exec_lo, s5
	v_add_co_u32 v41, s4, v13, s12
	s_delay_alu instid0(VALU_DEP_1) | instskip(NEXT) | instid1(VALU_DEP_1)
	v_add_co_ci_u32_e64 v42, s4, s13, v14, s4
	v_cmp_gt_u64_e64 s4, s[10:11], v[41:42]
	v_mov_b32_e32 v41, 0
	s_delay_alu instid0(VALU_DEP_2)
	s_and_saveexec_b32 s15, s4
	s_cbranch_execnz .LBB22_22
; %bb.17:                               ;   in Loop: Header=BB22_4 Depth=1
	s_or_b32 exec_lo, exec_lo, s15
	v_mov_b32_e32 v42, 0
	s_and_saveexec_b32 s15, s4
	s_cbranch_execnz .LBB22_23
.LBB22_18:                              ;   in Loop: Header=BB22_4 Depth=1
	s_or_b32 exec_lo, exec_lo, s15
	s_and_saveexec_b32 s5, vcc_lo
	s_cbranch_execnz .LBB22_24
.LBB22_19:                              ;   in Loop: Header=BB22_4 Depth=1
	s_or_b32 exec_lo, exec_lo, s5
	s_and_saveexec_b32 s5, s2
	s_cbranch_execnz .LBB22_25
.LBB22_20:                              ;   in Loop: Header=BB22_4 Depth=1
	s_or_b32 exec_lo, exec_lo, s5
	s_and_saveexec_b32 s2, s3
	s_cbranch_execnz .LBB22_26
.LBB22_21:                              ;   in Loop: Header=BB22_4 Depth=1
	s_or_b32 exec_lo, exec_lo, s2
	s_and_saveexec_b32 s2, s4
	s_cbranch_execz .LBB22_3
	s_branch .LBB22_27
.LBB22_22:                              ;   in Loop: Header=BB22_4 Depth=1
	v_add_co_u32 v41, s5, v7, s12
	s_delay_alu instid0(VALU_DEP_1) | instskip(SKIP_1) | instid1(VALU_DEP_1)
	v_add_co_ci_u32_e64 v42, s5, s13, v8, s5
	v_add_co_u32 v43, s5, v9, s12
	v_add_co_ci_u32_e64 v44, s5, s13, v10, s5
	global_load_u8 v39, v[41:42], off
	global_load_u8 v41, v[43:44], off
	s_or_b32 exec_lo, exec_lo, s15
	v_mov_b32_e32 v42, 0
	s_and_saveexec_b32 s15, s4
	s_cbranch_execz .LBB22_18
.LBB22_23:                              ;   in Loop: Header=BB22_4 Depth=1
	v_add_co_u32 v42, s5, v11, s12
	s_delay_alu instid0(VALU_DEP_1)
	v_add_co_ci_u32_e64 v43, s5, s13, v12, s5
	global_load_u8 v42, v[42:43], off
	s_or_b32 exec_lo, exec_lo, s15
	s_and_saveexec_b32 s5, vcc_lo
	s_cbranch_execz .LBB22_19
.LBB22_24:                              ;   in Loop: Header=BB22_4 Depth=1
	s_waitcnt vmcnt(0)
	v_mul_lo_u16 v32, v32, s14
	s_delay_alu instid0(VALU_DEP_1)
	v_mad_u16 v34, v32, v34, v31
	v_add_co_u32 v31, vcc_lo, v1, s12
	v_add_co_ci_u32_e32 v32, vcc_lo, s13, v2, vcc_lo
	global_store_b8 v[31:32], v34, off
	s_or_b32 exec_lo, exec_lo, s5
	s_and_saveexec_b32 s5, s2
	s_cbranch_execz .LBB22_20
.LBB22_25:                              ;   in Loop: Header=BB22_4 Depth=1
	s_waitcnt vmcnt(0)
	v_mul_lo_u16 v31, v35, s14
	s_delay_alu instid0(VALU_DEP_1)
	v_mad_u16 v33, v31, v37, v33
	v_add_co_u32 v31, vcc_lo, v23, s12
	v_add_co_ci_u32_e32 v32, vcc_lo, s13, v24, vcc_lo
	global_store_b8 v[31:32], v33, off
	s_or_b32 exec_lo, exec_lo, s5
	s_and_saveexec_b32 s2, s3
	s_cbranch_execz .LBB22_21
.LBB22_26:                              ;   in Loop: Header=BB22_4 Depth=1
	s_waitcnt vmcnt(0)
	v_mul_lo_u16 v31, v38, s14
	s_delay_alu instid0(VALU_DEP_1)
	v_mad_u16 v33, v31, v40, v36
	v_add_co_u32 v31, vcc_lo, v15, s12
	v_add_co_ci_u32_e32 v32, vcc_lo, s13, v16, vcc_lo
	global_store_b8 v[31:32], v33, off
	s_or_b32 exec_lo, exec_lo, s2
	s_and_saveexec_b32 s2, s4
	s_cbranch_execz .LBB22_3
.LBB22_27:                              ;   in Loop: Header=BB22_4 Depth=1
	s_waitcnt vmcnt(0)
	v_mul_lo_u16 v31, v41, s14
	s_delay_alu instid0(VALU_DEP_1)
	v_mad_u16 v33, v31, v42, v39
	v_add_co_u32 v31, vcc_lo, v7, s12
	v_add_co_ci_u32_e32 v32, vcc_lo, s13, v8, vcc_lo
	global_store_b8 v[31:32], v33, off
	s_branch .LBB22_3
.LBB22_28:
	s_mov_b32 s10, 0
.LBB22_29:
	s_delay_alu instid0(SALU_CYCLE_1)
	s_and_not1_b32 vcc_lo, exec_lo, s10
	s_cbranch_vccnz .LBB22_33
; %bb.30:
	v_dual_mov_b32 v1, 0 :: v_dual_lshlrev_b32 v0, 2, v0
	s_mov_b32 s2, exec_lo
	s_delay_alu instid0(VALU_DEP_1)
	v_cmpx_gt_i64_e64 s[8:9], v[0:1]
	s_cbranch_execz .LBB22_33
; %bb.31:
	s_load_b32 s0, s[0:1], 0xc5c
	s_mov_b32 s1, 0
	s_lshr_b32 s3, s20, 16
	s_waitcnt lgkmcnt(0)
	s_and_b32 s0, s0, 0xffff
	s_delay_alu instid0(SALU_CYCLE_1)
	s_lshl_b32 s2, s0, 2
.LBB22_32:                              ; =>This Inner Loop Header: Depth=1
	v_add_co_u32 v2, vcc_lo, s6, v0
	v_add_co_ci_u32_e32 v3, vcc_lo, s7, v1, vcc_lo
	v_add_co_u32 v4, vcc_lo, s16, v0
	v_add_co_ci_u32_e32 v5, vcc_lo, s17, v1, vcc_lo
	;; [unrolled: 2-line block ×3, first 2 shown]
	global_load_b32 v4, v[4:5], off
	global_load_b32 v5, v[2:3], off
	;; [unrolled: 1-line block ×3, first 2 shown]
	v_add_co_u32 v0, vcc_lo, s2, v0
	v_add_co_ci_u32_e32 v1, vcc_lo, 0, v1, vcc_lo
	s_delay_alu instid0(VALU_DEP_1) | instskip(SKIP_1) | instid1(VALU_DEP_1)
	v_cmp_le_i64_e32 vcc_lo, s[8:9], v[0:1]
	v_cmp_lt_u64_e64 s0, 0xffff, v[0:1]
	s_or_b32 s0, vcc_lo, s0
	s_delay_alu instid0(SALU_CYCLE_1) | instskip(NEXT) | instid1(SALU_CYCLE_1)
	s_and_b32 s0, exec_lo, s0
	s_or_b32 s1, s0, s1
	s_waitcnt vmcnt(2)
	v_lshrrev_b32_e32 v9, 8, v4
	v_lshrrev_b32_e32 v12, 16, v4
	v_mul_lo_u16 v7, v4, s3
	s_waitcnt vmcnt(1)
	v_lshrrev_b32_e32 v8, 8, v5
	s_waitcnt vmcnt(0)
	v_lshrrev_b32_e32 v10, 8, v6
	v_lshrrev_b32_e32 v11, 16, v5
	;; [unrolled: 1-line block ×4, first 2 shown]
	v_mul_lo_u16 v9, v9, s3
	v_mul_lo_u16 v12, v12, s3
	v_lshrrev_b32_e32 v14, 24, v5
	v_lshrrev_b32_e32 v15, 24, v6
	v_mul_lo_u16 v4, v4, s3
	v_mad_u16 v8, v9, v10, v8
	v_mad_u16 v9, v12, v13, v11
	;; [unrolled: 1-line block ×3, first 2 shown]
	s_delay_alu instid0(VALU_DEP_4) | instskip(NEXT) | instid1(VALU_DEP_4)
	v_mad_u16 v4, v4, v15, v14
	v_and_b32_e32 v6, 0xff, v8
	s_delay_alu instid0(VALU_DEP_4) | instskip(NEXT) | instid1(VALU_DEP_3)
	v_and_b32_e32 v7, 0xff, v9
	v_lshlrev_b32_e32 v4, 24, v4
	s_delay_alu instid0(VALU_DEP_3) | instskip(NEXT) | instid1(VALU_DEP_3)
	v_perm_b32 v5, v6, v5, 0x6050400
	v_lshlrev_b32_e32 v6, 16, v7
	s_delay_alu instid0(VALU_DEP_1)
	v_or3_b32 v4, v5, v6, v4
	global_store_b32 v[2:3], v4, off
	s_and_not1_b32 exec_lo, exec_lo, s1
	s_cbranch_execnz .LBB22_32
.LBB22_33:
	s_nop 0
	s_sendmsg sendmsg(MSG_DEALLOC_VGPRS)
	s_endpgm
	.section	.rodata,"a",@progbits
	.p2align	6, 0x0
	.amdhsa_kernel _ZN2at6native12_GLOBAL__N_125multi_tensor_apply_kernelINS1_18TensorListMetadataILi3EEENS1_24PointwiseOpScalarFunctorIhLi3ELi3ELi0EEEJSt10multipliesIhEhEEEvT_T0_DpT1_
		.amdhsa_group_segment_fixed_size 0
		.amdhsa_private_segment_fixed_size 0
		.amdhsa_kernarg_size 3408
		.amdhsa_user_sgpr_count 15
		.amdhsa_user_sgpr_dispatch_ptr 0
		.amdhsa_user_sgpr_queue_ptr 0
		.amdhsa_user_sgpr_kernarg_segment_ptr 1
		.amdhsa_user_sgpr_dispatch_id 0
		.amdhsa_user_sgpr_private_segment_size 0
		.amdhsa_wavefront_size32 1
		.amdhsa_uses_dynamic_stack 0
		.amdhsa_enable_private_segment 0
		.amdhsa_system_sgpr_workgroup_id_x 1
		.amdhsa_system_sgpr_workgroup_id_y 0
		.amdhsa_system_sgpr_workgroup_id_z 0
		.amdhsa_system_sgpr_workgroup_info 0
		.amdhsa_system_vgpr_workitem_id 0
		.amdhsa_next_free_vgpr 45
		.amdhsa_next_free_sgpr 27
		.amdhsa_reserve_vcc 1
		.amdhsa_float_round_mode_32 0
		.amdhsa_float_round_mode_16_64 0
		.amdhsa_float_denorm_mode_32 3
		.amdhsa_float_denorm_mode_16_64 3
		.amdhsa_dx10_clamp 1
		.amdhsa_ieee_mode 1
		.amdhsa_fp16_overflow 0
		.amdhsa_workgroup_processor_mode 1
		.amdhsa_memory_ordered 1
		.amdhsa_forward_progress 0
		.amdhsa_shared_vgpr_count 0
		.amdhsa_exception_fp_ieee_invalid_op 0
		.amdhsa_exception_fp_denorm_src 0
		.amdhsa_exception_fp_ieee_div_zero 0
		.amdhsa_exception_fp_ieee_overflow 0
		.amdhsa_exception_fp_ieee_underflow 0
		.amdhsa_exception_fp_ieee_inexact 0
		.amdhsa_exception_int_div_zero 0
	.end_amdhsa_kernel
	.section	.text._ZN2at6native12_GLOBAL__N_125multi_tensor_apply_kernelINS1_18TensorListMetadataILi3EEENS1_24PointwiseOpScalarFunctorIhLi3ELi3ELi0EEEJSt10multipliesIhEhEEEvT_T0_DpT1_,"axG",@progbits,_ZN2at6native12_GLOBAL__N_125multi_tensor_apply_kernelINS1_18TensorListMetadataILi3EEENS1_24PointwiseOpScalarFunctorIhLi3ELi3ELi0EEEJSt10multipliesIhEhEEEvT_T0_DpT1_,comdat
.Lfunc_end22:
	.size	_ZN2at6native12_GLOBAL__N_125multi_tensor_apply_kernelINS1_18TensorListMetadataILi3EEENS1_24PointwiseOpScalarFunctorIhLi3ELi3ELi0EEEJSt10multipliesIhEhEEEvT_T0_DpT1_, .Lfunc_end22-_ZN2at6native12_GLOBAL__N_125multi_tensor_apply_kernelINS1_18TensorListMetadataILi3EEENS1_24PointwiseOpScalarFunctorIhLi3ELi3ELi0EEEJSt10multipliesIhEhEEEvT_T0_DpT1_
                                        ; -- End function
	.section	.AMDGPU.csdata,"",@progbits
; Kernel info:
; codeLenInByte = 1924
; NumSgprs: 29
; NumVgprs: 45
; ScratchSize: 0
; MemoryBound: 0
; FloatMode: 240
; IeeeMode: 1
; LDSByteSize: 0 bytes/workgroup (compile time only)
; SGPRBlocks: 3
; VGPRBlocks: 5
; NumSGPRsForWavesPerEU: 29
; NumVGPRsForWavesPerEU: 45
; Occupancy: 16
; WaveLimiterHint : 0
; COMPUTE_PGM_RSRC2:SCRATCH_EN: 0
; COMPUTE_PGM_RSRC2:USER_SGPR: 15
; COMPUTE_PGM_RSRC2:TRAP_HANDLER: 0
; COMPUTE_PGM_RSRC2:TGID_X_EN: 1
; COMPUTE_PGM_RSRC2:TGID_Y_EN: 0
; COMPUTE_PGM_RSRC2:TGID_Z_EN: 0
; COMPUTE_PGM_RSRC2:TIDIG_COMP_CNT: 0
	.section	.text._ZN2at6native12_GLOBAL__N_125multi_tensor_apply_kernelINS1_18TensorListMetadataILi3EEENS1_24PointwiseOpScalarFunctorIaLi3ELi3ELi0EEEJSt10multipliesIaEaEEEvT_T0_DpT1_,"axG",@progbits,_ZN2at6native12_GLOBAL__N_125multi_tensor_apply_kernelINS1_18TensorListMetadataILi3EEENS1_24PointwiseOpScalarFunctorIaLi3ELi3ELi0EEEJSt10multipliesIaEaEEEvT_T0_DpT1_,comdat
	.globl	_ZN2at6native12_GLOBAL__N_125multi_tensor_apply_kernelINS1_18TensorListMetadataILi3EEENS1_24PointwiseOpScalarFunctorIaLi3ELi3ELi0EEEJSt10multipliesIaEaEEEvT_T0_DpT1_ ; -- Begin function _ZN2at6native12_GLOBAL__N_125multi_tensor_apply_kernelINS1_18TensorListMetadataILi3EEENS1_24PointwiseOpScalarFunctorIaLi3ELi3ELi0EEEJSt10multipliesIaEaEEEvT_T0_DpT1_
	.p2align	8
	.type	_ZN2at6native12_GLOBAL__N_125multi_tensor_apply_kernelINS1_18TensorListMetadataILi3EEENS1_24PointwiseOpScalarFunctorIaLi3ELi3ELi0EEEJSt10multipliesIaEaEEEvT_T0_DpT1_,@function
_ZN2at6native12_GLOBAL__N_125multi_tensor_apply_kernelINS1_18TensorListMetadataILi3EEENS1_24PointwiseOpScalarFunctorIaLi3ELi3ELi0EEEJSt10multipliesIaEaEEEvT_T0_DpT1_: ; @_ZN2at6native12_GLOBAL__N_125multi_tensor_apply_kernelINS1_18TensorListMetadataILi3EEENS1_24PointwiseOpScalarFunctorIaLi3ELi3ELi0EEEJSt10multipliesIaEaEEEvT_T0_DpT1_
; %bb.0:
	v_mov_b32_e32 v1, s15
	s_add_u32 s2, s0, s15
	s_mul_hi_u32 s3, s15, 3
	s_mul_i32 s15, s15, 3
	s_addc_u32 s4, s1, 0
	global_load_u8 v1, v1, s[0:1] offset:1536
	s_load_b32 s20, s[0:1], 0xc48
	s_add_u32 s2, s2, s15
	s_addc_u32 s3, s4, s3
	s_load_b32 s6, s[2:3], 0x740
	s_waitcnt vmcnt(0)
	v_readfirstlane_b32 s2, v1
	s_delay_alu instid0(VALU_DEP_1)
	s_lshl_b32 s7, s2, 3
	s_clause 0x3
	s_load_b64 s[2:3], s[0:1], s7 offset:0x0
	s_load_b64 s[4:5], s[0:1], s7 offset:0x180
	;; [unrolled: 1-line block ×4, first 2 shown]
	s_waitcnt lgkmcnt(0)
	s_ashr_i32 s7, s6, 31
	s_delay_alu instid0(SALU_CYCLE_1) | instskip(NEXT) | instid1(SALU_CYCLE_1)
	s_lshl_b64 s[14:15], s[6:7], 16
	s_add_u32 s6, s2, s14
	s_addc_u32 s7, s3, s15
	s_add_u32 s16, s4, s14
	s_addc_u32 s17, s5, s15
	;; [unrolled: 2-line block ×3, first 2 shown]
	s_or_b32 s8, s18, s16
	s_delay_alu instid0(SALU_CYCLE_1) | instskip(NEXT) | instid1(SALU_CYCLE_1)
	s_and_b32 s8, s8, 3
	s_cmp_eq_u32 s8, 0
	s_cselect_b32 s21, -1, 0
	s_sub_u32 s8, s10, s14
	s_subb_u32 s9, s11, s15
	s_or_b64 s[10:11], s[10:11], s[6:7]
	s_mov_b32 s11, 0
	s_and_b32 s10, s10, 3
	s_delay_alu instid0(SALU_CYCLE_1) | instskip(SKIP_1) | instid1(SALU_CYCLE_1)
	s_cmp_eq_u64 s[10:11], 0
	s_cselect_b32 s10, -1, 0
	s_and_b32 s10, s21, s10
	s_delay_alu instid0(SALU_CYCLE_1)
	s_and_b32 vcc_lo, exec_lo, s10
	s_mov_b32 s10, -1
	s_cbranch_vccnz .LBB23_29
; %bb.1:
	v_cmp_lt_i64_e64 s10, s[8:9], 1
	s_delay_alu instid0(VALU_DEP_1)
	s_and_b32 vcc_lo, exec_lo, s10
	s_cbranch_vccnz .LBB23_28
; %bb.2:
	s_load_b32 s10, s[0:1], 0xc5c
	v_add_co_u32 v21, s11, s14, v0
	s_delay_alu instid0(VALU_DEP_1) | instskip(SKIP_1) | instid1(VALU_DEP_3)
	v_add_co_ci_u32_e64 v22, null, s15, 0, s11
	v_cmp_gt_u64_e64 s11, 0x10000, s[8:9]
	v_add_co_u32 v1, vcc_lo, s2, v21
	s_delay_alu instid0(VALU_DEP_3)
	v_add_co_ci_u32_e32 v2, vcc_lo, s3, v22, vcc_lo
	v_add_co_u32 v3, vcc_lo, s4, v21
	v_add_co_ci_u32_e32 v4, vcc_lo, s5, v22, vcc_lo
	v_add_co_u32 v5, vcc_lo, s12, v21
	v_add_co_ci_u32_e32 v6, vcc_lo, s13, v22, vcc_lo
	s_waitcnt lgkmcnt(0)
	s_and_b32 s22, s10, 0xffff
	s_and_b32 s10, s11, exec_lo
	s_mul_i32 s24, s22, 3
	s_cselect_b32 s11, s9, 0
	s_cselect_b32 s10, s8, 0x10000
	s_lshl_b32 s23, s22, 1
	s_lshl_b32 s21, s22, 2
	s_add_u32 s25, s14, s24
	s_addc_u32 s26, s15, 0
	v_add_co_u32 v11, s25, s25, v0
	s_delay_alu instid0(VALU_DEP_1) | instskip(SKIP_1) | instid1(VALU_DEP_2)
	v_add_co_ci_u32_e64 v12, null, s26, 0, s25
	s_add_u32 s14, s14, s23
	v_add_co_u32 v7, vcc_lo, s2, v11
	s_delay_alu instid0(VALU_DEP_2)
	v_add_co_ci_u32_e32 v8, vcc_lo, s3, v12, vcc_lo
	v_add_co_u32 v9, vcc_lo, s4, v11
	s_addc_u32 s15, s15, 0
	v_add_co_u32 v19, s14, s14, v0
	v_add_co_ci_u32_e32 v10, vcc_lo, s5, v12, vcc_lo
	v_add_co_u32 v11, vcc_lo, s12, v11
	v_add_co_ci_u32_e64 v20, null, s15, 0, s14
	v_add_co_ci_u32_e32 v12, vcc_lo, s13, v12, vcc_lo
	v_add_co_u32 v15, vcc_lo, s2, v19
	s_delay_alu instid0(VALU_DEP_3)
	v_add_co_ci_u32_e32 v16, vcc_lo, s3, v20, vcc_lo
	v_add_co_u32 v17, vcc_lo, s4, v19
	v_add_co_ci_u32_e32 v18, vcc_lo, s5, v20, vcc_lo
	v_add_co_u32 v19, vcc_lo, s12, v19
	;; [unrolled: 2-line block ×3, first 2 shown]
	v_add_co_ci_u32_e32 v28, vcc_lo, 0, v22, vcc_lo
	v_add_co_u32 v13, s14, s24, v0
	s_delay_alu instid0(VALU_DEP_3) | instskip(NEXT) | instid1(VALU_DEP_3)
	v_add_co_u32 v23, vcc_lo, s2, v27
	v_add_co_ci_u32_e32 v24, vcc_lo, s3, v28, vcc_lo
	v_add_co_u32 v25, vcc_lo, s4, v27
	v_add_co_ci_u32_e32 v26, vcc_lo, s5, v28, vcc_lo
	v_add_co_ci_u32_e64 v14, null, 0, 0, s14
	v_add_co_u32 v21, s14, s23, v0
	v_add_co_u32 v27, vcc_lo, s12, v27
	v_add_co_u32 v29, s2, v0, s22
	v_add_co_ci_u32_e64 v22, null, 0, 0, s14
	v_add_co_ci_u32_e32 v28, vcc_lo, s13, v28, vcc_lo
	v_add_co_ci_u32_e64 v30, null, 0, 0, s2
	s_mov_b64 s[12:13], 0
	s_lshr_b32 s14, s20, 16
	s_branch .LBB23_4
.LBB23_3:                               ;   in Loop: Header=BB23_4 Depth=1
	s_or_b32 exec_lo, exec_lo, s2
	s_add_u32 s12, s12, s21
	s_addc_u32 s13, s13, 0
	s_delay_alu instid0(SALU_CYCLE_1) | instskip(SKIP_1) | instid1(VALU_DEP_1)
	v_cmp_lt_i64_e64 s2, s[12:13], s[8:9]
	v_cmp_gt_u64_e64 s3, 0x10000, s[12:13]
	s_and_b32 s2, s2, s3
	s_delay_alu instid0(SALU_CYCLE_1)
	s_and_b32 vcc_lo, exec_lo, s2
	s_cbranch_vccz .LBB23_28
.LBB23_4:                               ; =>This Inner Loop Header: Depth=1
	s_waitcnt vmcnt(1)
	v_add_co_u32 v31, s2, v0, s12
	s_waitcnt vmcnt(0)
	v_add_co_ci_u32_e64 v32, null, 0, s13, s2
	s_delay_alu instid0(VALU_DEP_1)
	v_cmp_gt_u64_e32 vcc_lo, s[10:11], v[31:32]
	v_dual_mov_b32 v31, 0 :: v_dual_mov_b32 v32, 0
	s_and_saveexec_b32 s3, vcc_lo
	s_cbranch_execz .LBB23_6
; %bb.5:                                ;   in Loop: Header=BB23_4 Depth=1
	v_add_co_u32 v31, s2, v1, s12
	s_delay_alu instid0(VALU_DEP_1) | instskip(SKIP_1) | instid1(VALU_DEP_1)
	v_add_co_ci_u32_e64 v32, s2, s13, v2, s2
	v_add_co_u32 v33, s2, v3, s12
	v_add_co_ci_u32_e64 v34, s2, s13, v4, s2
	global_load_u8 v31, v[31:32], off
	global_load_u8 v32, v[33:34], off
.LBB23_6:                               ;   in Loop: Header=BB23_4 Depth=1
	s_or_b32 exec_lo, exec_lo, s3
	v_dual_mov_b32 v33, 0 :: v_dual_mov_b32 v34, 0
	s_and_saveexec_b32 s3, vcc_lo
	s_cbranch_execz .LBB23_8
; %bb.7:                                ;   in Loop: Header=BB23_4 Depth=1
	v_add_co_u32 v34, s2, v5, s12
	s_delay_alu instid0(VALU_DEP_1)
	v_add_co_ci_u32_e64 v35, s2, s13, v6, s2
	global_load_u8 v34, v[34:35], off
.LBB23_8:                               ;   in Loop: Header=BB23_4 Depth=1
	s_or_b32 exec_lo, exec_lo, s3
	v_add_co_u32 v35, s2, v29, s12
	s_delay_alu instid0(VALU_DEP_1) | instskip(NEXT) | instid1(VALU_DEP_1)
	v_add_co_ci_u32_e64 v36, s2, s13, v30, s2
	v_cmp_gt_u64_e64 s2, s[10:11], v[35:36]
	v_mov_b32_e32 v35, 0
	s_delay_alu instid0(VALU_DEP_2)
	s_and_saveexec_b32 s4, s2
	s_cbranch_execz .LBB23_10
; %bb.9:                                ;   in Loop: Header=BB23_4 Depth=1
	v_add_co_u32 v35, s3, v23, s12
	s_delay_alu instid0(VALU_DEP_1) | instskip(SKIP_1) | instid1(VALU_DEP_1)
	v_add_co_ci_u32_e64 v36, s3, s13, v24, s3
	v_add_co_u32 v37, s3, v25, s12
	v_add_co_ci_u32_e64 v38, s3, s13, v26, s3
	global_load_u8 v33, v[35:36], off
	global_load_u8 v35, v[37:38], off
.LBB23_10:                              ;   in Loop: Header=BB23_4 Depth=1
	s_or_b32 exec_lo, exec_lo, s4
	v_dual_mov_b32 v36, 0 :: v_dual_mov_b32 v37, 0
	s_and_saveexec_b32 s4, s2
	s_cbranch_execz .LBB23_12
; %bb.11:                               ;   in Loop: Header=BB23_4 Depth=1
	v_add_co_u32 v37, s3, v27, s12
	s_delay_alu instid0(VALU_DEP_1)
	v_add_co_ci_u32_e64 v38, s3, s13, v28, s3
	global_load_u8 v37, v[37:38], off
.LBB23_12:                              ;   in Loop: Header=BB23_4 Depth=1
	s_or_b32 exec_lo, exec_lo, s4
	v_add_co_u32 v38, s3, v21, s12
	s_delay_alu instid0(VALU_DEP_1) | instskip(NEXT) | instid1(VALU_DEP_1)
	v_add_co_ci_u32_e64 v39, s3, s13, v22, s3
	v_cmp_gt_u64_e64 s3, s[10:11], v[38:39]
	v_mov_b32_e32 v38, 0
	s_delay_alu instid0(VALU_DEP_2)
	s_and_saveexec_b32 s5, s3
	s_cbranch_execz .LBB23_14
; %bb.13:                               ;   in Loop: Header=BB23_4 Depth=1
	v_add_co_u32 v38, s4, v15, s12
	s_delay_alu instid0(VALU_DEP_1) | instskip(SKIP_1) | instid1(VALU_DEP_1)
	v_add_co_ci_u32_e64 v39, s4, s13, v16, s4
	v_add_co_u32 v40, s4, v17, s12
	v_add_co_ci_u32_e64 v41, s4, s13, v18, s4
	global_load_u8 v36, v[38:39], off
	global_load_u8 v38, v[40:41], off
.LBB23_14:                              ;   in Loop: Header=BB23_4 Depth=1
	s_or_b32 exec_lo, exec_lo, s5
	v_dual_mov_b32 v39, 0 :: v_dual_mov_b32 v40, 0
	s_and_saveexec_b32 s5, s3
	s_cbranch_execz .LBB23_16
; %bb.15:                               ;   in Loop: Header=BB23_4 Depth=1
	v_add_co_u32 v40, s4, v19, s12
	s_delay_alu instid0(VALU_DEP_1)
	v_add_co_ci_u32_e64 v41, s4, s13, v20, s4
	global_load_u8 v40, v[40:41], off
.LBB23_16:                              ;   in Loop: Header=BB23_4 Depth=1
	s_or_b32 exec_lo, exec_lo, s5
	v_add_co_u32 v41, s4, v13, s12
	s_delay_alu instid0(VALU_DEP_1) | instskip(NEXT) | instid1(VALU_DEP_1)
	v_add_co_ci_u32_e64 v42, s4, s13, v14, s4
	v_cmp_gt_u64_e64 s4, s[10:11], v[41:42]
	v_mov_b32_e32 v41, 0
	s_delay_alu instid0(VALU_DEP_2)
	s_and_saveexec_b32 s15, s4
	s_cbranch_execnz .LBB23_22
; %bb.17:                               ;   in Loop: Header=BB23_4 Depth=1
	s_or_b32 exec_lo, exec_lo, s15
	v_mov_b32_e32 v42, 0
	s_and_saveexec_b32 s15, s4
	s_cbranch_execnz .LBB23_23
.LBB23_18:                              ;   in Loop: Header=BB23_4 Depth=1
	s_or_b32 exec_lo, exec_lo, s15
	s_and_saveexec_b32 s5, vcc_lo
	s_cbranch_execnz .LBB23_24
.LBB23_19:                              ;   in Loop: Header=BB23_4 Depth=1
	s_or_b32 exec_lo, exec_lo, s5
	s_and_saveexec_b32 s5, s2
	s_cbranch_execnz .LBB23_25
.LBB23_20:                              ;   in Loop: Header=BB23_4 Depth=1
	s_or_b32 exec_lo, exec_lo, s5
	s_and_saveexec_b32 s2, s3
	s_cbranch_execnz .LBB23_26
.LBB23_21:                              ;   in Loop: Header=BB23_4 Depth=1
	s_or_b32 exec_lo, exec_lo, s2
	s_and_saveexec_b32 s2, s4
	s_cbranch_execz .LBB23_3
	s_branch .LBB23_27
.LBB23_22:                              ;   in Loop: Header=BB23_4 Depth=1
	v_add_co_u32 v41, s5, v7, s12
	s_delay_alu instid0(VALU_DEP_1) | instskip(SKIP_1) | instid1(VALU_DEP_1)
	v_add_co_ci_u32_e64 v42, s5, s13, v8, s5
	v_add_co_u32 v43, s5, v9, s12
	v_add_co_ci_u32_e64 v44, s5, s13, v10, s5
	global_load_u8 v39, v[41:42], off
	global_load_u8 v41, v[43:44], off
	s_or_b32 exec_lo, exec_lo, s15
	v_mov_b32_e32 v42, 0
	s_and_saveexec_b32 s15, s4
	s_cbranch_execz .LBB23_18
.LBB23_23:                              ;   in Loop: Header=BB23_4 Depth=1
	v_add_co_u32 v42, s5, v11, s12
	s_delay_alu instid0(VALU_DEP_1)
	v_add_co_ci_u32_e64 v43, s5, s13, v12, s5
	global_load_u8 v42, v[42:43], off
	s_or_b32 exec_lo, exec_lo, s15
	s_and_saveexec_b32 s5, vcc_lo
	s_cbranch_execz .LBB23_19
.LBB23_24:                              ;   in Loop: Header=BB23_4 Depth=1
	s_waitcnt vmcnt(0)
	v_mul_lo_u16 v32, v32, s14
	s_delay_alu instid0(VALU_DEP_1)
	v_mad_u16 v34, v32, v34, v31
	v_add_co_u32 v31, vcc_lo, v1, s12
	v_add_co_ci_u32_e32 v32, vcc_lo, s13, v2, vcc_lo
	global_store_b8 v[31:32], v34, off
	s_or_b32 exec_lo, exec_lo, s5
	s_and_saveexec_b32 s5, s2
	s_cbranch_execz .LBB23_20
.LBB23_25:                              ;   in Loop: Header=BB23_4 Depth=1
	s_waitcnt vmcnt(0)
	v_mul_lo_u16 v31, v35, s14
	s_delay_alu instid0(VALU_DEP_1)
	v_mad_u16 v33, v31, v37, v33
	v_add_co_u32 v31, vcc_lo, v23, s12
	v_add_co_ci_u32_e32 v32, vcc_lo, s13, v24, vcc_lo
	global_store_b8 v[31:32], v33, off
	s_or_b32 exec_lo, exec_lo, s5
	s_and_saveexec_b32 s2, s3
	s_cbranch_execz .LBB23_21
.LBB23_26:                              ;   in Loop: Header=BB23_4 Depth=1
	s_waitcnt vmcnt(0)
	v_mul_lo_u16 v31, v38, s14
	s_delay_alu instid0(VALU_DEP_1)
	v_mad_u16 v33, v31, v40, v36
	v_add_co_u32 v31, vcc_lo, v15, s12
	v_add_co_ci_u32_e32 v32, vcc_lo, s13, v16, vcc_lo
	global_store_b8 v[31:32], v33, off
	s_or_b32 exec_lo, exec_lo, s2
	s_and_saveexec_b32 s2, s4
	s_cbranch_execz .LBB23_3
.LBB23_27:                              ;   in Loop: Header=BB23_4 Depth=1
	s_waitcnt vmcnt(0)
	v_mul_lo_u16 v31, v41, s14
	s_delay_alu instid0(VALU_DEP_1)
	v_mad_u16 v33, v31, v42, v39
	v_add_co_u32 v31, vcc_lo, v7, s12
	v_add_co_ci_u32_e32 v32, vcc_lo, s13, v8, vcc_lo
	global_store_b8 v[31:32], v33, off
	s_branch .LBB23_3
.LBB23_28:
	s_mov_b32 s10, 0
.LBB23_29:
	s_delay_alu instid0(SALU_CYCLE_1)
	s_and_not1_b32 vcc_lo, exec_lo, s10
	s_cbranch_vccnz .LBB23_33
; %bb.30:
	v_dual_mov_b32 v1, 0 :: v_dual_lshlrev_b32 v0, 2, v0
	s_mov_b32 s2, exec_lo
	s_delay_alu instid0(VALU_DEP_1)
	v_cmpx_gt_i64_e64 s[8:9], v[0:1]
	s_cbranch_execz .LBB23_33
; %bb.31:
	s_load_b32 s0, s[0:1], 0xc5c
	s_mov_b32 s1, 0
	s_lshr_b32 s3, s20, 16
	s_waitcnt lgkmcnt(0)
	s_and_b32 s0, s0, 0xffff
	s_delay_alu instid0(SALU_CYCLE_1)
	s_lshl_b32 s2, s0, 2
.LBB23_32:                              ; =>This Inner Loop Header: Depth=1
	v_add_co_u32 v2, vcc_lo, s6, v0
	v_add_co_ci_u32_e32 v3, vcc_lo, s7, v1, vcc_lo
	v_add_co_u32 v4, vcc_lo, s16, v0
	v_add_co_ci_u32_e32 v5, vcc_lo, s17, v1, vcc_lo
	;; [unrolled: 2-line block ×3, first 2 shown]
	global_load_b32 v4, v[4:5], off
	global_load_b32 v5, v[2:3], off
	;; [unrolled: 1-line block ×3, first 2 shown]
	v_add_co_u32 v0, vcc_lo, s2, v0
	v_add_co_ci_u32_e32 v1, vcc_lo, 0, v1, vcc_lo
	s_delay_alu instid0(VALU_DEP_1) | instskip(SKIP_1) | instid1(VALU_DEP_1)
	v_cmp_le_i64_e32 vcc_lo, s[8:9], v[0:1]
	v_cmp_lt_u64_e64 s0, 0xffff, v[0:1]
	s_or_b32 s0, vcc_lo, s0
	s_delay_alu instid0(SALU_CYCLE_1) | instskip(NEXT) | instid1(SALU_CYCLE_1)
	s_and_b32 s0, exec_lo, s0
	s_or_b32 s1, s0, s1
	s_waitcnt vmcnt(2)
	v_lshrrev_b32_e32 v9, 8, v4
	v_lshrrev_b32_e32 v12, 16, v4
	v_mul_lo_u16 v7, v4, s3
	s_waitcnt vmcnt(1)
	v_lshrrev_b32_e32 v8, 8, v5
	s_waitcnt vmcnt(0)
	v_lshrrev_b32_e32 v10, 8, v6
	v_lshrrev_b32_e32 v11, 16, v5
	;; [unrolled: 1-line block ×4, first 2 shown]
	v_mul_lo_u16 v9, v9, s3
	v_mul_lo_u16 v12, v12, s3
	v_lshrrev_b32_e32 v14, 24, v5
	v_lshrrev_b32_e32 v15, 24, v6
	v_mul_lo_u16 v4, v4, s3
	v_mad_u16 v8, v9, v10, v8
	v_mad_u16 v9, v12, v13, v11
	;; [unrolled: 1-line block ×3, first 2 shown]
	s_delay_alu instid0(VALU_DEP_4) | instskip(NEXT) | instid1(VALU_DEP_4)
	v_mad_u16 v4, v4, v15, v14
	v_and_b32_e32 v6, 0xff, v8
	s_delay_alu instid0(VALU_DEP_4) | instskip(NEXT) | instid1(VALU_DEP_3)
	v_and_b32_e32 v7, 0xff, v9
	v_lshlrev_b32_e32 v4, 24, v4
	s_delay_alu instid0(VALU_DEP_3) | instskip(NEXT) | instid1(VALU_DEP_3)
	v_perm_b32 v5, v6, v5, 0x6050400
	v_lshlrev_b32_e32 v6, 16, v7
	s_delay_alu instid0(VALU_DEP_1)
	v_or3_b32 v4, v5, v6, v4
	global_store_b32 v[2:3], v4, off
	s_and_not1_b32 exec_lo, exec_lo, s1
	s_cbranch_execnz .LBB23_32
.LBB23_33:
	s_nop 0
	s_sendmsg sendmsg(MSG_DEALLOC_VGPRS)
	s_endpgm
	.section	.rodata,"a",@progbits
	.p2align	6, 0x0
	.amdhsa_kernel _ZN2at6native12_GLOBAL__N_125multi_tensor_apply_kernelINS1_18TensorListMetadataILi3EEENS1_24PointwiseOpScalarFunctorIaLi3ELi3ELi0EEEJSt10multipliesIaEaEEEvT_T0_DpT1_
		.amdhsa_group_segment_fixed_size 0
		.amdhsa_private_segment_fixed_size 0
		.amdhsa_kernarg_size 3408
		.amdhsa_user_sgpr_count 15
		.amdhsa_user_sgpr_dispatch_ptr 0
		.amdhsa_user_sgpr_queue_ptr 0
		.amdhsa_user_sgpr_kernarg_segment_ptr 1
		.amdhsa_user_sgpr_dispatch_id 0
		.amdhsa_user_sgpr_private_segment_size 0
		.amdhsa_wavefront_size32 1
		.amdhsa_uses_dynamic_stack 0
		.amdhsa_enable_private_segment 0
		.amdhsa_system_sgpr_workgroup_id_x 1
		.amdhsa_system_sgpr_workgroup_id_y 0
		.amdhsa_system_sgpr_workgroup_id_z 0
		.amdhsa_system_sgpr_workgroup_info 0
		.amdhsa_system_vgpr_workitem_id 0
		.amdhsa_next_free_vgpr 45
		.amdhsa_next_free_sgpr 27
		.amdhsa_reserve_vcc 1
		.amdhsa_float_round_mode_32 0
		.amdhsa_float_round_mode_16_64 0
		.amdhsa_float_denorm_mode_32 3
		.amdhsa_float_denorm_mode_16_64 3
		.amdhsa_dx10_clamp 1
		.amdhsa_ieee_mode 1
		.amdhsa_fp16_overflow 0
		.amdhsa_workgroup_processor_mode 1
		.amdhsa_memory_ordered 1
		.amdhsa_forward_progress 0
		.amdhsa_shared_vgpr_count 0
		.amdhsa_exception_fp_ieee_invalid_op 0
		.amdhsa_exception_fp_denorm_src 0
		.amdhsa_exception_fp_ieee_div_zero 0
		.amdhsa_exception_fp_ieee_overflow 0
		.amdhsa_exception_fp_ieee_underflow 0
		.amdhsa_exception_fp_ieee_inexact 0
		.amdhsa_exception_int_div_zero 0
	.end_amdhsa_kernel
	.section	.text._ZN2at6native12_GLOBAL__N_125multi_tensor_apply_kernelINS1_18TensorListMetadataILi3EEENS1_24PointwiseOpScalarFunctorIaLi3ELi3ELi0EEEJSt10multipliesIaEaEEEvT_T0_DpT1_,"axG",@progbits,_ZN2at6native12_GLOBAL__N_125multi_tensor_apply_kernelINS1_18TensorListMetadataILi3EEENS1_24PointwiseOpScalarFunctorIaLi3ELi3ELi0EEEJSt10multipliesIaEaEEEvT_T0_DpT1_,comdat
.Lfunc_end23:
	.size	_ZN2at6native12_GLOBAL__N_125multi_tensor_apply_kernelINS1_18TensorListMetadataILi3EEENS1_24PointwiseOpScalarFunctorIaLi3ELi3ELi0EEEJSt10multipliesIaEaEEEvT_T0_DpT1_, .Lfunc_end23-_ZN2at6native12_GLOBAL__N_125multi_tensor_apply_kernelINS1_18TensorListMetadataILi3EEENS1_24PointwiseOpScalarFunctorIaLi3ELi3ELi0EEEJSt10multipliesIaEaEEEvT_T0_DpT1_
                                        ; -- End function
	.section	.AMDGPU.csdata,"",@progbits
; Kernel info:
; codeLenInByte = 1924
; NumSgprs: 29
; NumVgprs: 45
; ScratchSize: 0
; MemoryBound: 0
; FloatMode: 240
; IeeeMode: 1
; LDSByteSize: 0 bytes/workgroup (compile time only)
; SGPRBlocks: 3
; VGPRBlocks: 5
; NumSGPRsForWavesPerEU: 29
; NumVGPRsForWavesPerEU: 45
; Occupancy: 16
; WaveLimiterHint : 0
; COMPUTE_PGM_RSRC2:SCRATCH_EN: 0
; COMPUTE_PGM_RSRC2:USER_SGPR: 15
; COMPUTE_PGM_RSRC2:TRAP_HANDLER: 0
; COMPUTE_PGM_RSRC2:TGID_X_EN: 1
; COMPUTE_PGM_RSRC2:TGID_Y_EN: 0
; COMPUTE_PGM_RSRC2:TGID_Z_EN: 0
; COMPUTE_PGM_RSRC2:TIDIG_COMP_CNT: 0
	.section	.text._ZN2at6native12_GLOBAL__N_125multi_tensor_apply_kernelINS1_18TensorListMetadataILi3EEENS1_24PointwiseOpScalarFunctorIiLi3ELi3ELi0EEEJSt10multipliesIiEiEEEvT_T0_DpT1_,"axG",@progbits,_ZN2at6native12_GLOBAL__N_125multi_tensor_apply_kernelINS1_18TensorListMetadataILi3EEENS1_24PointwiseOpScalarFunctorIiLi3ELi3ELi0EEEJSt10multipliesIiEiEEEvT_T0_DpT1_,comdat
	.globl	_ZN2at6native12_GLOBAL__N_125multi_tensor_apply_kernelINS1_18TensorListMetadataILi3EEENS1_24PointwiseOpScalarFunctorIiLi3ELi3ELi0EEEJSt10multipliesIiEiEEEvT_T0_DpT1_ ; -- Begin function _ZN2at6native12_GLOBAL__N_125multi_tensor_apply_kernelINS1_18TensorListMetadataILi3EEENS1_24PointwiseOpScalarFunctorIiLi3ELi3ELi0EEEJSt10multipliesIiEiEEEvT_T0_DpT1_
	.p2align	8
	.type	_ZN2at6native12_GLOBAL__N_125multi_tensor_apply_kernelINS1_18TensorListMetadataILi3EEENS1_24PointwiseOpScalarFunctorIiLi3ELi3ELi0EEEJSt10multipliesIiEiEEEvT_T0_DpT1_,@function
_ZN2at6native12_GLOBAL__N_125multi_tensor_apply_kernelINS1_18TensorListMetadataILi3EEENS1_24PointwiseOpScalarFunctorIiLi3ELi3ELi0EEEJSt10multipliesIiEiEEEvT_T0_DpT1_: ; @_ZN2at6native12_GLOBAL__N_125multi_tensor_apply_kernelINS1_18TensorListMetadataILi3EEENS1_24PointwiseOpScalarFunctorIiLi3ELi3ELi0EEEJSt10multipliesIiEiEEEvT_T0_DpT1_
; %bb.0:
	v_mov_b32_e32 v1, s15
	s_add_u32 s2, s0, s15
	s_mul_hi_u32 s3, s15, 3
	s_mul_i32 s15, s15, 3
	s_addc_u32 s4, s1, 0
	global_load_u8 v1, v1, s[0:1] offset:1536
	s_add_u32 s2, s2, s15
	s_addc_u32 s3, s4, s3
	s_mov_b32 s23, 0
	s_load_b32 s6, s[2:3], 0x740
	s_waitcnt vmcnt(0)
	v_readfirstlane_b32 s2, v1
	s_delay_alu instid0(VALU_DEP_1)
	s_lshl_b32 s7, s2, 3
	s_clause 0x3
	s_load_b64 s[2:3], s[0:1], s7 offset:0x0
	s_load_b64 s[4:5], s[0:1], s7 offset:0x180
	;; [unrolled: 1-line block ×4, first 2 shown]
	s_waitcnt lgkmcnt(0)
	s_ashr_i32 s7, s6, 31
	s_delay_alu instid0(SALU_CYCLE_1) | instskip(NEXT) | instid1(SALU_CYCLE_1)
	s_lshl_b64 s[8:9], s[6:7], 18
	s_add_u32 s14, s2, s8
	s_addc_u32 s15, s3, s9
	s_and_b32 s22, s14, 15
	s_add_u32 s16, s4, s8
	s_addc_u32 s17, s5, s9
	s_add_u32 s18, s12, s8
	s_addc_u32 s19, s13, s9
	s_or_b32 s20, s18, s16
	s_delay_alu instid0(SALU_CYCLE_1) | instskip(NEXT) | instid1(SALU_CYCLE_1)
	s_and_b32 s20, s20, 15
	s_cmp_eq_u32 s20, 0
	s_load_b32 s20, s[0:1], 0xc4c
	s_cselect_b32 s21, -1, 0
	s_lshl_b64 s[6:7], s[6:7], 16
	s_delay_alu instid0(SALU_CYCLE_1) | instskip(SKIP_3) | instid1(SALU_CYCLE_1)
	s_sub_u32 s6, s10, s6
	s_subb_u32 s7, s11, s7
	s_and_b32 s10, s10, 3
	s_mov_b32 s11, s23
	s_or_b64 s[10:11], s[22:23], s[10:11]
	s_delay_alu instid0(SALU_CYCLE_1) | instskip(SKIP_1) | instid1(SALU_CYCLE_1)
	s_cmp_eq_u64 s[10:11], 0
	s_cselect_b32 s10, -1, 0
	s_and_b32 s10, s21, s10
	s_delay_alu instid0(SALU_CYCLE_1)
	s_and_b32 vcc_lo, exec_lo, s10
	s_mov_b32 s10, -1
	s_cbranch_vccnz .LBB24_29
; %bb.1:
	v_cmp_lt_i64_e64 s10, s[6:7], 1
	s_delay_alu instid0(VALU_DEP_1)
	s_and_b32 vcc_lo, exec_lo, s10
	s_cbranch_vccnz .LBB24_28
; %bb.2:
	s_load_b32 s10, s[0:1], 0xc5c
	v_dual_mov_b32 v2, 0 :: v_dual_lshlrev_b32 v1, 2, v0
	v_cmp_gt_u64_e64 s11, 0x10000, s[6:7]
	s_delay_alu instid0(VALU_DEP_2) | instskip(NEXT) | instid1(VALU_DEP_1)
	v_add_co_u32 v5, s21, s2, v1
	v_add_co_ci_u32_e64 v6, null, s3, 0, s21
	v_add_co_u32 v7, s21, s4, v1
	s_delay_alu instid0(VALU_DEP_1)
	v_add_co_ci_u32_e64 v8, null, s5, 0, s21
	s_waitcnt lgkmcnt(0)
	s_and_b32 s22, s10, 0xffff
	v_add_co_u32 v9, s10, s12, v1
	v_mad_u64_u32 v[3:4], null, s22, 12, v[1:2]
	v_add_co_ci_u32_e64 v10, null, s13, 0, s10
	s_and_b32 s10, s11, exec_lo
	s_cselect_b32 s11, s7, 0
	s_cselect_b32 s10, s6, 0x10000
	s_lshl_b32 s24, s22, 3
	s_delay_alu instid0(VALU_DEP_2) | instskip(NEXT) | instid1(VALU_DEP_3)
	v_add_co_u32 v11, vcc_lo, s2, v3
	v_add_co_ci_u32_e32 v12, vcc_lo, s3, v4, vcc_lo
	v_add_co_u32 v13, vcc_lo, s4, v3
	v_add_co_u32 v1, s24, s24, v1
	v_add_co_ci_u32_e32 v14, vcc_lo, s5, v4, vcc_lo
	s_mul_i32 s23, s22, 3
	v_add_co_u32 v15, vcc_lo, s12, v3
	v_add_co_ci_u32_e64 v2, null, 0, 0, s24
	v_add_co_ci_u32_e32 v16, vcc_lo, s13, v4, vcc_lo
	v_add_co_u32 v17, s23, s23, v0
	v_add_co_u32 v19, vcc_lo, s2, v1
	v_add_co_ci_u32_e64 v18, null, 0, 0, s23
	v_add_co_u32 v23, s23, v0, s22
	v_add_co_ci_u32_e32 v20, vcc_lo, s3, v2, vcc_lo
	v_add_co_u32 v21, vcc_lo, s4, v1
	v_add_co_ci_u32_e32 v22, vcc_lo, s5, v2, vcc_lo
	v_add_co_u32 v24, vcc_lo, s12, v1
	v_lshlrev_b32_e32 v1, 2, v23
	s_lshl_b32 s21, s22, 1
	v_add_co_ci_u32_e32 v25, vcc_lo, s13, v2, vcc_lo
	v_add_co_u32 v27, s21, s21, v0
	s_delay_alu instid0(VALU_DEP_3) | instskip(NEXT) | instid1(VALU_DEP_1)
	v_add_co_u32 v29, s2, s2, v1
	v_add_co_ci_u32_e64 v30, null, s3, 0, s2
	v_add_co_u32 v31, s2, s4, v1
	s_delay_alu instid0(VALU_DEP_1)
	v_add_co_ci_u32_e64 v32, null, s5, 0, s2
	v_add_co_u32 v33, s2, s12, v1
	v_add_co_ci_u32_e64 v26, null, 0, 0, s23
	v_add_co_ci_u32_e64 v28, null, 0, 0, s21
	v_add_co_ci_u32_e64 v34, null, s13, 0, s2
	s_lshl_b32 s21, s22, 2
	s_lshl_b32 s22, s22, 4
	s_mov_b64 s[12:13], 0
	s_branch .LBB24_4
.LBB24_3:                               ;   in Loop: Header=BB24_4 Depth=1
	s_or_b32 exec_lo, exec_lo, s2
	v_add_co_u32 v5, vcc_lo, v5, s22
	v_add_co_ci_u32_e32 v6, vcc_lo, 0, v6, vcc_lo
	v_add_co_u32 v7, vcc_lo, v7, s22
	v_add_co_ci_u32_e32 v8, vcc_lo, 0, v8, vcc_lo
	;; [unrolled: 2-line block ×9, first 2 shown]
	s_add_u32 s12, s12, s21
	v_add_co_u32 v29, vcc_lo, v29, s22
	s_addc_u32 s13, s13, 0
	v_add_co_ci_u32_e32 v30, vcc_lo, 0, v30, vcc_lo
	v_cmp_lt_i64_e64 s2, s[12:13], s[6:7]
	v_cmp_gt_u64_e64 s3, 0x10000, s[12:13]
	v_add_co_u32 v31, vcc_lo, v31, s22
	v_add_co_ci_u32_e32 v32, vcc_lo, 0, v32, vcc_lo
	v_add_co_u32 v33, vcc_lo, v33, s22
	v_add_co_ci_u32_e32 v34, vcc_lo, 0, v34, vcc_lo
	s_and_b32 s2, s2, s3
	s_delay_alu instid0(SALU_CYCLE_1)
	s_and_b32 vcc_lo, exec_lo, s2
	s_cbranch_vccz .LBB24_28
.LBB24_4:                               ; =>This Inner Loop Header: Depth=1
	s_waitcnt vmcnt(1)
	v_add_co_u32 v1, s2, v0, s12
	s_delay_alu instid0(VALU_DEP_1) | instskip(SKIP_2) | instid1(VALU_DEP_2)
	v_add_co_ci_u32_e64 v2, null, 0, s13, s2
	s_waitcnt vmcnt(0)
	v_mov_b32_e32 v35, 0
	v_cmp_gt_u64_e32 vcc_lo, s[10:11], v[1:2]
	v_mov_b32_e32 v1, 0
	s_and_saveexec_b32 s3, vcc_lo
	s_cbranch_execz .LBB24_6
; %bb.5:                                ;   in Loop: Header=BB24_4 Depth=1
	v_add_co_u32 v1, s2, v5, s8
	s_delay_alu instid0(VALU_DEP_1) | instskip(SKIP_1) | instid1(VALU_DEP_1)
	v_add_co_ci_u32_e64 v2, s2, s9, v6, s2
	v_add_co_u32 v3, s2, v7, s8
	v_add_co_ci_u32_e64 v4, s2, s9, v8, s2
	global_load_b32 v1, v[1:2], off
	global_load_b32 v35, v[3:4], off
.LBB24_6:                               ;   in Loop: Header=BB24_4 Depth=1
	s_or_b32 exec_lo, exec_lo, s3
	v_mov_b32_e32 v2, 0
	v_mov_b32_e32 v36, 0
	s_and_saveexec_b32 s3, vcc_lo
	s_cbranch_execz .LBB24_8
; %bb.7:                                ;   in Loop: Header=BB24_4 Depth=1
	v_add_co_u32 v3, s2, v9, s8
	s_delay_alu instid0(VALU_DEP_1)
	v_add_co_ci_u32_e64 v4, s2, s9, v10, s2
	global_load_b32 v36, v[3:4], off
.LBB24_8:                               ;   in Loop: Header=BB24_4 Depth=1
	s_or_b32 exec_lo, exec_lo, s3
	v_add_co_u32 v3, s2, v23, s12
	s_delay_alu instid0(VALU_DEP_1) | instskip(SKIP_1) | instid1(VALU_DEP_2)
	v_add_co_ci_u32_e64 v4, s2, s13, v26, s2
	v_mov_b32_e32 v37, 0
	v_cmp_gt_u64_e64 s2, s[10:11], v[3:4]
	s_delay_alu instid0(VALU_DEP_1)
	s_and_saveexec_b32 s4, s2
	s_cbranch_execz .LBB24_10
; %bb.9:                                ;   in Loop: Header=BB24_4 Depth=1
	v_add_co_u32 v2, s3, v29, s8
	s_delay_alu instid0(VALU_DEP_1) | instskip(SKIP_1) | instid1(VALU_DEP_1)
	v_add_co_ci_u32_e64 v3, s3, s9, v30, s3
	v_add_co_u32 v37, s3, v31, s8
	v_add_co_ci_u32_e64 v38, s3, s9, v32, s3
	global_load_b32 v2, v[2:3], off
	global_load_b32 v37, v[37:38], off
.LBB24_10:                              ;   in Loop: Header=BB24_4 Depth=1
	s_or_b32 exec_lo, exec_lo, s4
	v_dual_mov_b32 v3, 0 :: v_dual_mov_b32 v38, 0
	s_and_saveexec_b32 s4, s2
	s_cbranch_execz .LBB24_12
; %bb.11:                               ;   in Loop: Header=BB24_4 Depth=1
	v_add_co_u32 v38, s3, v33, s8
	s_delay_alu instid0(VALU_DEP_1)
	v_add_co_ci_u32_e64 v39, s3, s9, v34, s3
	global_load_b32 v38, v[38:39], off
.LBB24_12:                              ;   in Loop: Header=BB24_4 Depth=1
	s_or_b32 exec_lo, exec_lo, s4
	v_add_co_u32 v39, s3, v27, s12
	s_delay_alu instid0(VALU_DEP_1) | instskip(NEXT) | instid1(VALU_DEP_1)
	v_add_co_ci_u32_e64 v40, s3, s13, v28, s3
	v_cmp_gt_u64_e64 s3, s[10:11], v[39:40]
	v_mov_b32_e32 v39, 0
	s_delay_alu instid0(VALU_DEP_2)
	s_and_saveexec_b32 s5, s3
	s_cbranch_execz .LBB24_14
; %bb.13:                               ;   in Loop: Header=BB24_4 Depth=1
	v_add_co_u32 v3, s4, v19, s8
	s_delay_alu instid0(VALU_DEP_1) | instskip(SKIP_1) | instid1(VALU_DEP_1)
	v_add_co_ci_u32_e64 v4, s4, s9, v20, s4
	v_add_co_u32 v39, s4, v21, s8
	v_add_co_ci_u32_e64 v40, s4, s9, v22, s4
	global_load_b32 v3, v[3:4], off
	global_load_b32 v39, v[39:40], off
.LBB24_14:                              ;   in Loop: Header=BB24_4 Depth=1
	s_or_b32 exec_lo, exec_lo, s5
	v_mov_b32_e32 v4, 0
	v_mov_b32_e32 v40, 0
	s_and_saveexec_b32 s5, s3
	s_cbranch_execz .LBB24_16
; %bb.15:                               ;   in Loop: Header=BB24_4 Depth=1
	v_add_co_u32 v40, s4, v24, s8
	s_delay_alu instid0(VALU_DEP_1)
	v_add_co_ci_u32_e64 v41, s4, s9, v25, s4
	global_load_b32 v40, v[40:41], off
.LBB24_16:                              ;   in Loop: Header=BB24_4 Depth=1
	s_or_b32 exec_lo, exec_lo, s5
	v_add_co_u32 v41, s4, v17, s12
	s_delay_alu instid0(VALU_DEP_1) | instskip(NEXT) | instid1(VALU_DEP_1)
	v_add_co_ci_u32_e64 v42, s4, s13, v18, s4
	v_cmp_gt_u64_e64 s4, s[10:11], v[41:42]
	v_mov_b32_e32 v41, 0
	s_delay_alu instid0(VALU_DEP_2)
	s_and_saveexec_b32 s23, s4
	s_cbranch_execnz .LBB24_22
; %bb.17:                               ;   in Loop: Header=BB24_4 Depth=1
	s_or_b32 exec_lo, exec_lo, s23
	v_mov_b32_e32 v42, 0
	s_and_saveexec_b32 s23, s4
	s_cbranch_execnz .LBB24_23
.LBB24_18:                              ;   in Loop: Header=BB24_4 Depth=1
	s_or_b32 exec_lo, exec_lo, s23
	s_and_saveexec_b32 s5, vcc_lo
	s_cbranch_execnz .LBB24_24
.LBB24_19:                              ;   in Loop: Header=BB24_4 Depth=1
	s_or_b32 exec_lo, exec_lo, s5
	s_and_saveexec_b32 s5, s2
	s_cbranch_execnz .LBB24_25
.LBB24_20:                              ;   in Loop: Header=BB24_4 Depth=1
	s_or_b32 exec_lo, exec_lo, s5
	s_and_saveexec_b32 s2, s3
	s_cbranch_execnz .LBB24_26
.LBB24_21:                              ;   in Loop: Header=BB24_4 Depth=1
	s_or_b32 exec_lo, exec_lo, s2
	s_and_saveexec_b32 s2, s4
	s_cbranch_execz .LBB24_3
	s_branch .LBB24_27
.LBB24_22:                              ;   in Loop: Header=BB24_4 Depth=1
	v_add_co_u32 v41, s5, v11, s8
	s_delay_alu instid0(VALU_DEP_1) | instskip(SKIP_1) | instid1(VALU_DEP_1)
	v_add_co_ci_u32_e64 v42, s5, s9, v12, s5
	v_add_co_u32 v43, s5, v13, s8
	v_add_co_ci_u32_e64 v44, s5, s9, v14, s5
	global_load_b32 v4, v[41:42], off
	global_load_b32 v41, v[43:44], off
	s_or_b32 exec_lo, exec_lo, s23
	v_mov_b32_e32 v42, 0
	s_and_saveexec_b32 s23, s4
	s_cbranch_execz .LBB24_18
.LBB24_23:                              ;   in Loop: Header=BB24_4 Depth=1
	v_add_co_u32 v42, s5, v15, s8
	s_delay_alu instid0(VALU_DEP_1)
	v_add_co_ci_u32_e64 v43, s5, s9, v16, s5
	global_load_b32 v42, v[42:43], off
	s_or_b32 exec_lo, exec_lo, s23
	s_and_saveexec_b32 s5, vcc_lo
	s_cbranch_execz .LBB24_19
.LBB24_24:                              ;   in Loop: Header=BB24_4 Depth=1
	s_waitcnt vmcnt(0)
	v_mul_lo_u32 v35, v35, s20
	s_delay_alu instid0(VALU_DEP_1)
	v_mad_u64_u32 v[43:44], null, v35, v36, v[1:2]
	v_add_co_u32 v35, vcc_lo, v5, s8
	v_add_co_ci_u32_e32 v36, vcc_lo, s9, v6, vcc_lo
	global_store_b32 v[35:36], v43, off
	s_or_b32 exec_lo, exec_lo, s5
	s_and_saveexec_b32 s5, s2
	s_cbranch_execz .LBB24_20
.LBB24_25:                              ;   in Loop: Header=BB24_4 Depth=1
	s_waitcnt vmcnt(0)
	v_mul_lo_u32 v1, v37, s20
	s_delay_alu instid0(VALU_DEP_1)
	v_mad_u64_u32 v[35:36], null, v1, v38, v[2:3]
	v_add_co_u32 v1, vcc_lo, v29, s8
	v_add_co_ci_u32_e32 v2, vcc_lo, s9, v30, vcc_lo
	global_store_b32 v[1:2], v35, off
	s_or_b32 exec_lo, exec_lo, s5
	s_and_saveexec_b32 s2, s3
	s_cbranch_execz .LBB24_21
.LBB24_26:                              ;   in Loop: Header=BB24_4 Depth=1
	s_waitcnt vmcnt(0)
	v_mul_lo_u32 v35, v39, s20
	s_delay_alu instid0(VALU_DEP_1)
	v_mad_u64_u32 v[1:2], null, v35, v40, v[3:4]
	v_add_co_u32 v2, vcc_lo, v19, s8
	v_add_co_ci_u32_e32 v3, vcc_lo, s9, v20, vcc_lo
	global_store_b32 v[2:3], v1, off
	s_or_b32 exec_lo, exec_lo, s2
	s_and_saveexec_b32 s2, s4
	s_cbranch_execz .LBB24_3
.LBB24_27:                              ;   in Loop: Header=BB24_4 Depth=1
	s_waitcnt vmcnt(0)
	v_mul_lo_u32 v3, v41, s20
	s_delay_alu instid0(VALU_DEP_1)
	v_mad_u64_u32 v[1:2], null, v3, v42, v[4:5]
	v_add_co_u32 v2, vcc_lo, v11, s8
	v_add_co_ci_u32_e32 v3, vcc_lo, s9, v12, vcc_lo
	global_store_b32 v[2:3], v1, off
	s_branch .LBB24_3
.LBB24_28:
	s_mov_b32 s10, 0
.LBB24_29:
	s_delay_alu instid0(SALU_CYCLE_1)
	s_and_not1_b32 vcc_lo, exec_lo, s10
	s_cbranch_vccnz .LBB24_33
; %bb.30:
	s_waitcnt vmcnt(1)
	v_dual_mov_b32 v2, 0 :: v_dual_lshlrev_b32 v1, 2, v0
	s_mov_b32 s2, 0
	s_mov_b32 s3, exec_lo
	s_delay_alu instid0(VALU_DEP_1)
	v_cmpx_gt_i64_e64 s[6:7], v[1:2]
	s_cbranch_execz .LBB24_33
; %bb.31:
	s_load_b32 s0, s[0:1], 0xc5c
	s_waitcnt lgkmcnt(0)
	s_and_b32 s0, s0, 0xffff
	s_delay_alu instid0(SALU_CYCLE_1)
	v_add_lshl_u32 v1, v0, s0, 2
	v_lshlrev_b32_e32 v0, 4, v0
	s_lshl_b32 s3, s0, 2
	s_lshl_b32 s4, s0, 4
.LBB24_32:                              ; =>This Inner Loop Header: Depth=1
	s_delay_alu instid0(VALU_DEP_1) | instskip(NEXT) | instid1(VALU_DEP_1)
	v_add_co_u32 v3, s0, s16, v0
	v_add_co_ci_u32_e64 v4, null, s17, 0, s0
	v_add_co_u32 v15, s0, s14, v0
	s_delay_alu instid0(VALU_DEP_1)
	v_add_co_ci_u32_e64 v16, null, s15, 0, s0
	v_add_co_u32 v11, s0, s18, v0
	global_load_b128 v[3:6], v[3:4], off
	v_add_co_ci_u32_e64 v12, null, s19, 0, s0
	global_load_b128 v[7:10], v[15:16], off
	global_load_b128 v[11:14], v[11:12], off
	v_cmp_le_i64_e32 vcc_lo, s[6:7], v[1:2]
	v_cmp_lt_u64_e64 s0, 0xffff, v[1:2]
	v_add_co_u32 v1, s1, v1, s3
	s_delay_alu instid0(VALU_DEP_1) | instskip(NEXT) | instid1(VALU_DEP_3)
	v_add_co_ci_u32_e64 v2, s1, 0, v2, s1
	s_or_b32 s0, vcc_lo, s0
	s_add_u32 s14, s14, s4
	s_addc_u32 s15, s15, 0
	s_add_u32 s18, s18, s4
	s_addc_u32 s19, s19, 0
	;; [unrolled: 2-line block ×3, first 2 shown]
	s_and_b32 s0, exec_lo, s0
	s_delay_alu instid0(SALU_CYCLE_1)
	s_or_b32 s2, s0, s2
	s_waitcnt vmcnt(2)
	v_mul_lo_u32 v6, v6, s20
	v_mul_lo_u32 v19, v3, s20
	;; [unrolled: 1-line block ×4, first 2 shown]
	s_waitcnt vmcnt(1)
	v_mov_b32_e32 v3, v10
	s_waitcnt vmcnt(0)
	s_delay_alu instid0(VALU_DEP_1) | instskip(SKIP_3) | instid1(VALU_DEP_4)
	v_mad_u64_u32 v[17:18], null, v6, v14, v[3:4]
	v_mad_u64_u32 v[3:4], null, v19, v11, v[7:8]
	;; [unrolled: 1-line block ×4, first 2 shown]
	v_mov_b32_e32 v6, v17
	global_store_b128 v[15:16], v[3:6], off
	s_and_not1_b32 exec_lo, exec_lo, s2
	s_cbranch_execnz .LBB24_32
.LBB24_33:
	s_nop 0
	s_sendmsg sendmsg(MSG_DEALLOC_VGPRS)
	s_endpgm
	.section	.rodata,"a",@progbits
	.p2align	6, 0x0
	.amdhsa_kernel _ZN2at6native12_GLOBAL__N_125multi_tensor_apply_kernelINS1_18TensorListMetadataILi3EEENS1_24PointwiseOpScalarFunctorIiLi3ELi3ELi0EEEJSt10multipliesIiEiEEEvT_T0_DpT1_
		.amdhsa_group_segment_fixed_size 0
		.amdhsa_private_segment_fixed_size 0
		.amdhsa_kernarg_size 3408
		.amdhsa_user_sgpr_count 15
		.amdhsa_user_sgpr_dispatch_ptr 0
		.amdhsa_user_sgpr_queue_ptr 0
		.amdhsa_user_sgpr_kernarg_segment_ptr 1
		.amdhsa_user_sgpr_dispatch_id 0
		.amdhsa_user_sgpr_private_segment_size 0
		.amdhsa_wavefront_size32 1
		.amdhsa_uses_dynamic_stack 0
		.amdhsa_enable_private_segment 0
		.amdhsa_system_sgpr_workgroup_id_x 1
		.amdhsa_system_sgpr_workgroup_id_y 0
		.amdhsa_system_sgpr_workgroup_id_z 0
		.amdhsa_system_sgpr_workgroup_info 0
		.amdhsa_system_vgpr_workitem_id 0
		.amdhsa_next_free_vgpr 45
		.amdhsa_next_free_sgpr 25
		.amdhsa_reserve_vcc 1
		.amdhsa_float_round_mode_32 0
		.amdhsa_float_round_mode_16_64 0
		.amdhsa_float_denorm_mode_32 3
		.amdhsa_float_denorm_mode_16_64 3
		.amdhsa_dx10_clamp 1
		.amdhsa_ieee_mode 1
		.amdhsa_fp16_overflow 0
		.amdhsa_workgroup_processor_mode 1
		.amdhsa_memory_ordered 1
		.amdhsa_forward_progress 0
		.amdhsa_shared_vgpr_count 0
		.amdhsa_exception_fp_ieee_invalid_op 0
		.amdhsa_exception_fp_denorm_src 0
		.amdhsa_exception_fp_ieee_div_zero 0
		.amdhsa_exception_fp_ieee_overflow 0
		.amdhsa_exception_fp_ieee_underflow 0
		.amdhsa_exception_fp_ieee_inexact 0
		.amdhsa_exception_int_div_zero 0
	.end_amdhsa_kernel
	.section	.text._ZN2at6native12_GLOBAL__N_125multi_tensor_apply_kernelINS1_18TensorListMetadataILi3EEENS1_24PointwiseOpScalarFunctorIiLi3ELi3ELi0EEEJSt10multipliesIiEiEEEvT_T0_DpT1_,"axG",@progbits,_ZN2at6native12_GLOBAL__N_125multi_tensor_apply_kernelINS1_18TensorListMetadataILi3EEENS1_24PointwiseOpScalarFunctorIiLi3ELi3ELi0EEEJSt10multipliesIiEiEEEvT_T0_DpT1_,comdat
.Lfunc_end24:
	.size	_ZN2at6native12_GLOBAL__N_125multi_tensor_apply_kernelINS1_18TensorListMetadataILi3EEENS1_24PointwiseOpScalarFunctorIiLi3ELi3ELi0EEEJSt10multipliesIiEiEEEvT_T0_DpT1_, .Lfunc_end24-_ZN2at6native12_GLOBAL__N_125multi_tensor_apply_kernelINS1_18TensorListMetadataILi3EEENS1_24PointwiseOpScalarFunctorIiLi3ELi3ELi0EEEJSt10multipliesIiEiEEEvT_T0_DpT1_
                                        ; -- End function
	.section	.AMDGPU.csdata,"",@progbits
; Kernel info:
; codeLenInByte = 2044
; NumSgprs: 27
; NumVgprs: 45
; ScratchSize: 0
; MemoryBound: 0
; FloatMode: 240
; IeeeMode: 1
; LDSByteSize: 0 bytes/workgroup (compile time only)
; SGPRBlocks: 3
; VGPRBlocks: 5
; NumSGPRsForWavesPerEU: 27
; NumVGPRsForWavesPerEU: 45
; Occupancy: 16
; WaveLimiterHint : 0
; COMPUTE_PGM_RSRC2:SCRATCH_EN: 0
; COMPUTE_PGM_RSRC2:USER_SGPR: 15
; COMPUTE_PGM_RSRC2:TRAP_HANDLER: 0
; COMPUTE_PGM_RSRC2:TGID_X_EN: 1
; COMPUTE_PGM_RSRC2:TGID_Y_EN: 0
; COMPUTE_PGM_RSRC2:TGID_Z_EN: 0
; COMPUTE_PGM_RSRC2:TIDIG_COMP_CNT: 0
	.section	.text._ZN2at6native12_GLOBAL__N_125multi_tensor_apply_kernelINS1_18TensorListMetadataILi3EEENS1_24PointwiseOpScalarFunctorIlLi3ELi3ELi0EEEJSt10multipliesIlElEEEvT_T0_DpT1_,"axG",@progbits,_ZN2at6native12_GLOBAL__N_125multi_tensor_apply_kernelINS1_18TensorListMetadataILi3EEENS1_24PointwiseOpScalarFunctorIlLi3ELi3ELi0EEEJSt10multipliesIlElEEEvT_T0_DpT1_,comdat
	.globl	_ZN2at6native12_GLOBAL__N_125multi_tensor_apply_kernelINS1_18TensorListMetadataILi3EEENS1_24PointwiseOpScalarFunctorIlLi3ELi3ELi0EEEJSt10multipliesIlElEEEvT_T0_DpT1_ ; -- Begin function _ZN2at6native12_GLOBAL__N_125multi_tensor_apply_kernelINS1_18TensorListMetadataILi3EEENS1_24PointwiseOpScalarFunctorIlLi3ELi3ELi0EEEJSt10multipliesIlElEEEvT_T0_DpT1_
	.p2align	8
	.type	_ZN2at6native12_GLOBAL__N_125multi_tensor_apply_kernelINS1_18TensorListMetadataILi3EEENS1_24PointwiseOpScalarFunctorIlLi3ELi3ELi0EEEJSt10multipliesIlElEEEvT_T0_DpT1_,@function
_ZN2at6native12_GLOBAL__N_125multi_tensor_apply_kernelINS1_18TensorListMetadataILi3EEENS1_24PointwiseOpScalarFunctorIlLi3ELi3ELi0EEEJSt10multipliesIlElEEEvT_T0_DpT1_: ; @_ZN2at6native12_GLOBAL__N_125multi_tensor_apply_kernelINS1_18TensorListMetadataILi3EEENS1_24PointwiseOpScalarFunctorIlLi3ELi3ELi0EEEJSt10multipliesIlElEEEvT_T0_DpT1_
; %bb.0:
	v_mov_b32_e32 v1, s15
	s_add_u32 s2, s0, s15
	s_mul_hi_u32 s3, s15, 3
	s_mul_i32 s15, s15, 3
	s_addc_u32 s4, s1, 0
	global_load_u8 v1, v1, s[0:1] offset:1536
	s_add_u32 s2, s2, s15
	s_addc_u32 s3, s4, s3
	s_mov_b32 s23, 0
	s_load_b32 s8, s[2:3], 0x740
	s_waitcnt lgkmcnt(0)
	s_ashr_i32 s9, s8, 31
	s_delay_alu instid0(SALU_CYCLE_1) | instskip(SKIP_2) | instid1(VALU_DEP_1)
	s_lshl_b64 s[10:11], s[8:9], 19
	s_waitcnt vmcnt(0)
	v_readfirstlane_b32 s2, v1
	s_lshl_b32 s6, s2, 3
	s_clause 0x3
	s_load_b64 s[2:3], s[0:1], s6 offset:0x0
	s_load_b64 s[4:5], s[0:1], s6 offset:0x180
	;; [unrolled: 1-line block ×4, first 2 shown]
	s_waitcnt lgkmcnt(0)
	s_add_u32 s16, s2, s10
	s_addc_u32 s17, s3, s11
	s_and_b32 s22, s16, 31
	s_add_u32 s18, s4, s10
	s_addc_u32 s19, s5, s11
	s_add_u32 s20, s14, s10
	s_addc_u32 s21, s15, s11
	s_or_b32 s6, s20, s18
	s_delay_alu instid0(SALU_CYCLE_1) | instskip(NEXT) | instid1(SALU_CYCLE_1)
	s_and_b32 s6, s6, 31
	s_cmp_eq_u32 s6, 0
	s_load_b64 s[6:7], s[0:1], 0xc50
	s_cselect_b32 s24, -1, 0
	s_lshl_b64 s[8:9], s[8:9], 16
	s_delay_alu instid0(SALU_CYCLE_1) | instskip(SKIP_3) | instid1(SALU_CYCLE_1)
	s_sub_u32 s8, s12, s8
	s_subb_u32 s9, s13, s9
	s_and_b32 s12, s12, 3
	s_mov_b32 s13, s23
	s_or_b64 s[12:13], s[22:23], s[12:13]
	s_delay_alu instid0(SALU_CYCLE_1) | instskip(SKIP_1) | instid1(SALU_CYCLE_1)
	s_cmp_eq_u64 s[12:13], 0
	s_cselect_b32 s12, -1, 0
	s_and_b32 s12, s24, s12
	s_delay_alu instid0(SALU_CYCLE_1)
	s_and_b32 vcc_lo, exec_lo, s12
	s_mov_b32 s12, -1
	s_cbranch_vccnz .LBB25_29
; %bb.1:
	v_cmp_lt_i64_e64 s12, s[8:9], 1
	s_delay_alu instid0(VALU_DEP_1)
	s_and_b32 vcc_lo, exec_lo, s12
	s_cbranch_vccnz .LBB25_28
; %bb.2:
	s_load_b32 s12, s[0:1], 0xc64
	v_dual_mov_b32 v2, 0 :: v_dual_lshlrev_b32 v1, 3, v0
	v_cmp_gt_u64_e64 s13, 0x10000, s[8:9]
	s_delay_alu instid0(VALU_DEP_2) | instskip(NEXT) | instid1(VALU_DEP_1)
	v_add_co_u32 v25, s22, s2, v1
	v_add_co_ci_u32_e64 v26, null, s3, 0, s22
	v_add_co_u32 v27, s22, s4, v1
	s_delay_alu instid0(VALU_DEP_1)
	v_add_co_ci_u32_e64 v28, null, s5, 0, s22
	s_waitcnt lgkmcnt(0)
	s_and_b32 s23, s12, 0xffff
	v_add_co_u32 v29, s12, s14, v1
	v_mad_u64_u32 v[3:4], null, s23, 24, v[1:2]
	v_add_co_ci_u32_e64 v30, null, s15, 0, s12
	s_and_b32 s12, s13, exec_lo
	s_cselect_b32 s13, s9, 0
	s_cselect_b32 s12, s8, 0x10000
	s_lshl_b32 s25, s23, 4
	s_delay_alu instid0(VALU_DEP_2) | instskip(NEXT) | instid1(VALU_DEP_3)
	v_add_co_u32 v31, vcc_lo, s2, v3
	v_add_co_ci_u32_e32 v32, vcc_lo, s3, v4, vcc_lo
	v_add_co_u32 v33, vcc_lo, s4, v3
	v_add_co_u32 v1, s25, s25, v1
	v_add_co_ci_u32_e32 v34, vcc_lo, s5, v4, vcc_lo
	s_mul_i32 s24, s23, 3
	v_add_co_u32 v35, vcc_lo, s14, v3
	v_add_co_ci_u32_e64 v2, null, 0, 0, s25
	v_add_co_ci_u32_e32 v36, vcc_lo, s15, v4, vcc_lo
	v_add_co_u32 v37, s24, s24, v0
	v_add_co_u32 v39, vcc_lo, s2, v1
	v_add_co_ci_u32_e64 v38, null, 0, 0, s24
	v_add_co_u32 v43, s24, v0, s23
	v_add_co_ci_u32_e32 v40, vcc_lo, s3, v2, vcc_lo
	v_add_co_u32 v41, vcc_lo, s4, v1
	v_add_co_ci_u32_e32 v42, vcc_lo, s5, v2, vcc_lo
	v_add_co_u32 v44, vcc_lo, s14, v1
	v_lshlrev_b32_e32 v1, 3, v43
	s_lshl_b32 s22, s23, 1
	v_add_co_ci_u32_e32 v45, vcc_lo, s15, v2, vcc_lo
	v_add_co_u32 v47, s22, s22, v0
	s_delay_alu instid0(VALU_DEP_3) | instskip(NEXT) | instid1(VALU_DEP_1)
	v_add_co_u32 v49, s2, s2, v1
	v_add_co_ci_u32_e64 v50, null, s3, 0, s2
	v_add_co_u32 v51, s2, s4, v1
	s_delay_alu instid0(VALU_DEP_1)
	v_add_co_ci_u32_e64 v52, null, s5, 0, s2
	v_add_co_u32 v53, s2, s14, v1
	v_add_co_ci_u32_e64 v46, null, 0, 0, s24
	v_add_co_ci_u32_e64 v48, null, 0, 0, s22
	;; [unrolled: 1-line block ×3, first 2 shown]
	s_lshl_b32 s22, s23, 2
	s_lshl_b32 s23, s23, 5
	s_mov_b64 s[14:15], 0
	s_branch .LBB25_4
.LBB25_3:                               ;   in Loop: Header=BB25_4 Depth=1
	s_or_b32 exec_lo, exec_lo, s2
	v_add_co_u32 v25, vcc_lo, v25, s23
	v_add_co_ci_u32_e32 v26, vcc_lo, 0, v26, vcc_lo
	v_add_co_u32 v27, vcc_lo, v27, s23
	v_add_co_ci_u32_e32 v28, vcc_lo, 0, v28, vcc_lo
	;; [unrolled: 2-line block ×9, first 2 shown]
	s_add_u32 s14, s14, s22
	v_add_co_u32 v49, vcc_lo, v49, s23
	s_addc_u32 s15, s15, 0
	v_add_co_ci_u32_e32 v50, vcc_lo, 0, v50, vcc_lo
	v_cmp_lt_i64_e64 s2, s[14:15], s[8:9]
	v_cmp_gt_u64_e64 s3, 0x10000, s[14:15]
	v_add_co_u32 v51, vcc_lo, v51, s23
	v_add_co_ci_u32_e32 v52, vcc_lo, 0, v52, vcc_lo
	v_add_co_u32 v53, vcc_lo, v53, s23
	v_add_co_ci_u32_e32 v54, vcc_lo, 0, v54, vcc_lo
	s_and_b32 s2, s2, s3
	s_delay_alu instid0(SALU_CYCLE_1)
	s_and_b32 vcc_lo, exec_lo, s2
	s_cbranch_vccz .LBB25_28
.LBB25_4:                               ; =>This Inner Loop Header: Depth=1
	s_waitcnt vmcnt(1)
	v_add_co_u32 v3, s2, v0, s14
	s_delay_alu instid0(VALU_DEP_1) | instskip(SKIP_3) | instid1(VALU_DEP_3)
	v_add_co_ci_u32_e64 v4, null, 0, s15, s2
	s_waitcnt vmcnt(0)
	v_mov_b32_e32 v1, 0
	v_mov_b32_e32 v2, 0
	v_cmp_gt_u64_e32 vcc_lo, s[12:13], v[3:4]
	s_delay_alu instid0(VALU_DEP_2)
	v_dual_mov_b32 v4, v2 :: v_dual_mov_b32 v3, v1
	v_dual_mov_b32 v6, v2 :: v_dual_mov_b32 v5, v1
	s_and_saveexec_b32 s3, vcc_lo
	s_cbranch_execz .LBB25_6
; %bb.5:                                ;   in Loop: Header=BB25_4 Depth=1
	v_add_co_u32 v3, s2, v25, s10
	s_delay_alu instid0(VALU_DEP_1) | instskip(SKIP_1) | instid1(VALU_DEP_1)
	v_add_co_ci_u32_e64 v4, s2, s11, v26, s2
	v_add_co_u32 v5, s2, v27, s10
	v_add_co_ci_u32_e64 v6, s2, s11, v28, s2
	global_load_b64 v[3:4], v[3:4], off
	global_load_b64 v[5:6], v[5:6], off
.LBB25_6:                               ;   in Loop: Header=BB25_4 Depth=1
	s_or_b32 exec_lo, exec_lo, s3
	s_and_saveexec_b32 s3, vcc_lo
	s_cbranch_execz .LBB25_8
; %bb.7:                                ;   in Loop: Header=BB25_4 Depth=1
	v_add_co_u32 v1, s2, v29, s10
	s_delay_alu instid0(VALU_DEP_1)
	v_add_co_ci_u32_e64 v2, s2, s11, v30, s2
	global_load_b64 v[1:2], v[1:2], off
.LBB25_8:                               ;   in Loop: Header=BB25_4 Depth=1
	s_or_b32 exec_lo, exec_lo, s3
	v_add_co_u32 v9, s2, v43, s14
	s_delay_alu instid0(VALU_DEP_1) | instskip(SKIP_2) | instid1(VALU_DEP_3)
	v_add_co_ci_u32_e64 v10, s2, s15, v46, s2
	v_mov_b32_e32 v7, 0
	v_mov_b32_e32 v8, 0
	v_cmp_gt_u64_e64 s2, s[12:13], v[9:10]
	s_delay_alu instid0(VALU_DEP_2) | instskip(SKIP_1) | instid1(VALU_DEP_3)
	v_dual_mov_b32 v10, v8 :: v_dual_mov_b32 v9, v7
	v_dual_mov_b32 v12, v8 :: v_dual_mov_b32 v11, v7
	s_and_saveexec_b32 s4, s2
	s_cbranch_execz .LBB25_10
; %bb.9:                                ;   in Loop: Header=BB25_4 Depth=1
	v_add_co_u32 v9, s3, v49, s10
	s_delay_alu instid0(VALU_DEP_1) | instskip(SKIP_1) | instid1(VALU_DEP_1)
	v_add_co_ci_u32_e64 v10, s3, s11, v50, s3
	v_add_co_u32 v11, s3, v51, s10
	v_add_co_ci_u32_e64 v12, s3, s11, v52, s3
	global_load_b64 v[9:10], v[9:10], off
	global_load_b64 v[11:12], v[11:12], off
.LBB25_10:                              ;   in Loop: Header=BB25_4 Depth=1
	s_or_b32 exec_lo, exec_lo, s4
	s_and_saveexec_b32 s4, s2
	s_cbranch_execz .LBB25_12
; %bb.11:                               ;   in Loop: Header=BB25_4 Depth=1
	v_add_co_u32 v7, s3, v53, s10
	s_delay_alu instid0(VALU_DEP_1)
	v_add_co_ci_u32_e64 v8, s3, s11, v54, s3
	global_load_b64 v[7:8], v[7:8], off
.LBB25_12:                              ;   in Loop: Header=BB25_4 Depth=1
	s_or_b32 exec_lo, exec_lo, s4
	v_add_co_u32 v15, s3, v47, s14
	s_delay_alu instid0(VALU_DEP_1) | instskip(SKIP_2) | instid1(VALU_DEP_3)
	v_add_co_ci_u32_e64 v16, s3, s15, v48, s3
	v_mov_b32_e32 v13, 0
	v_mov_b32_e32 v14, 0
	v_cmp_gt_u64_e64 s3, s[12:13], v[15:16]
	s_delay_alu instid0(VALU_DEP_2) | instskip(SKIP_1) | instid1(VALU_DEP_3)
	v_dual_mov_b32 v16, v14 :: v_dual_mov_b32 v15, v13
	v_dual_mov_b32 v18, v14 :: v_dual_mov_b32 v17, v13
	s_and_saveexec_b32 s5, s3
	s_cbranch_execz .LBB25_14
; %bb.13:                               ;   in Loop: Header=BB25_4 Depth=1
	v_add_co_u32 v15, s4, v39, s10
	s_delay_alu instid0(VALU_DEP_1) | instskip(SKIP_1) | instid1(VALU_DEP_1)
	v_add_co_ci_u32_e64 v16, s4, s11, v40, s4
	v_add_co_u32 v17, s4, v41, s10
	v_add_co_ci_u32_e64 v18, s4, s11, v42, s4
	global_load_b64 v[15:16], v[15:16], off
	global_load_b64 v[17:18], v[17:18], off
.LBB25_14:                              ;   in Loop: Header=BB25_4 Depth=1
	s_or_b32 exec_lo, exec_lo, s5
	s_and_saveexec_b32 s5, s3
	s_cbranch_execz .LBB25_16
; %bb.15:                               ;   in Loop: Header=BB25_4 Depth=1
	v_add_co_u32 v13, s4, v44, s10
	s_delay_alu instid0(VALU_DEP_1)
	v_add_co_ci_u32_e64 v14, s4, s11, v45, s4
	global_load_b64 v[13:14], v[13:14], off
.LBB25_16:                              ;   in Loop: Header=BB25_4 Depth=1
	s_or_b32 exec_lo, exec_lo, s5
	v_add_co_u32 v21, s4, v37, s14
	s_delay_alu instid0(VALU_DEP_1) | instskip(SKIP_2) | instid1(VALU_DEP_3)
	v_add_co_ci_u32_e64 v22, s4, s15, v38, s4
	v_mov_b32_e32 v19, 0
	v_mov_b32_e32 v20, 0
	v_cmp_gt_u64_e64 s4, s[12:13], v[21:22]
	s_delay_alu instid0(VALU_DEP_2) | instskip(SKIP_1) | instid1(VALU_DEP_3)
	v_dual_mov_b32 v22, v20 :: v_dual_mov_b32 v21, v19
	v_dual_mov_b32 v24, v20 :: v_dual_mov_b32 v23, v19
	s_and_saveexec_b32 s24, s4
	s_cbranch_execnz .LBB25_22
; %bb.17:                               ;   in Loop: Header=BB25_4 Depth=1
	s_or_b32 exec_lo, exec_lo, s24
	s_and_saveexec_b32 s24, s4
	s_cbranch_execnz .LBB25_23
.LBB25_18:                              ;   in Loop: Header=BB25_4 Depth=1
	s_or_b32 exec_lo, exec_lo, s24
	s_and_saveexec_b32 s5, vcc_lo
	s_cbranch_execnz .LBB25_24
.LBB25_19:                              ;   in Loop: Header=BB25_4 Depth=1
	s_or_b32 exec_lo, exec_lo, s5
	s_and_saveexec_b32 s5, s2
	s_cbranch_execnz .LBB25_25
.LBB25_20:                              ;   in Loop: Header=BB25_4 Depth=1
	s_or_b32 exec_lo, exec_lo, s5
	s_and_saveexec_b32 s2, s3
	s_cbranch_execnz .LBB25_26
.LBB25_21:                              ;   in Loop: Header=BB25_4 Depth=1
	s_or_b32 exec_lo, exec_lo, s2
	s_and_saveexec_b32 s2, s4
	s_cbranch_execz .LBB25_3
	s_branch .LBB25_27
.LBB25_22:                              ;   in Loop: Header=BB25_4 Depth=1
	v_add_co_u32 v21, s5, v31, s10
	s_delay_alu instid0(VALU_DEP_1) | instskip(SKIP_1) | instid1(VALU_DEP_1)
	v_add_co_ci_u32_e64 v22, s5, s11, v32, s5
	v_add_co_u32 v23, s5, v33, s10
	v_add_co_ci_u32_e64 v24, s5, s11, v34, s5
	global_load_b64 v[21:22], v[21:22], off
	global_load_b64 v[23:24], v[23:24], off
	s_or_b32 exec_lo, exec_lo, s24
	s_and_saveexec_b32 s24, s4
	s_cbranch_execz .LBB25_18
.LBB25_23:                              ;   in Loop: Header=BB25_4 Depth=1
	v_add_co_u32 v19, s5, v35, s10
	s_delay_alu instid0(VALU_DEP_1)
	v_add_co_ci_u32_e64 v20, s5, s11, v36, s5
	global_load_b64 v[19:20], v[19:20], off
	s_or_b32 exec_lo, exec_lo, s24
	s_and_saveexec_b32 s5, vcc_lo
	s_cbranch_execz .LBB25_19
.LBB25_24:                              ;   in Loop: Header=BB25_4 Depth=1
	s_waitcnt vmcnt(0)
	v_mul_lo_u32 v6, v6, s6
	v_mul_lo_u32 v57, v5, s7
	v_mad_u64_u32 v[55:56], null, v5, s6, 0
	s_delay_alu instid0(VALU_DEP_1) | instskip(NEXT) | instid1(VALU_DEP_2)
	v_add3_u32 v5, v56, v57, v6
	v_mul_lo_u32 v56, v55, v2
	s_delay_alu instid0(VALU_DEP_2) | instskip(SKIP_3) | instid1(VALU_DEP_3)
	v_mul_lo_u32 v57, v5, v1
	v_mad_u64_u32 v[5:6], null, v55, v1, v[3:4]
	v_add_co_u32 v1, vcc_lo, v25, s10
	v_add_co_ci_u32_e32 v2, vcc_lo, s11, v26, vcc_lo
	v_add3_u32 v6, v57, v6, v56
	global_store_b64 v[1:2], v[5:6], off
	s_or_b32 exec_lo, exec_lo, s5
	s_and_saveexec_b32 s5, s2
	s_cbranch_execz .LBB25_20
.LBB25_25:                              ;   in Loop: Header=BB25_4 Depth=1
	s_waitcnt vmcnt(0)
	v_mul_lo_u32 v3, v12, s6
	v_mul_lo_u32 v4, v11, s7
	v_mad_u64_u32 v[1:2], null, v11, s6, 0
	s_delay_alu instid0(VALU_DEP_1) | instskip(NEXT) | instid1(VALU_DEP_2)
	v_add3_u32 v4, v2, v4, v3
	v_mul_lo_u32 v5, v1, v8
	v_mad_u64_u32 v[2:3], null, v1, v7, v[9:10]
	s_delay_alu instid0(VALU_DEP_3) | instskip(SKIP_1) | instid1(VALU_DEP_2)
	v_mul_lo_u32 v1, v4, v7
	v_add_co_u32 v4, vcc_lo, v49, s10
	v_add3_u32 v3, v1, v3, v5
	v_add_co_ci_u32_e32 v5, vcc_lo, s11, v50, vcc_lo
	global_store_b64 v[4:5], v[2:3], off
	s_or_b32 exec_lo, exec_lo, s5
	s_and_saveexec_b32 s2, s3
	s_cbranch_execz .LBB25_21
.LBB25_26:                              ;   in Loop: Header=BB25_4 Depth=1
	s_waitcnt vmcnt(0)
	v_mul_lo_u32 v3, v18, s6
	v_mul_lo_u32 v4, v17, s7
	v_mad_u64_u32 v[1:2], null, v17, s6, 0
	s_delay_alu instid0(VALU_DEP_1) | instskip(NEXT) | instid1(VALU_DEP_2)
	v_add3_u32 v4, v2, v4, v3
	v_mul_lo_u32 v5, v1, v14
	v_mad_u64_u32 v[2:3], null, v1, v13, v[15:16]
	s_delay_alu instid0(VALU_DEP_3) | instskip(SKIP_1) | instid1(VALU_DEP_2)
	v_mul_lo_u32 v1, v4, v13
	v_add_co_u32 v4, vcc_lo, v39, s10
	v_add3_u32 v3, v1, v3, v5
	v_add_co_ci_u32_e32 v5, vcc_lo, s11, v40, vcc_lo
	global_store_b64 v[4:5], v[2:3], off
	s_or_b32 exec_lo, exec_lo, s2
	s_and_saveexec_b32 s2, s4
	s_cbranch_execz .LBB25_3
.LBB25_27:                              ;   in Loop: Header=BB25_4 Depth=1
	s_waitcnt vmcnt(0)
	v_mul_lo_u32 v3, v24, s6
	v_mul_lo_u32 v4, v23, s7
	v_mad_u64_u32 v[1:2], null, v23, s6, 0
	s_delay_alu instid0(VALU_DEP_1) | instskip(NEXT) | instid1(VALU_DEP_2)
	v_add3_u32 v4, v2, v4, v3
	v_mul_lo_u32 v5, v1, v20
	v_mad_u64_u32 v[2:3], null, v1, v19, v[21:22]
	s_delay_alu instid0(VALU_DEP_3) | instskip(SKIP_1) | instid1(VALU_DEP_2)
	v_mul_lo_u32 v1, v4, v19
	v_add_co_u32 v4, vcc_lo, v31, s10
	v_add3_u32 v3, v1, v3, v5
	v_add_co_ci_u32_e32 v5, vcc_lo, s11, v32, vcc_lo
	global_store_b64 v[4:5], v[2:3], off
	s_branch .LBB25_3
.LBB25_28:
	s_mov_b32 s12, 0
.LBB25_29:
	s_delay_alu instid0(SALU_CYCLE_1)
	s_and_not1_b32 vcc_lo, exec_lo, s12
	s_cbranch_vccnz .LBB25_33
; %bb.30:
	s_waitcnt vmcnt(0)
	v_dual_mov_b32 v2, 0 :: v_dual_lshlrev_b32 v1, 2, v0
	s_mov_b32 s2, 0
	s_mov_b32 s3, exec_lo
	s_delay_alu instid0(VALU_DEP_1)
	v_cmpx_gt_i64_e64 s[8:9], v[1:2]
	s_cbranch_execz .LBB25_33
; %bb.31:
	s_load_b32 s0, s[0:1], 0xc64
	s_waitcnt lgkmcnt(0)
	s_and_b32 s0, s0, 0xffff
	s_delay_alu instid0(SALU_CYCLE_1)
	v_add_lshl_u32 v1, v0, s0, 2
	v_lshlrev_b32_e32 v0, 5, v0
	s_lshl_b32 s3, s0, 2
	s_lshl_b32 s4, s0, 5
.LBB25_32:                              ; =>This Inner Loop Header: Depth=1
	s_delay_alu instid0(VALU_DEP_1) | instskip(NEXT) | instid1(VALU_DEP_1)
	v_add_co_u32 v27, s0, s16, v0
	v_add_co_ci_u32_e64 v28, null, s17, 0, s0
	v_add_co_u32 v7, s0, s18, v0
	s_delay_alu instid0(VALU_DEP_1) | instskip(SKIP_1) | instid1(VALU_DEP_1)
	v_add_co_ci_u32_e64 v8, null, s19, 0, s0
	v_add_co_u32 v19, s0, s20, v0
	v_add_co_ci_u32_e64 v20, null, s21, 0, s0
	s_clause 0x1
	global_load_b128 v[3:6], v[7:8], off
	global_load_b128 v[7:10], v[7:8], off offset:16
	global_load_b128 v[11:14], v[19:20], off
	global_load_b128 v[15:18], v[27:28], off
	global_load_b128 v[19:22], v[19:20], off offset:16
	global_load_b128 v[23:26], v[27:28], off offset:16
	v_cmp_le_i64_e32 vcc_lo, s[8:9], v[1:2]
	v_cmp_lt_u64_e64 s0, 0xffff, v[1:2]
	v_add_co_u32 v1, s1, v1, s3
	s_delay_alu instid0(VALU_DEP_1) | instskip(NEXT) | instid1(VALU_DEP_3)
	v_add_co_ci_u32_e64 v2, s1, 0, v2, s1
	s_or_b32 s0, vcc_lo, s0
	s_add_u32 s16, s16, s4
	s_addc_u32 s17, s17, 0
	s_add_u32 s20, s20, s4
	s_addc_u32 s21, s21, 0
	;; [unrolled: 2-line block ×3, first 2 shown]
	s_and_b32 s0, exec_lo, s0
	s_delay_alu instid0(SALU_CYCLE_1)
	s_or_b32 s2, s0, s2
	s_waitcnt vmcnt(5)
	v_mul_lo_u32 v4, v4, s6
	v_mul_lo_u32 v37, v3, s7
	v_mad_u64_u32 v[29:30], null, v3, s6, 0
	v_mul_lo_u32 v6, v6, s6
	v_mul_lo_u32 v38, v5, s7
	v_mad_u64_u32 v[31:32], null, v5, s6, 0
	s_waitcnt vmcnt(4)
	v_mul_lo_u32 v8, v8, s6
	v_mul_lo_u32 v39, v7, s7
	v_mad_u64_u32 v[33:34], null, v7, s6, 0
	v_mul_lo_u32 v10, v10, s6
	v_mul_lo_u32 v40, v9, s7
	v_mad_u64_u32 v[35:36], null, v9, s6, 0
	v_add3_u32 v30, v30, v37, v4
	s_waitcnt vmcnt(2)
	v_mad_u64_u32 v[3:4], null, v29, v11, v[15:16]
	v_add3_u32 v15, v32, v38, v6
	v_mad_u64_u32 v[5:6], null, v31, v13, v[17:18]
	v_add3_u32 v16, v34, v39, v8
	v_add3_u32 v18, v36, v40, v10
	v_mul_lo_u32 v12, v29, v12
	v_mul_lo_u32 v14, v31, v14
	;; [unrolled: 1-line block ×4, first 2 shown]
	s_waitcnt vmcnt(1)
	v_mul_lo_u32 v17, v33, v20
	s_waitcnt vmcnt(0)
	v_mad_u64_u32 v[7:8], null, v33, v19, v[23:24]
	v_mul_lo_u32 v20, v35, v22
	v_mad_u64_u32 v[9:10], null, v35, v21, v[25:26]
	v_mul_lo_u32 v15, v16, v19
	v_mul_lo_u32 v16, v18, v21
	v_add3_u32 v4, v11, v4, v12
	v_add3_u32 v6, v13, v6, v14
	s_delay_alu instid0(VALU_DEP_4) | instskip(NEXT) | instid1(VALU_DEP_4)
	v_add3_u32 v8, v15, v8, v17
	v_add3_u32 v10, v16, v10, v20
	s_clause 0x1
	global_store_b128 v[27:28], v[3:6], off
	global_store_b128 v[27:28], v[7:10], off offset:16
	s_and_not1_b32 exec_lo, exec_lo, s2
	s_cbranch_execnz .LBB25_32
.LBB25_33:
	s_nop 0
	s_sendmsg sendmsg(MSG_DEALLOC_VGPRS)
	s_endpgm
	.section	.rodata,"a",@progbits
	.p2align	6, 0x0
	.amdhsa_kernel _ZN2at6native12_GLOBAL__N_125multi_tensor_apply_kernelINS1_18TensorListMetadataILi3EEENS1_24PointwiseOpScalarFunctorIlLi3ELi3ELi0EEEJSt10multipliesIlElEEEvT_T0_DpT1_
		.amdhsa_group_segment_fixed_size 0
		.amdhsa_private_segment_fixed_size 0
		.amdhsa_kernarg_size 3416
		.amdhsa_user_sgpr_count 15
		.amdhsa_user_sgpr_dispatch_ptr 0
		.amdhsa_user_sgpr_queue_ptr 0
		.amdhsa_user_sgpr_kernarg_segment_ptr 1
		.amdhsa_user_sgpr_dispatch_id 0
		.amdhsa_user_sgpr_private_segment_size 0
		.amdhsa_wavefront_size32 1
		.amdhsa_uses_dynamic_stack 0
		.amdhsa_enable_private_segment 0
		.amdhsa_system_sgpr_workgroup_id_x 1
		.amdhsa_system_sgpr_workgroup_id_y 0
		.amdhsa_system_sgpr_workgroup_id_z 0
		.amdhsa_system_sgpr_workgroup_info 0
		.amdhsa_system_vgpr_workitem_id 0
		.amdhsa_next_free_vgpr 58
		.amdhsa_next_free_sgpr 26
		.amdhsa_reserve_vcc 1
		.amdhsa_float_round_mode_32 0
		.amdhsa_float_round_mode_16_64 0
		.amdhsa_float_denorm_mode_32 3
		.amdhsa_float_denorm_mode_16_64 3
		.amdhsa_dx10_clamp 1
		.amdhsa_ieee_mode 1
		.amdhsa_fp16_overflow 0
		.amdhsa_workgroup_processor_mode 1
		.amdhsa_memory_ordered 1
		.amdhsa_forward_progress 0
		.amdhsa_shared_vgpr_count 0
		.amdhsa_exception_fp_ieee_invalid_op 0
		.amdhsa_exception_fp_denorm_src 0
		.amdhsa_exception_fp_ieee_div_zero 0
		.amdhsa_exception_fp_ieee_overflow 0
		.amdhsa_exception_fp_ieee_underflow 0
		.amdhsa_exception_fp_ieee_inexact 0
		.amdhsa_exception_int_div_zero 0
	.end_amdhsa_kernel
	.section	.text._ZN2at6native12_GLOBAL__N_125multi_tensor_apply_kernelINS1_18TensorListMetadataILi3EEENS1_24PointwiseOpScalarFunctorIlLi3ELi3ELi0EEEJSt10multipliesIlElEEEvT_T0_DpT1_,"axG",@progbits,_ZN2at6native12_GLOBAL__N_125multi_tensor_apply_kernelINS1_18TensorListMetadataILi3EEENS1_24PointwiseOpScalarFunctorIlLi3ELi3ELi0EEEJSt10multipliesIlElEEEvT_T0_DpT1_,comdat
.Lfunc_end25:
	.size	_ZN2at6native12_GLOBAL__N_125multi_tensor_apply_kernelINS1_18TensorListMetadataILi3EEENS1_24PointwiseOpScalarFunctorIlLi3ELi3ELi0EEEJSt10multipliesIlElEEEvT_T0_DpT1_, .Lfunc_end25-_ZN2at6native12_GLOBAL__N_125multi_tensor_apply_kernelINS1_18TensorListMetadataILi3EEENS1_24PointwiseOpScalarFunctorIlLi3ELi3ELi0EEEJSt10multipliesIlElEEEvT_T0_DpT1_
                                        ; -- End function
	.section	.AMDGPU.csdata,"",@progbits
; Kernel info:
; codeLenInByte = 2532
; NumSgprs: 28
; NumVgprs: 58
; ScratchSize: 0
; MemoryBound: 0
; FloatMode: 240
; IeeeMode: 1
; LDSByteSize: 0 bytes/workgroup (compile time only)
; SGPRBlocks: 3
; VGPRBlocks: 7
; NumSGPRsForWavesPerEU: 28
; NumVGPRsForWavesPerEU: 58
; Occupancy: 16
; WaveLimiterHint : 0
; COMPUTE_PGM_RSRC2:SCRATCH_EN: 0
; COMPUTE_PGM_RSRC2:USER_SGPR: 15
; COMPUTE_PGM_RSRC2:TRAP_HANDLER: 0
; COMPUTE_PGM_RSRC2:TGID_X_EN: 1
; COMPUTE_PGM_RSRC2:TGID_Y_EN: 0
; COMPUTE_PGM_RSRC2:TGID_Z_EN: 0
; COMPUTE_PGM_RSRC2:TIDIG_COMP_CNT: 0
	.section	.text._ZN2at6native12_GLOBAL__N_125multi_tensor_apply_kernelINS1_18TensorListMetadataILi3EEENS1_24PointwiseOpScalarFunctorIsLi3ELi3ELi0EEEJSt10multipliesIsEsEEEvT_T0_DpT1_,"axG",@progbits,_ZN2at6native12_GLOBAL__N_125multi_tensor_apply_kernelINS1_18TensorListMetadataILi3EEENS1_24PointwiseOpScalarFunctorIsLi3ELi3ELi0EEEJSt10multipliesIsEsEEEvT_T0_DpT1_,comdat
	.globl	_ZN2at6native12_GLOBAL__N_125multi_tensor_apply_kernelINS1_18TensorListMetadataILi3EEENS1_24PointwiseOpScalarFunctorIsLi3ELi3ELi0EEEJSt10multipliesIsEsEEEvT_T0_DpT1_ ; -- Begin function _ZN2at6native12_GLOBAL__N_125multi_tensor_apply_kernelINS1_18TensorListMetadataILi3EEENS1_24PointwiseOpScalarFunctorIsLi3ELi3ELi0EEEJSt10multipliesIsEsEEEvT_T0_DpT1_
	.p2align	8
	.type	_ZN2at6native12_GLOBAL__N_125multi_tensor_apply_kernelINS1_18TensorListMetadataILi3EEENS1_24PointwiseOpScalarFunctorIsLi3ELi3ELi0EEEJSt10multipliesIsEsEEEvT_T0_DpT1_,@function
_ZN2at6native12_GLOBAL__N_125multi_tensor_apply_kernelINS1_18TensorListMetadataILi3EEENS1_24PointwiseOpScalarFunctorIsLi3ELi3ELi0EEEJSt10multipliesIsEsEEEvT_T0_DpT1_: ; @_ZN2at6native12_GLOBAL__N_125multi_tensor_apply_kernelINS1_18TensorListMetadataILi3EEENS1_24PointwiseOpScalarFunctorIsLi3ELi3ELi0EEEJSt10multipliesIsEsEEEvT_T0_DpT1_
; %bb.0:
	v_mov_b32_e32 v1, s15
	s_mul_i32 s4, s15, 3
	s_mul_hi_u32 s3, s15, 3
	s_mov_b32 s17, 0
	s_load_b32 s2, s[0:1], 0xc48
	global_load_u8 v1, v1, s[0:1] offset:1536
	s_waitcnt lgkmcnt(0)
	s_lshr_b32 s20, s2, 16
	s_add_u32 s2, s0, s15
	s_addc_u32 s5, s1, 0
	s_add_u32 s2, s2, s4
	s_addc_u32 s3, s5, s3
	s_load_b32 s2, s[2:3], 0x740
	s_waitcnt vmcnt(0)
	v_readfirstlane_b32 s4, v1
	s_delay_alu instid0(VALU_DEP_1)
	s_lshl_b32 s3, s4, 3
	s_clause 0x3
	s_load_b64 s[6:7], s[0:1], s3 offset:0x180
	s_load_b64 s[8:9], s[0:1], s3 offset:0x300
	;; [unrolled: 1-line block ×4, first 2 shown]
	s_waitcnt lgkmcnt(0)
	s_ashr_i32 s3, s2, 31
	s_delay_alu instid0(SALU_CYCLE_1) | instskip(NEXT) | instid1(SALU_CYCLE_1)
	s_lshl_b64 s[14:15], s[2:3], 17
	s_add_u32 s12, s6, s14
	s_delay_alu instid0(SALU_CYCLE_1) | instskip(SKIP_2) | instid1(SALU_CYCLE_1)
	s_or_b32 s12, s8, s12
	s_and_b32 s16, s10, 7
	s_and_b32 s12, s12, 7
	s_cmp_eq_u32 s12, 0
	s_cselect_b32 s18, -1, 0
	s_lshl_b64 s[2:3], s[2:3], 16
	s_delay_alu instid0(SALU_CYCLE_1) | instskip(SKIP_3) | instid1(SALU_CYCLE_1)
	s_sub_u32 s12, s4, s2
	s_subb_u32 s13, s5, s3
	s_and_b32 s2, s4, 3
	s_mov_b32 s3, s17
	s_or_b64 s[2:3], s[16:17], s[2:3]
	s_delay_alu instid0(SALU_CYCLE_1) | instskip(SKIP_1) | instid1(SALU_CYCLE_1)
	s_cmp_eq_u64 s[2:3], 0
	s_cselect_b32 s2, -1, 0
	s_and_b32 s2, s18, s2
	s_delay_alu instid0(SALU_CYCLE_1)
	s_and_b32 vcc_lo, exec_lo, s2
	s_mov_b32 s2, -1
	s_cbranch_vccnz .LBB26_29
; %bb.1:
	v_cmp_lt_i64_e64 s2, s[12:13], 1
	s_delay_alu instid0(VALU_DEP_1)
	s_and_b32 vcc_lo, exec_lo, s2
	s_cbranch_vccnz .LBB26_28
; %bb.2:
	s_load_b32 s2, s[0:1], 0xc5c
	v_dual_mov_b32 v14, 0 :: v_dual_lshlrev_b32 v13, 1, v0
	v_cmp_gt_u64_e64 s3, 0x10000, s[12:13]
	s_mov_b64 s[18:19], 0
	s_delay_alu instid0(VALU_DEP_2) | instskip(NEXT) | instid1(VALU_DEP_1)
	v_add_co_u32 v1, s4, s10, v13
	v_add_co_ci_u32_e64 v2, null, s11, 0, s4
	v_add_co_u32 v3, s4, s6, v13
	s_delay_alu instid0(VALU_DEP_1) | instskip(SKIP_1) | instid1(VALU_DEP_1)
	v_add_co_ci_u32_e64 v4, null, s7, 0, s4
	v_add_co_u32 v5, s4, s8, v13
	v_add_co_ci_u32_e64 v6, null, s9, 0, s4
	s_waitcnt lgkmcnt(0)
	s_and_b32 s2, s2, 0xffff
	s_and_b32 s3, s3, exec_lo
	v_mad_u64_u32 v[11:12], null, s2, 6, v[13:14]
	s_cselect_b32 s17, s13, 0
	s_cselect_b32 s16, s12, 0x10000
	s_mul_i32 s4, s2, 3
	s_lshl_b32 s21, s2, 2
	s_lshl_b32 s3, s2, 1
	v_add_co_u32 v20, s5, s21, v13
	v_add_co_u32 v13, s4, s4, v0
	v_add_co_u32 v7, vcc_lo, s10, v11
	v_add_co_ci_u32_e64 v14, null, 0, 0, s4
	v_add_co_u32 v19, s4, v0, s2
	v_add_co_ci_u32_e32 v8, vcc_lo, s11, v12, vcc_lo
	v_add_co_u32 v9, vcc_lo, s6, v11
	v_add_co_ci_u32_e32 v10, vcc_lo, s7, v12, vcc_lo
	v_add_co_u32 v11, vcc_lo, s8, v11
	v_add_co_ci_u32_e64 v21, null, 0, 0, s5
	v_lshlrev_b32_e32 v29, 1, v19
	v_add_co_ci_u32_e32 v12, vcc_lo, s9, v12, vcc_lo
	v_add_co_u32 v15, vcc_lo, s10, v20
	v_add_co_u32 v23, s3, s3, v0
	v_add_co_ci_u32_e32 v16, vcc_lo, s11, v21, vcc_lo
	v_add_co_ci_u32_e64 v24, null, 0, 0, s3
	v_add_co_u32 v25, s3, s10, v29
	v_add_co_u32 v17, vcc_lo, s6, v20
	v_add_co_ci_u32_e64 v26, null, s11, 0, s3
	v_add_co_u32 v27, s3, s6, v29
	v_add_co_ci_u32_e32 v18, vcc_lo, s7, v21, vcc_lo
	v_add_co_u32 v20, vcc_lo, s8, v20
	v_add_co_ci_u32_e64 v28, null, s7, 0, s3
	v_add_co_u32 v29, s3, s8, v29
	v_add_co_ci_u32_e32 v21, vcc_lo, s9, v21, vcc_lo
	v_add_co_ci_u32_e64 v22, null, 0, 0, s4
	v_add_co_ci_u32_e64 v30, null, s9, 0, s3
	s_lshl_b32 s22, s2, 3
	s_branch .LBB26_4
.LBB26_3:                               ;   in Loop: Header=BB26_4 Depth=1
	s_or_b32 exec_lo, exec_lo, s2
	v_add_co_u32 v1, vcc_lo, v1, s22
	v_add_co_ci_u32_e32 v2, vcc_lo, 0, v2, vcc_lo
	v_add_co_u32 v3, vcc_lo, v3, s22
	v_add_co_ci_u32_e32 v4, vcc_lo, 0, v4, vcc_lo
	;; [unrolled: 2-line block ×9, first 2 shown]
	s_add_u32 s18, s18, s21
	v_add_co_u32 v25, vcc_lo, v25, s22
	s_addc_u32 s19, s19, 0
	v_add_co_ci_u32_e32 v26, vcc_lo, 0, v26, vcc_lo
	v_cmp_lt_i64_e64 s2, s[18:19], s[12:13]
	v_cmp_gt_u64_e64 s3, 0x10000, s[18:19]
	v_add_co_u32 v27, vcc_lo, v27, s22
	v_add_co_ci_u32_e32 v28, vcc_lo, 0, v28, vcc_lo
	v_add_co_u32 v29, vcc_lo, v29, s22
	v_add_co_ci_u32_e32 v30, vcc_lo, 0, v30, vcc_lo
	s_and_b32 s2, s2, s3
	s_delay_alu instid0(SALU_CYCLE_1)
	s_and_b32 vcc_lo, exec_lo, s2
	s_cbranch_vccz .LBB26_28
.LBB26_4:                               ; =>This Inner Loop Header: Depth=1
	s_waitcnt vmcnt(1)
	v_add_co_u32 v31, s2, v0, s18
	s_waitcnt vmcnt(0)
	v_add_co_ci_u32_e64 v32, null, 0, s19, s2
	s_delay_alu instid0(VALU_DEP_1)
	v_cmp_gt_u64_e32 vcc_lo, s[16:17], v[31:32]
	v_dual_mov_b32 v31, 0 :: v_dual_mov_b32 v32, 0
	s_and_saveexec_b32 s3, vcc_lo
	s_cbranch_execz .LBB26_6
; %bb.5:                                ;   in Loop: Header=BB26_4 Depth=1
	v_add_co_u32 v31, s2, v1, s14
	s_delay_alu instid0(VALU_DEP_1) | instskip(SKIP_1) | instid1(VALU_DEP_1)
	v_add_co_ci_u32_e64 v32, s2, s15, v2, s2
	v_add_co_u32 v33, s2, v3, s14
	v_add_co_ci_u32_e64 v34, s2, s15, v4, s2
	global_load_u16 v31, v[31:32], off
	global_load_u16 v32, v[33:34], off
.LBB26_6:                               ;   in Loop: Header=BB26_4 Depth=1
	s_or_b32 exec_lo, exec_lo, s3
	v_dual_mov_b32 v33, 0 :: v_dual_mov_b32 v34, 0
	s_and_saveexec_b32 s3, vcc_lo
	s_cbranch_execz .LBB26_8
; %bb.7:                                ;   in Loop: Header=BB26_4 Depth=1
	v_add_co_u32 v34, s2, v5, s14
	s_delay_alu instid0(VALU_DEP_1)
	v_add_co_ci_u32_e64 v35, s2, s15, v6, s2
	global_load_u16 v34, v[34:35], off
.LBB26_8:                               ;   in Loop: Header=BB26_4 Depth=1
	s_or_b32 exec_lo, exec_lo, s3
	v_add_co_u32 v35, s2, v19, s18
	s_delay_alu instid0(VALU_DEP_1) | instskip(NEXT) | instid1(VALU_DEP_1)
	v_add_co_ci_u32_e64 v36, s2, s19, v22, s2
	v_cmp_gt_u64_e64 s2, s[16:17], v[35:36]
	v_mov_b32_e32 v35, 0
	s_delay_alu instid0(VALU_DEP_2)
	s_and_saveexec_b32 s4, s2
	s_cbranch_execz .LBB26_10
; %bb.9:                                ;   in Loop: Header=BB26_4 Depth=1
	v_add_co_u32 v35, s3, v25, s14
	s_delay_alu instid0(VALU_DEP_1) | instskip(SKIP_1) | instid1(VALU_DEP_1)
	v_add_co_ci_u32_e64 v36, s3, s15, v26, s3
	v_add_co_u32 v37, s3, v27, s14
	v_add_co_ci_u32_e64 v38, s3, s15, v28, s3
	global_load_u16 v33, v[35:36], off
	global_load_u16 v35, v[37:38], off
.LBB26_10:                              ;   in Loop: Header=BB26_4 Depth=1
	s_or_b32 exec_lo, exec_lo, s4
	v_dual_mov_b32 v36, 0 :: v_dual_mov_b32 v37, 0
	s_and_saveexec_b32 s4, s2
	s_cbranch_execz .LBB26_12
; %bb.11:                               ;   in Loop: Header=BB26_4 Depth=1
	v_add_co_u32 v37, s3, v29, s14
	s_delay_alu instid0(VALU_DEP_1)
	v_add_co_ci_u32_e64 v38, s3, s15, v30, s3
	global_load_u16 v37, v[37:38], off
.LBB26_12:                              ;   in Loop: Header=BB26_4 Depth=1
	s_or_b32 exec_lo, exec_lo, s4
	v_add_co_u32 v38, s3, v23, s18
	s_delay_alu instid0(VALU_DEP_1) | instskip(NEXT) | instid1(VALU_DEP_1)
	v_add_co_ci_u32_e64 v39, s3, s19, v24, s3
	v_cmp_gt_u64_e64 s3, s[16:17], v[38:39]
	v_mov_b32_e32 v38, 0
	s_delay_alu instid0(VALU_DEP_2)
	s_and_saveexec_b32 s5, s3
	s_cbranch_execz .LBB26_14
; %bb.13:                               ;   in Loop: Header=BB26_4 Depth=1
	v_add_co_u32 v38, s4, v15, s14
	s_delay_alu instid0(VALU_DEP_1) | instskip(SKIP_1) | instid1(VALU_DEP_1)
	v_add_co_ci_u32_e64 v39, s4, s15, v16, s4
	v_add_co_u32 v40, s4, v17, s14
	v_add_co_ci_u32_e64 v41, s4, s15, v18, s4
	global_load_u16 v36, v[38:39], off
	global_load_u16 v38, v[40:41], off
.LBB26_14:                              ;   in Loop: Header=BB26_4 Depth=1
	s_or_b32 exec_lo, exec_lo, s5
	v_dual_mov_b32 v39, 0 :: v_dual_mov_b32 v40, 0
	s_and_saveexec_b32 s5, s3
	s_cbranch_execz .LBB26_16
; %bb.15:                               ;   in Loop: Header=BB26_4 Depth=1
	v_add_co_u32 v40, s4, v20, s14
	s_delay_alu instid0(VALU_DEP_1)
	v_add_co_ci_u32_e64 v41, s4, s15, v21, s4
	global_load_u16 v40, v[40:41], off
.LBB26_16:                              ;   in Loop: Header=BB26_4 Depth=1
	s_or_b32 exec_lo, exec_lo, s5
	v_add_co_u32 v41, s4, v13, s18
	s_delay_alu instid0(VALU_DEP_1) | instskip(NEXT) | instid1(VALU_DEP_1)
	v_add_co_ci_u32_e64 v42, s4, s19, v14, s4
	v_cmp_gt_u64_e64 s4, s[16:17], v[41:42]
	v_mov_b32_e32 v41, 0
	s_delay_alu instid0(VALU_DEP_2)
	s_and_saveexec_b32 s23, s4
	s_cbranch_execnz .LBB26_22
; %bb.17:                               ;   in Loop: Header=BB26_4 Depth=1
	s_or_b32 exec_lo, exec_lo, s23
	v_mov_b32_e32 v42, 0
	s_and_saveexec_b32 s23, s4
	s_cbranch_execnz .LBB26_23
.LBB26_18:                              ;   in Loop: Header=BB26_4 Depth=1
	s_or_b32 exec_lo, exec_lo, s23
	s_and_saveexec_b32 s5, vcc_lo
	s_cbranch_execnz .LBB26_24
.LBB26_19:                              ;   in Loop: Header=BB26_4 Depth=1
	s_or_b32 exec_lo, exec_lo, s5
	s_and_saveexec_b32 s5, s2
	s_cbranch_execnz .LBB26_25
.LBB26_20:                              ;   in Loop: Header=BB26_4 Depth=1
	s_or_b32 exec_lo, exec_lo, s5
	s_and_saveexec_b32 s2, s3
	s_cbranch_execnz .LBB26_26
.LBB26_21:                              ;   in Loop: Header=BB26_4 Depth=1
	s_or_b32 exec_lo, exec_lo, s2
	s_and_saveexec_b32 s2, s4
	s_cbranch_execz .LBB26_3
	s_branch .LBB26_27
.LBB26_22:                              ;   in Loop: Header=BB26_4 Depth=1
	v_add_co_u32 v41, s5, v7, s14
	s_delay_alu instid0(VALU_DEP_1) | instskip(SKIP_1) | instid1(VALU_DEP_1)
	v_add_co_ci_u32_e64 v42, s5, s15, v8, s5
	v_add_co_u32 v43, s5, v9, s14
	v_add_co_ci_u32_e64 v44, s5, s15, v10, s5
	global_load_u16 v39, v[41:42], off
	global_load_u16 v41, v[43:44], off
	s_or_b32 exec_lo, exec_lo, s23
	v_mov_b32_e32 v42, 0
	s_and_saveexec_b32 s23, s4
	s_cbranch_execz .LBB26_18
.LBB26_23:                              ;   in Loop: Header=BB26_4 Depth=1
	v_add_co_u32 v42, s5, v11, s14
	s_delay_alu instid0(VALU_DEP_1)
	v_add_co_ci_u32_e64 v43, s5, s15, v12, s5
	global_load_u16 v42, v[42:43], off
	s_or_b32 exec_lo, exec_lo, s23
	s_and_saveexec_b32 s5, vcc_lo
	s_cbranch_execz .LBB26_19
.LBB26_24:                              ;   in Loop: Header=BB26_4 Depth=1
	s_waitcnt vmcnt(0)
	v_mul_lo_u16 v32, v32, s20
	s_delay_alu instid0(VALU_DEP_1)
	v_mad_u16 v34, v32, v34, v31
	v_add_co_u32 v31, vcc_lo, v1, s14
	v_add_co_ci_u32_e32 v32, vcc_lo, s15, v2, vcc_lo
	global_store_b16 v[31:32], v34, off
	s_or_b32 exec_lo, exec_lo, s5
	s_and_saveexec_b32 s5, s2
	s_cbranch_execz .LBB26_20
.LBB26_25:                              ;   in Loop: Header=BB26_4 Depth=1
	s_waitcnt vmcnt(0)
	v_mul_lo_u16 v31, v35, s20
	s_delay_alu instid0(VALU_DEP_1)
	v_mad_u16 v33, v31, v37, v33
	v_add_co_u32 v31, vcc_lo, v25, s14
	v_add_co_ci_u32_e32 v32, vcc_lo, s15, v26, vcc_lo
	global_store_b16 v[31:32], v33, off
	s_or_b32 exec_lo, exec_lo, s5
	s_and_saveexec_b32 s2, s3
	s_cbranch_execz .LBB26_21
.LBB26_26:                              ;   in Loop: Header=BB26_4 Depth=1
	s_waitcnt vmcnt(0)
	v_mul_lo_u16 v31, v38, s20
	s_delay_alu instid0(VALU_DEP_1)
	v_mad_u16 v33, v31, v40, v36
	v_add_co_u32 v31, vcc_lo, v15, s14
	v_add_co_ci_u32_e32 v32, vcc_lo, s15, v16, vcc_lo
	global_store_b16 v[31:32], v33, off
	s_or_b32 exec_lo, exec_lo, s2
	s_and_saveexec_b32 s2, s4
	s_cbranch_execz .LBB26_3
.LBB26_27:                              ;   in Loop: Header=BB26_4 Depth=1
	s_waitcnt vmcnt(0)
	v_mul_lo_u16 v31, v41, s20
	s_delay_alu instid0(VALU_DEP_1)
	v_mad_u16 v33, v31, v42, v39
	v_add_co_u32 v31, vcc_lo, v7, s14
	v_add_co_ci_u32_e32 v32, vcc_lo, s15, v8, vcc_lo
	global_store_b16 v[31:32], v33, off
	s_branch .LBB26_3
.LBB26_28:
	s_mov_b32 s2, 0
.LBB26_29:
	s_delay_alu instid0(SALU_CYCLE_1)
	s_and_not1_b32 vcc_lo, exec_lo, s2
	s_cbranch_vccnz .LBB26_33
; %bb.30:
	v_dual_mov_b32 v2, 0 :: v_dual_lshlrev_b32 v1, 2, v0
	s_mov_b32 s2, 0
	s_mov_b32 s3, exec_lo
	s_delay_alu instid0(VALU_DEP_1)
	v_cmpx_gt_i64_e64 s[12:13], v[1:2]
	s_cbranch_execz .LBB26_33
; %bb.31:
	s_load_b32 s0, s[0:1], 0xc5c
	v_lshlrev_b32_e32 v1, 3, v0
	s_delay_alu instid0(VALU_DEP_1) | instskip(NEXT) | instid1(VALU_DEP_1)
	v_add_co_u32 v3, s1, s14, v1
	v_add_co_ci_u32_e64 v4, null, s15, 0, s1
	s_waitcnt lgkmcnt(0)
	s_and_b32 s0, s0, 0xffff
	s_delay_alu instid0(SALU_CYCLE_1)
	v_add_lshl_u32 v1, v0, s0, 2
	s_lshl_b32 s3, s0, 3
	s_lshl_b32 s4, s0, 2
.LBB26_32:                              ; =>This Inner Loop Header: Depth=1
	v_add_co_u32 v5, vcc_lo, s10, v3
	v_add_co_ci_u32_e32 v6, vcc_lo, s11, v4, vcc_lo
	v_add_co_u32 v7, vcc_lo, s6, v3
	v_add_co_ci_u32_e32 v8, vcc_lo, s7, v4, vcc_lo
	;; [unrolled: 2-line block ×3, first 2 shown]
	global_load_b64 v[7:8], v[7:8], off
	global_load_b64 v[11:12], v[5:6], off
	;; [unrolled: 1-line block ×3, first 2 shown]
	v_cmp_le_i64_e32 vcc_lo, s[12:13], v[1:2]
	v_cmp_lt_u64_e64 s0, 0xffff, v[1:2]
	v_add_co_u32 v3, s1, v3, s3
	s_delay_alu instid0(VALU_DEP_1) | instskip(SKIP_1) | instid1(VALU_DEP_4)
	v_add_co_ci_u32_e64 v4, s1, 0, v4, s1
	v_add_co_u32 v1, s1, v1, s4
	s_or_b32 s0, vcc_lo, s0
	v_add_co_ci_u32_e64 v2, s1, 0, v2, s1
	s_and_b32 s0, exec_lo, s0
	s_delay_alu instid0(SALU_CYCLE_1)
	s_or_b32 s2, s0, s2
	s_waitcnt vmcnt(2)
	v_mul_lo_u16 v0, v7, s20
	v_lshrrev_b32_e32 v7, 16, v7
	s_waitcnt vmcnt(1)
	v_lshrrev_b32_e32 v13, 16, v11
	s_waitcnt vmcnt(0)
	v_lshrrev_b32_e32 v14, 16, v9
	v_mul_lo_u16 v15, v8, s20
	v_lshrrev_b32_e32 v8, 16, v8
	v_mul_lo_u16 v7, v7, s20
	v_lshrrev_b32_e32 v16, 16, v12
	v_lshrrev_b32_e32 v17, 16, v10
	v_mad_u16 v0, v0, v9, v11
	v_mul_lo_u16 v8, v8, s20
	v_mad_u16 v7, v7, v14, v13
	v_mad_u16 v9, v15, v10, v12
	s_delay_alu instid0(VALU_DEP_4) | instskip(NEXT) | instid1(VALU_DEP_4)
	v_and_b32_e32 v0, 0xffff, v0
	v_mad_u16 v8, v8, v17, v16
	s_delay_alu instid0(VALU_DEP_4) | instskip(NEXT) | instid1(VALU_DEP_4)
	v_lshlrev_b32_e32 v7, 16, v7
	v_and_b32_e32 v9, 0xffff, v9
	s_delay_alu instid0(VALU_DEP_3) | instskip(NEXT) | instid1(VALU_DEP_3)
	v_lshlrev_b32_e32 v8, 16, v8
	v_or_b32_e32 v0, v7, v0
	s_delay_alu instid0(VALU_DEP_2) | instskip(NEXT) | instid1(VALU_DEP_2)
	v_or3_b32 v8, 0, v9, v8
	v_or3_b32 v7, v0, 0, 0
	global_store_b64 v[5:6], v[7:8], off
	s_and_not1_b32 exec_lo, exec_lo, s2
	s_cbranch_execnz .LBB26_32
.LBB26_33:
	s_nop 0
	s_sendmsg sendmsg(MSG_DEALLOC_VGPRS)
	s_endpgm
	.section	.rodata,"a",@progbits
	.p2align	6, 0x0
	.amdhsa_kernel _ZN2at6native12_GLOBAL__N_125multi_tensor_apply_kernelINS1_18TensorListMetadataILi3EEENS1_24PointwiseOpScalarFunctorIsLi3ELi3ELi0EEEJSt10multipliesIsEsEEEvT_T0_DpT1_
		.amdhsa_group_segment_fixed_size 0
		.amdhsa_private_segment_fixed_size 0
		.amdhsa_kernarg_size 3408
		.amdhsa_user_sgpr_count 15
		.amdhsa_user_sgpr_dispatch_ptr 0
		.amdhsa_user_sgpr_queue_ptr 0
		.amdhsa_user_sgpr_kernarg_segment_ptr 1
		.amdhsa_user_sgpr_dispatch_id 0
		.amdhsa_user_sgpr_private_segment_size 0
		.amdhsa_wavefront_size32 1
		.amdhsa_uses_dynamic_stack 0
		.amdhsa_enable_private_segment 0
		.amdhsa_system_sgpr_workgroup_id_x 1
		.amdhsa_system_sgpr_workgroup_id_y 0
		.amdhsa_system_sgpr_workgroup_id_z 0
		.amdhsa_system_sgpr_workgroup_info 0
		.amdhsa_system_vgpr_workitem_id 0
		.amdhsa_next_free_vgpr 45
		.amdhsa_next_free_sgpr 24
		.amdhsa_reserve_vcc 1
		.amdhsa_float_round_mode_32 0
		.amdhsa_float_round_mode_16_64 0
		.amdhsa_float_denorm_mode_32 3
		.amdhsa_float_denorm_mode_16_64 3
		.amdhsa_dx10_clamp 1
		.amdhsa_ieee_mode 1
		.amdhsa_fp16_overflow 0
		.amdhsa_workgroup_processor_mode 1
		.amdhsa_memory_ordered 1
		.amdhsa_forward_progress 0
		.amdhsa_shared_vgpr_count 0
		.amdhsa_exception_fp_ieee_invalid_op 0
		.amdhsa_exception_fp_denorm_src 0
		.amdhsa_exception_fp_ieee_div_zero 0
		.amdhsa_exception_fp_ieee_overflow 0
		.amdhsa_exception_fp_ieee_underflow 0
		.amdhsa_exception_fp_ieee_inexact 0
		.amdhsa_exception_int_div_zero 0
	.end_amdhsa_kernel
	.section	.text._ZN2at6native12_GLOBAL__N_125multi_tensor_apply_kernelINS1_18TensorListMetadataILi3EEENS1_24PointwiseOpScalarFunctorIsLi3ELi3ELi0EEEJSt10multipliesIsEsEEEvT_T0_DpT1_,"axG",@progbits,_ZN2at6native12_GLOBAL__N_125multi_tensor_apply_kernelINS1_18TensorListMetadataILi3EEENS1_24PointwiseOpScalarFunctorIsLi3ELi3ELi0EEEJSt10multipliesIsEsEEEvT_T0_DpT1_,comdat
.Lfunc_end26:
	.size	_ZN2at6native12_GLOBAL__N_125multi_tensor_apply_kernelINS1_18TensorListMetadataILi3EEENS1_24PointwiseOpScalarFunctorIsLi3ELi3ELi0EEEJSt10multipliesIsEsEEEvT_T0_DpT1_, .Lfunc_end26-_ZN2at6native12_GLOBAL__N_125multi_tensor_apply_kernelINS1_18TensorListMetadataILi3EEENS1_24PointwiseOpScalarFunctorIsLi3ELi3ELi0EEEJSt10multipliesIsEsEEEvT_T0_DpT1_
                                        ; -- End function
	.section	.AMDGPU.csdata,"",@progbits
; Kernel info:
; codeLenInByte = 2076
; NumSgprs: 26
; NumVgprs: 45
; ScratchSize: 0
; MemoryBound: 0
; FloatMode: 240
; IeeeMode: 1
; LDSByteSize: 0 bytes/workgroup (compile time only)
; SGPRBlocks: 3
; VGPRBlocks: 5
; NumSGPRsForWavesPerEU: 26
; NumVGPRsForWavesPerEU: 45
; Occupancy: 16
; WaveLimiterHint : 0
; COMPUTE_PGM_RSRC2:SCRATCH_EN: 0
; COMPUTE_PGM_RSRC2:USER_SGPR: 15
; COMPUTE_PGM_RSRC2:TRAP_HANDLER: 0
; COMPUTE_PGM_RSRC2:TGID_X_EN: 1
; COMPUTE_PGM_RSRC2:TGID_Y_EN: 0
; COMPUTE_PGM_RSRC2:TGID_Z_EN: 0
; COMPUTE_PGM_RSRC2:TIDIG_COMP_CNT: 0
	.section	.text._ZN2at6native12_GLOBAL__N_125multi_tensor_apply_kernelINS1_18TensorListMetadataILi3EEENS1_24PointwiseOpScalarFunctorIdLi3ELi3ELi0EEEJSt10multipliesIdEdEEEvT_T0_DpT1_,"axG",@progbits,_ZN2at6native12_GLOBAL__N_125multi_tensor_apply_kernelINS1_18TensorListMetadataILi3EEENS1_24PointwiseOpScalarFunctorIdLi3ELi3ELi0EEEJSt10multipliesIdEdEEEvT_T0_DpT1_,comdat
	.globl	_ZN2at6native12_GLOBAL__N_125multi_tensor_apply_kernelINS1_18TensorListMetadataILi3EEENS1_24PointwiseOpScalarFunctorIdLi3ELi3ELi0EEEJSt10multipliesIdEdEEEvT_T0_DpT1_ ; -- Begin function _ZN2at6native12_GLOBAL__N_125multi_tensor_apply_kernelINS1_18TensorListMetadataILi3EEENS1_24PointwiseOpScalarFunctorIdLi3ELi3ELi0EEEJSt10multipliesIdEdEEEvT_T0_DpT1_
	.p2align	8
	.type	_ZN2at6native12_GLOBAL__N_125multi_tensor_apply_kernelINS1_18TensorListMetadataILi3EEENS1_24PointwiseOpScalarFunctorIdLi3ELi3ELi0EEEJSt10multipliesIdEdEEEvT_T0_DpT1_,@function
_ZN2at6native12_GLOBAL__N_125multi_tensor_apply_kernelINS1_18TensorListMetadataILi3EEENS1_24PointwiseOpScalarFunctorIdLi3ELi3ELi0EEEJSt10multipliesIdEdEEEvT_T0_DpT1_: ; @_ZN2at6native12_GLOBAL__N_125multi_tensor_apply_kernelINS1_18TensorListMetadataILi3EEENS1_24PointwiseOpScalarFunctorIdLi3ELi3ELi0EEEJSt10multipliesIdEdEEEvT_T0_DpT1_
; %bb.0:
	v_mov_b32_e32 v1, s15
	s_add_u32 s2, s0, s15
	s_mul_hi_u32 s3, s15, 3
	s_mul_i32 s15, s15, 3
	s_addc_u32 s4, s1, 0
	global_load_u8 v1, v1, s[0:1] offset:1536
	s_add_u32 s2, s2, s15
	s_addc_u32 s3, s4, s3
	s_mov_b32 s23, 0
	s_load_b32 s8, s[2:3], 0x740
	s_waitcnt lgkmcnt(0)
	s_ashr_i32 s9, s8, 31
	s_delay_alu instid0(SALU_CYCLE_1) | instskip(SKIP_2) | instid1(VALU_DEP_1)
	s_lshl_b64 s[10:11], s[8:9], 19
	s_waitcnt vmcnt(0)
	v_readfirstlane_b32 s2, v1
	s_lshl_b32 s6, s2, 3
	s_clause 0x3
	s_load_b64 s[2:3], s[0:1], s6 offset:0x0
	s_load_b64 s[4:5], s[0:1], s6 offset:0x180
	s_load_b64 s[14:15], s[0:1], s6 offset:0x300
	s_load_b64 s[12:13], s[0:1], s6 offset:0x480
	s_waitcnt lgkmcnt(0)
	s_add_u32 s16, s2, s10
	s_addc_u32 s17, s3, s11
	s_and_b32 s22, s16, 31
	s_add_u32 s18, s4, s10
	s_addc_u32 s19, s5, s11
	s_add_u32 s20, s14, s10
	s_addc_u32 s21, s15, s11
	s_or_b32 s6, s20, s18
	s_delay_alu instid0(SALU_CYCLE_1) | instskip(NEXT) | instid1(SALU_CYCLE_1)
	s_and_b32 s6, s6, 31
	s_cmp_eq_u32 s6, 0
	s_load_b64 s[6:7], s[0:1], 0xc50
	s_cselect_b32 s24, -1, 0
	s_lshl_b64 s[8:9], s[8:9], 16
	s_delay_alu instid0(SALU_CYCLE_1) | instskip(SKIP_3) | instid1(SALU_CYCLE_1)
	s_sub_u32 s8, s12, s8
	s_subb_u32 s9, s13, s9
	s_and_b32 s12, s12, 3
	s_mov_b32 s13, s23
	s_or_b64 s[12:13], s[22:23], s[12:13]
	s_delay_alu instid0(SALU_CYCLE_1) | instskip(SKIP_1) | instid1(SALU_CYCLE_1)
	s_cmp_eq_u64 s[12:13], 0
	s_cselect_b32 s12, -1, 0
	s_and_b32 s12, s24, s12
	s_delay_alu instid0(SALU_CYCLE_1)
	s_and_b32 vcc_lo, exec_lo, s12
	s_mov_b32 s12, -1
	s_cbranch_vccnz .LBB27_45
; %bb.1:
	v_cmp_lt_i64_e64 s12, s[8:9], 1
	s_delay_alu instid0(VALU_DEP_1)
	s_and_b32 vcc_lo, exec_lo, s12
	s_cbranch_vccnz .LBB27_44
; %bb.2:
	s_load_b32 s12, s[0:1], 0xc64
	v_dual_mov_b32 v2, 0 :: v_dual_lshlrev_b32 v1, 3, v0
	s_waitcnt lgkmcnt(0)
	v_cmp_neq_f64_e64 s22, s[6:7], 1.0
	v_cmp_gt_u64_e64 s13, 0x10000, s[8:9]
	s_delay_alu instid0(VALU_DEP_3) | instskip(NEXT) | instid1(VALU_DEP_1)
	v_add_co_u32 v27, s23, s2, v1
	v_add_co_ci_u32_e64 v28, null, s3, 0, s23
	v_add_co_u32 v29, s23, s4, v1
	s_delay_alu instid0(VALU_DEP_1)
	v_add_co_ci_u32_e64 v30, null, s5, 0, s23
	s_and_b32 s24, s12, 0xffff
	v_add_co_u32 v31, s12, s14, v1
	v_mad_u64_u32 v[3:4], null, s24, 24, v[1:2]
	v_add_co_ci_u32_e64 v32, null, s15, 0, s12
	s_and_b32 s12, s13, exec_lo
	s_cselect_b32 s13, s9, 0
	s_cselect_b32 s12, s8, 0x10000
	s_lshl_b32 s26, s24, 4
	s_delay_alu instid0(VALU_DEP_2) | instskip(NEXT) | instid1(VALU_DEP_3)
	v_add_co_u32 v33, vcc_lo, s2, v3
	v_add_co_ci_u32_e32 v34, vcc_lo, s3, v4, vcc_lo
	v_add_co_u32 v35, vcc_lo, s4, v3
	v_add_co_u32 v1, s26, s26, v1
	v_add_co_ci_u32_e32 v36, vcc_lo, s5, v4, vcc_lo
	s_mul_i32 s25, s24, 3
	v_add_co_u32 v37, vcc_lo, s14, v3
	v_add_co_ci_u32_e64 v2, null, 0, 0, s26
	v_add_co_ci_u32_e32 v38, vcc_lo, s15, v4, vcc_lo
	v_add_co_u32 v39, s25, s25, v0
	v_add_co_u32 v41, vcc_lo, s2, v1
	v_add_co_ci_u32_e64 v40, null, 0, 0, s25
	v_add_co_u32 v45, s25, v0, s24
	v_add_co_ci_u32_e32 v42, vcc_lo, s3, v2, vcc_lo
	v_add_co_u32 v43, vcc_lo, s4, v1
	v_add_co_ci_u32_e32 v44, vcc_lo, s5, v2, vcc_lo
	v_add_co_u32 v46, vcc_lo, s14, v1
	v_lshlrev_b32_e32 v1, 3, v45
	s_lshl_b32 s23, s24, 1
	v_add_co_ci_u32_e32 v47, vcc_lo, s15, v2, vcc_lo
	v_add_co_u32 v49, s23, s23, v0
	s_delay_alu instid0(VALU_DEP_3) | instskip(NEXT) | instid1(VALU_DEP_1)
	v_add_co_u32 v51, s2, s2, v1
	v_add_co_ci_u32_e64 v52, null, s3, 0, s2
	v_add_co_u32 v53, s2, s4, v1
	s_delay_alu instid0(VALU_DEP_1)
	v_add_co_ci_u32_e64 v54, null, s5, 0, s2
	v_add_co_u32 v55, s2, s14, v1
	v_add_co_ci_u32_e64 v48, null, 0, 0, s25
	v_add_co_ci_u32_e64 v50, null, 0, 0, s23
	;; [unrolled: 1-line block ×3, first 2 shown]
	s_lshl_b32 s23, s24, 2
	s_lshl_b32 s24, s24, 5
	s_mov_b64 s[14:15], 0
	s_branch .LBB27_4
.LBB27_3:                               ;   in Loop: Header=BB27_4 Depth=1
	s_or_b32 exec_lo, exec_lo, s2
	v_add_co_u32 v27, vcc_lo, v27, s24
	v_add_co_ci_u32_e32 v28, vcc_lo, 0, v28, vcc_lo
	v_add_co_u32 v29, vcc_lo, v29, s24
	v_add_co_ci_u32_e32 v30, vcc_lo, 0, v30, vcc_lo
	v_add_co_u32 v31, vcc_lo, v31, s24
	v_add_co_ci_u32_e32 v32, vcc_lo, 0, v32, vcc_lo
	v_add_co_u32 v33, vcc_lo, v33, s24
	v_add_co_ci_u32_e32 v34, vcc_lo, 0, v34, vcc_lo
	v_add_co_u32 v35, vcc_lo, v35, s24
	v_add_co_ci_u32_e32 v36, vcc_lo, 0, v36, vcc_lo
	v_add_co_u32 v37, vcc_lo, v37, s24
	v_add_co_ci_u32_e32 v38, vcc_lo, 0, v38, vcc_lo
	v_add_co_u32 v41, vcc_lo, v41, s24
	v_add_co_ci_u32_e32 v42, vcc_lo, 0, v42, vcc_lo
	v_add_co_u32 v43, vcc_lo, v43, s24
	v_add_co_ci_u32_e32 v44, vcc_lo, 0, v44, vcc_lo
	v_add_co_u32 v46, vcc_lo, v46, s24
	v_add_co_ci_u32_e32 v47, vcc_lo, 0, v47, vcc_lo
	s_add_u32 s14, s14, s23
	v_add_co_u32 v51, vcc_lo, v51, s24
	s_addc_u32 s15, s15, 0
	v_add_co_ci_u32_e32 v52, vcc_lo, 0, v52, vcc_lo
	v_cmp_ge_i64_e64 s2, s[14:15], s[8:9]
	v_cmp_lt_u64_e64 s3, 0xffff, s[14:15]
	v_add_co_u32 v53, vcc_lo, v53, s24
	v_add_co_ci_u32_e32 v54, vcc_lo, 0, v54, vcc_lo
	v_add_co_u32 v55, vcc_lo, v55, s24
	v_add_co_ci_u32_e32 v56, vcc_lo, 0, v56, vcc_lo
	s_or_b32 s2, s2, s3
	s_delay_alu instid0(SALU_CYCLE_1)
	s_and_b32 vcc_lo, exec_lo, s2
	s_cbranch_vccnz .LBB27_44
.LBB27_4:                               ; =>This Inner Loop Header: Depth=1
	s_waitcnt vmcnt(1)
	v_add_co_u32 v3, s2, v0, s14
	s_delay_alu instid0(VALU_DEP_1) | instskip(SKIP_3) | instid1(VALU_DEP_3)
	v_add_co_ci_u32_e64 v4, null, 0, s15, s2
	s_waitcnt vmcnt(0)
	v_mov_b32_e32 v1, 0
	v_mov_b32_e32 v2, 0
	v_cmp_gt_u64_e64 s2, s[12:13], v[3:4]
	s_delay_alu instid0(VALU_DEP_2) | instskip(SKIP_1) | instid1(VALU_DEP_3)
	v_dual_mov_b32 v4, v2 :: v_dual_mov_b32 v3, v1
	v_dual_mov_b32 v6, v2 :: v_dual_mov_b32 v5, v1
	s_and_saveexec_b32 s3, s2
	s_cbranch_execz .LBB27_6
; %bb.5:                                ;   in Loop: Header=BB27_4 Depth=1
	v_add_co_u32 v3, vcc_lo, v27, s10
	v_add_co_ci_u32_e32 v4, vcc_lo, s11, v28, vcc_lo
	v_add_co_u32 v5, vcc_lo, v29, s10
	v_add_co_ci_u32_e32 v6, vcc_lo, s11, v30, vcc_lo
	global_load_b64 v[3:4], v[3:4], off
	global_load_b64 v[5:6], v[5:6], off
.LBB27_6:                               ;   in Loop: Header=BB27_4 Depth=1
	s_or_b32 exec_lo, exec_lo, s3
	s_and_saveexec_b32 s3, s2
	s_cbranch_execz .LBB27_8
; %bb.7:                                ;   in Loop: Header=BB27_4 Depth=1
	v_add_co_u32 v1, vcc_lo, v31, s10
	v_add_co_ci_u32_e32 v2, vcc_lo, s11, v32, vcc_lo
	global_load_b64 v[1:2], v[1:2], off
.LBB27_8:                               ;   in Loop: Header=BB27_4 Depth=1
	s_or_b32 exec_lo, exec_lo, s3
	v_add_co_u32 v9, vcc_lo, v45, s14
	v_add_co_ci_u32_e32 v10, vcc_lo, s15, v48, vcc_lo
	v_mov_b32_e32 v7, 0
	v_mov_b32_e32 v8, 0
	s_delay_alu instid0(VALU_DEP_3) | instskip(NEXT) | instid1(VALU_DEP_2)
	v_cmp_gt_u64_e64 s3, s[12:13], v[9:10]
	v_dual_mov_b32 v10, v8 :: v_dual_mov_b32 v9, v7
	v_dual_mov_b32 v12, v8 :: v_dual_mov_b32 v11, v7
	s_delay_alu instid0(VALU_DEP_3)
	s_and_saveexec_b32 s4, s3
	s_cbranch_execz .LBB27_10
; %bb.9:                                ;   in Loop: Header=BB27_4 Depth=1
	v_add_co_u32 v9, vcc_lo, v51, s10
	v_add_co_ci_u32_e32 v10, vcc_lo, s11, v52, vcc_lo
	v_add_co_u32 v11, vcc_lo, v53, s10
	v_add_co_ci_u32_e32 v12, vcc_lo, s11, v54, vcc_lo
	global_load_b64 v[9:10], v[9:10], off
	global_load_b64 v[11:12], v[11:12], off
.LBB27_10:                              ;   in Loop: Header=BB27_4 Depth=1
	s_or_b32 exec_lo, exec_lo, s4
	s_and_saveexec_b32 s4, s3
	s_cbranch_execz .LBB27_12
; %bb.11:                               ;   in Loop: Header=BB27_4 Depth=1
	v_add_co_u32 v7, vcc_lo, v55, s10
	v_add_co_ci_u32_e32 v8, vcc_lo, s11, v56, vcc_lo
	global_load_b64 v[7:8], v[7:8], off
.LBB27_12:                              ;   in Loop: Header=BB27_4 Depth=1
	s_or_b32 exec_lo, exec_lo, s4
	v_add_co_u32 v15, vcc_lo, v49, s14
	v_add_co_ci_u32_e32 v16, vcc_lo, s15, v50, vcc_lo
	v_mov_b32_e32 v13, 0
	v_mov_b32_e32 v14, 0
	s_delay_alu instid0(VALU_DEP_3) | instskip(NEXT) | instid1(VALU_DEP_2)
	v_cmp_gt_u64_e64 s4, s[12:13], v[15:16]
	v_dual_mov_b32 v16, v14 :: v_dual_mov_b32 v15, v13
	v_dual_mov_b32 v18, v14 :: v_dual_mov_b32 v17, v13
	s_delay_alu instid0(VALU_DEP_3)
	s_and_saveexec_b32 s5, s4
	s_cbranch_execz .LBB27_14
; %bb.13:                               ;   in Loop: Header=BB27_4 Depth=1
	v_add_co_u32 v15, vcc_lo, v41, s10
	v_add_co_ci_u32_e32 v16, vcc_lo, s11, v42, vcc_lo
	v_add_co_u32 v17, vcc_lo, v43, s10
	v_add_co_ci_u32_e32 v18, vcc_lo, s11, v44, vcc_lo
	global_load_b64 v[15:16], v[15:16], off
	global_load_b64 v[17:18], v[17:18], off
.LBB27_14:                              ;   in Loop: Header=BB27_4 Depth=1
	s_or_b32 exec_lo, exec_lo, s5
	s_and_saveexec_b32 s5, s4
	s_cbranch_execz .LBB27_16
; %bb.15:                               ;   in Loop: Header=BB27_4 Depth=1
	v_add_co_u32 v13, vcc_lo, v46, s10
	v_add_co_ci_u32_e32 v14, vcc_lo, s11, v47, vcc_lo
	global_load_b64 v[13:14], v[13:14], off
.LBB27_16:                              ;   in Loop: Header=BB27_4 Depth=1
	s_or_b32 exec_lo, exec_lo, s5
	v_add_co_u32 v21, vcc_lo, v39, s14
	v_add_co_ci_u32_e32 v22, vcc_lo, s15, v40, vcc_lo
	v_mov_b32_e32 v19, 0
	v_mov_b32_e32 v20, 0
	s_delay_alu instid0(VALU_DEP_3) | instskip(NEXT) | instid1(VALU_DEP_2)
	v_cmp_gt_u64_e64 s5, s[12:13], v[21:22]
	v_dual_mov_b32 v22, v20 :: v_dual_mov_b32 v21, v19
	v_dual_mov_b32 v24, v20 :: v_dual_mov_b32 v23, v19
	s_delay_alu instid0(VALU_DEP_3)
	s_and_saveexec_b32 s25, s5
	s_cbranch_execnz .LBB27_34
; %bb.17:                               ;   in Loop: Header=BB27_4 Depth=1
	s_or_b32 exec_lo, exec_lo, s25
	s_and_saveexec_b32 s25, s5
	s_cbranch_execnz .LBB27_35
.LBB27_18:                              ;   in Loop: Header=BB27_4 Depth=1
	s_or_b32 exec_lo, exec_lo, s25
	s_delay_alu instid0(SALU_CYCLE_1)
	s_and_b32 vcc_lo, exec_lo, s22
	s_cbranch_vccz .LBB27_36
.LBB27_19:                              ;   in Loop: Header=BB27_4 Depth=1
	s_waitcnt vmcnt(0)
	v_mul_f64 v[25:26], v[5:6], v[1:2]
	s_delay_alu instid0(VALU_DEP_1)
	v_fma_f64 v[25:26], s[6:7], v[25:26], v[3:4]
	s_cbranch_execnz .LBB27_21
.LBB27_20:                              ;   in Loop: Header=BB27_4 Depth=1
	s_waitcnt vmcnt(0)
	v_fma_f64 v[25:26], v[5:6], v[1:2], v[3:4]
.LBB27_21:                              ;   in Loop: Header=BB27_4 Depth=1
	s_and_not1_b32 vcc_lo, exec_lo, s22
	s_cbranch_vccnz .LBB27_41
; %bb.22:                               ;   in Loop: Header=BB27_4 Depth=1
	s_waitcnt vmcnt(0)
	v_mul_f64 v[1:2], v[11:12], v[7:8]
	s_delay_alu instid0(VALU_DEP_1)
	v_fma_f64 v[1:2], s[6:7], v[1:2], v[9:10]
	s_cbranch_execnz .LBB27_24
.LBB27_23:                              ;   in Loop: Header=BB27_4 Depth=1
	s_waitcnt vmcnt(0)
	v_fma_f64 v[1:2], v[11:12], v[7:8], v[9:10]
.LBB27_24:                              ;   in Loop: Header=BB27_4 Depth=1
	s_and_not1_b32 vcc_lo, exec_lo, s22
	s_cbranch_vccnz .LBB27_42
; %bb.25:                               ;   in Loop: Header=BB27_4 Depth=1
	s_waitcnt vmcnt(0)
	v_mul_f64 v[3:4], v[17:18], v[13:14]
	s_delay_alu instid0(VALU_DEP_1)
	v_fma_f64 v[3:4], s[6:7], v[3:4], v[15:16]
	s_cbranch_execnz .LBB27_27
.LBB27_26:                              ;   in Loop: Header=BB27_4 Depth=1
	s_waitcnt vmcnt(0)
	v_fma_f64 v[3:4], v[17:18], v[13:14], v[15:16]
.LBB27_27:                              ;   in Loop: Header=BB27_4 Depth=1
	s_and_not1_b32 vcc_lo, exec_lo, s22
	s_cbranch_vccnz .LBB27_43
; %bb.28:                               ;   in Loop: Header=BB27_4 Depth=1
	s_waitcnt vmcnt(0)
	v_mul_f64 v[5:6], v[23:24], v[19:20]
	s_delay_alu instid0(VALU_DEP_1)
	v_fma_f64 v[5:6], s[6:7], v[5:6], v[21:22]
	s_cbranch_execnz .LBB27_30
.LBB27_29:                              ;   in Loop: Header=BB27_4 Depth=1
	s_waitcnt vmcnt(0)
	v_fma_f64 v[5:6], v[23:24], v[19:20], v[21:22]
.LBB27_30:                              ;   in Loop: Header=BB27_4 Depth=1
	s_and_saveexec_b32 s25, s2
	s_delay_alu instid0(SALU_CYCLE_1)
	s_xor_b32 s2, exec_lo, s25
	s_cbranch_execnz .LBB27_37
; %bb.31:                               ;   in Loop: Header=BB27_4 Depth=1
	s_or_b32 exec_lo, exec_lo, s2
	s_and_saveexec_b32 s2, s3
	s_cbranch_execnz .LBB27_38
.LBB27_32:                              ;   in Loop: Header=BB27_4 Depth=1
	s_or_b32 exec_lo, exec_lo, s2
	s_and_saveexec_b32 s2, s4
	s_cbranch_execnz .LBB27_39
.LBB27_33:                              ;   in Loop: Header=BB27_4 Depth=1
	s_or_b32 exec_lo, exec_lo, s2
	s_and_saveexec_b32 s2, s5
	s_cbranch_execz .LBB27_3
	s_branch .LBB27_40
.LBB27_34:                              ;   in Loop: Header=BB27_4 Depth=1
	v_add_co_u32 v21, vcc_lo, v33, s10
	v_add_co_ci_u32_e32 v22, vcc_lo, s11, v34, vcc_lo
	v_add_co_u32 v23, vcc_lo, v35, s10
	v_add_co_ci_u32_e32 v24, vcc_lo, s11, v36, vcc_lo
	global_load_b64 v[21:22], v[21:22], off
	global_load_b64 v[23:24], v[23:24], off
	s_or_b32 exec_lo, exec_lo, s25
	s_and_saveexec_b32 s25, s5
	s_cbranch_execz .LBB27_18
.LBB27_35:                              ;   in Loop: Header=BB27_4 Depth=1
	v_add_co_u32 v19, vcc_lo, v37, s10
	v_add_co_ci_u32_e32 v20, vcc_lo, s11, v38, vcc_lo
	global_load_b64 v[19:20], v[19:20], off
	s_or_b32 exec_lo, exec_lo, s25
	s_delay_alu instid0(SALU_CYCLE_1)
	s_and_b32 vcc_lo, exec_lo, s22
	s_cbranch_vccnz .LBB27_19
.LBB27_36:                              ;   in Loop: Header=BB27_4 Depth=1
                                        ; implicit-def: $vgpr25_vgpr26
	s_branch .LBB27_20
.LBB27_37:                              ;   in Loop: Header=BB27_4 Depth=1
	s_waitcnt vmcnt(0)
	v_add_co_u32 v7, vcc_lo, v27, s10
	v_add_co_ci_u32_e32 v8, vcc_lo, s11, v28, vcc_lo
	global_store_b64 v[7:8], v[25:26], off
	s_or_b32 exec_lo, exec_lo, s2
	s_and_saveexec_b32 s2, s3
	s_cbranch_execz .LBB27_32
.LBB27_38:                              ;   in Loop: Header=BB27_4 Depth=1
	s_waitcnt vmcnt(0)
	v_add_co_u32 v7, vcc_lo, v51, s10
	v_add_co_ci_u32_e32 v8, vcc_lo, s11, v52, vcc_lo
	global_store_b64 v[7:8], v[1:2], off
	s_or_b32 exec_lo, exec_lo, s2
	s_and_saveexec_b32 s2, s4
	s_cbranch_execz .LBB27_33
.LBB27_39:                              ;   in Loop: Header=BB27_4 Depth=1
	s_waitcnt vmcnt(0)
	v_add_co_u32 v1, vcc_lo, v41, s10
	v_add_co_ci_u32_e32 v2, vcc_lo, s11, v42, vcc_lo
	global_store_b64 v[1:2], v[3:4], off
	s_or_b32 exec_lo, exec_lo, s2
	s_and_saveexec_b32 s2, s5
	s_cbranch_execz .LBB27_3
.LBB27_40:                              ;   in Loop: Header=BB27_4 Depth=1
	s_waitcnt vmcnt(0)
	v_add_co_u32 v1, vcc_lo, v33, s10
	v_add_co_ci_u32_e32 v2, vcc_lo, s11, v34, vcc_lo
	global_store_b64 v[1:2], v[5:6], off
	s_branch .LBB27_3
.LBB27_41:                              ;   in Loop: Header=BB27_4 Depth=1
                                        ; implicit-def: $vgpr1_vgpr2
	s_branch .LBB27_23
.LBB27_42:                              ;   in Loop: Header=BB27_4 Depth=1
                                        ; implicit-def: $vgpr3_vgpr4
	s_branch .LBB27_26
.LBB27_43:                              ;   in Loop: Header=BB27_4 Depth=1
                                        ; implicit-def: $vgpr5_vgpr6
	s_branch .LBB27_29
.LBB27_44:
	s_mov_b32 s12, 0
.LBB27_45:
	s_delay_alu instid0(SALU_CYCLE_1)
	s_and_not1_b32 vcc_lo, exec_lo, s12
	s_cbranch_vccnz .LBB27_65
; %bb.46:
	v_dual_mov_b32 v29, 0 :: v_dual_lshlrev_b32 v28, 2, v0
	s_mov_b32 s2, 0
	s_mov_b32 s3, exec_lo
	s_delay_alu instid0(VALU_DEP_1)
	v_cmpx_gt_i64_e64 s[8:9], v[28:29]
	s_cbranch_execz .LBB27_65
; %bb.47:
	s_load_b32 s0, s[0:1], 0xc64
	s_waitcnt lgkmcnt(0)
	v_cmp_neq_f64_e64 s1, s[6:7], 1.0
	v_lshlrev_b32_e32 v32, 5, v0
	s_and_b32 s0, s0, 0xffff
	s_delay_alu instid0(SALU_CYCLE_1)
	v_add_lshl_u32 v28, v0, s0, 2
	s_lshl_b32 s3, s0, 2
	s_lshl_b32 s4, s0, 5
	s_branch .LBB27_49
.LBB27_48:                              ;   in Loop: Header=BB27_49 Depth=1
	v_cmp_le_i64_e32 vcc_lo, s[8:9], v[28:29]
	v_cmp_lt_u64_e64 s0, 0xffff, v[28:29]
	global_store_b128 v[30:31], v[0:3], off
	s_waitcnt vmcnt(4)
	global_store_b128 v[30:31], v[16:19], off offset:16
	s_or_b32 s0, vcc_lo, s0
	s_add_u32 s16, s16, s4
	s_addc_u32 s17, s17, 0
	s_add_u32 s20, s20, s4
	v_add_co_u32 v28, vcc_lo, v28, s3
	s_addc_u32 s21, s21, 0
	s_add_u32 s18, s18, s4
	v_add_co_ci_u32_e32 v29, vcc_lo, 0, v29, vcc_lo
	s_addc_u32 s19, s19, 0
	s_and_b32 s0, exec_lo, s0
	s_delay_alu instid0(SALU_CYCLE_1) | instskip(NEXT) | instid1(SALU_CYCLE_1)
	s_or_b32 s2, s0, s2
	s_and_not1_b32 exec_lo, exec_lo, s2
	s_cbranch_execz .LBB27_65
.LBB27_49:                              ; =>This Inner Loop Header: Depth=1
	v_add_co_u32 v30, s0, s16, v32
	s_delay_alu instid0(VALU_DEP_1) | instskip(SKIP_4) | instid1(VALU_DEP_1)
	v_add_co_ci_u32_e64 v31, null, s17, 0, s0
	v_add_co_u32 v0, s0, s18, v32
	s_waitcnt vmcnt(0)
	v_add_co_ci_u32_e64 v1, null, s19, 0, s0
	v_add_co_u32 v2, s0, s20, v32
	v_add_co_ci_u32_e64 v3, null, s21, 0, s0
	s_clause 0x1
	global_load_b128 v[4:7], v[30:31], off offset:16
	global_load_b128 v[16:19], v[30:31], off
	s_clause 0x1
	global_load_b128 v[8:11], v[0:1], off offset:16
	global_load_b128 v[20:23], v[0:1], off
	;; [unrolled: 3-line block ×3, first 2 shown]
	s_and_b32 vcc_lo, exec_lo, s1
	s_cbranch_vccz .LBB27_60
; %bb.50:                               ;   in Loop: Header=BB27_49 Depth=1
	s_waitcnt vmcnt(0)
	v_mul_f64 v[0:1], v[20:21], v[24:25]
	s_delay_alu instid0(VALU_DEP_1)
	v_fma_f64 v[0:1], s[6:7], v[0:1], v[16:17]
	s_cbranch_execnz .LBB27_52
.LBB27_51:                              ;   in Loop: Header=BB27_49 Depth=1
	s_waitcnt vmcnt(0)
	v_fma_f64 v[0:1], v[20:21], v[24:25], v[16:17]
.LBB27_52:                              ;   in Loop: Header=BB27_49 Depth=1
	s_and_not1_b32 vcc_lo, exec_lo, s1
	s_cbranch_vccnz .LBB27_61
; %bb.53:                               ;   in Loop: Header=BB27_49 Depth=1
	s_waitcnt vmcnt(0)
	v_mul_f64 v[2:3], v[22:23], v[26:27]
	s_delay_alu instid0(VALU_DEP_1)
	v_fma_f64 v[2:3], s[6:7], v[2:3], v[18:19]
	s_cbranch_execnz .LBB27_55
.LBB27_54:                              ;   in Loop: Header=BB27_49 Depth=1
	s_waitcnt vmcnt(0)
	v_fma_f64 v[2:3], v[22:23], v[26:27], v[18:19]
.LBB27_55:                              ;   in Loop: Header=BB27_49 Depth=1
	s_and_not1_b32 vcc_lo, exec_lo, s1
	s_cbranch_vccnz .LBB27_62
; %bb.56:                               ;   in Loop: Header=BB27_49 Depth=1
	s_waitcnt vmcnt(1)
	v_mul_f64 v[16:17], v[8:9], v[12:13]
	s_delay_alu instid0(VALU_DEP_1)
	v_fma_f64 v[16:17], s[6:7], v[16:17], v[4:5]
	s_cbranch_execnz .LBB27_58
.LBB27_57:                              ;   in Loop: Header=BB27_49 Depth=1
	s_waitcnt vmcnt(1)
	v_fma_f64 v[16:17], v[8:9], v[12:13], v[4:5]
.LBB27_58:                              ;   in Loop: Header=BB27_49 Depth=1
	s_and_not1_b32 vcc_lo, exec_lo, s1
	s_cbranch_vccnz .LBB27_63
; %bb.59:                               ;   in Loop: Header=BB27_49 Depth=1
	s_waitcnt vmcnt(1)
	v_mul_f64 v[4:5], v[10:11], v[14:15]
	s_delay_alu instid0(VALU_DEP_1)
	v_fma_f64 v[18:19], s[6:7], v[4:5], v[6:7]
	s_cbranch_execnz .LBB27_48
	s_branch .LBB27_64
.LBB27_60:                              ;   in Loop: Header=BB27_49 Depth=1
                                        ; implicit-def: $vgpr0_vgpr1
	s_branch .LBB27_51
.LBB27_61:                              ;   in Loop: Header=BB27_49 Depth=1
	s_branch .LBB27_54
.LBB27_62:                              ;   in Loop: Header=BB27_49 Depth=1
                                        ; implicit-def: $vgpr16_vgpr17
	s_branch .LBB27_57
.LBB27_63:                              ;   in Loop: Header=BB27_49 Depth=1
.LBB27_64:                              ;   in Loop: Header=BB27_49 Depth=1
	s_waitcnt vmcnt(1)
	v_fma_f64 v[18:19], v[10:11], v[14:15], v[6:7]
	s_branch .LBB27_48
.LBB27_65:
	s_nop 0
	s_sendmsg sendmsg(MSG_DEALLOC_VGPRS)
	s_endpgm
	.section	.rodata,"a",@progbits
	.p2align	6, 0x0
	.amdhsa_kernel _ZN2at6native12_GLOBAL__N_125multi_tensor_apply_kernelINS1_18TensorListMetadataILi3EEENS1_24PointwiseOpScalarFunctorIdLi3ELi3ELi0EEEJSt10multipliesIdEdEEEvT_T0_DpT1_
		.amdhsa_group_segment_fixed_size 0
		.amdhsa_private_segment_fixed_size 0
		.amdhsa_kernarg_size 3416
		.amdhsa_user_sgpr_count 15
		.amdhsa_user_sgpr_dispatch_ptr 0
		.amdhsa_user_sgpr_queue_ptr 0
		.amdhsa_user_sgpr_kernarg_segment_ptr 1
		.amdhsa_user_sgpr_dispatch_id 0
		.amdhsa_user_sgpr_private_segment_size 0
		.amdhsa_wavefront_size32 1
		.amdhsa_uses_dynamic_stack 0
		.amdhsa_enable_private_segment 0
		.amdhsa_system_sgpr_workgroup_id_x 1
		.amdhsa_system_sgpr_workgroup_id_y 0
		.amdhsa_system_sgpr_workgroup_id_z 0
		.amdhsa_system_sgpr_workgroup_info 0
		.amdhsa_system_vgpr_workitem_id 0
		.amdhsa_next_free_vgpr 57
		.amdhsa_next_free_sgpr 27
		.amdhsa_reserve_vcc 1
		.amdhsa_float_round_mode_32 0
		.amdhsa_float_round_mode_16_64 0
		.amdhsa_float_denorm_mode_32 3
		.amdhsa_float_denorm_mode_16_64 3
		.amdhsa_dx10_clamp 1
		.amdhsa_ieee_mode 1
		.amdhsa_fp16_overflow 0
		.amdhsa_workgroup_processor_mode 1
		.amdhsa_memory_ordered 1
		.amdhsa_forward_progress 0
		.amdhsa_shared_vgpr_count 0
		.amdhsa_exception_fp_ieee_invalid_op 0
		.amdhsa_exception_fp_denorm_src 0
		.amdhsa_exception_fp_ieee_div_zero 0
		.amdhsa_exception_fp_ieee_overflow 0
		.amdhsa_exception_fp_ieee_underflow 0
		.amdhsa_exception_fp_ieee_inexact 0
		.amdhsa_exception_int_div_zero 0
	.end_amdhsa_kernel
	.section	.text._ZN2at6native12_GLOBAL__N_125multi_tensor_apply_kernelINS1_18TensorListMetadataILi3EEENS1_24PointwiseOpScalarFunctorIdLi3ELi3ELi0EEEJSt10multipliesIdEdEEEvT_T0_DpT1_,"axG",@progbits,_ZN2at6native12_GLOBAL__N_125multi_tensor_apply_kernelINS1_18TensorListMetadataILi3EEENS1_24PointwiseOpScalarFunctorIdLi3ELi3ELi0EEEJSt10multipliesIdEdEEEvT_T0_DpT1_,comdat
.Lfunc_end27:
	.size	_ZN2at6native12_GLOBAL__N_125multi_tensor_apply_kernelINS1_18TensorListMetadataILi3EEENS1_24PointwiseOpScalarFunctorIdLi3ELi3ELi0EEEJSt10multipliesIdEdEEEvT_T0_DpT1_, .Lfunc_end27-_ZN2at6native12_GLOBAL__N_125multi_tensor_apply_kernelINS1_18TensorListMetadataILi3EEENS1_24PointwiseOpScalarFunctorIdLi3ELi3ELi0EEEJSt10multipliesIdEdEEEvT_T0_DpT1_
                                        ; -- End function
	.section	.AMDGPU.csdata,"",@progbits
; Kernel info:
; codeLenInByte = 2328
; NumSgprs: 29
; NumVgprs: 57
; ScratchSize: 0
; MemoryBound: 1
; FloatMode: 240
; IeeeMode: 1
; LDSByteSize: 0 bytes/workgroup (compile time only)
; SGPRBlocks: 3
; VGPRBlocks: 7
; NumSGPRsForWavesPerEU: 29
; NumVGPRsForWavesPerEU: 57
; Occupancy: 16
; WaveLimiterHint : 0
; COMPUTE_PGM_RSRC2:SCRATCH_EN: 0
; COMPUTE_PGM_RSRC2:USER_SGPR: 15
; COMPUTE_PGM_RSRC2:TRAP_HANDLER: 0
; COMPUTE_PGM_RSRC2:TGID_X_EN: 1
; COMPUTE_PGM_RSRC2:TGID_Y_EN: 0
; COMPUTE_PGM_RSRC2:TGID_Z_EN: 0
; COMPUTE_PGM_RSRC2:TIDIG_COMP_CNT: 0
	.section	.text._ZN2at6native12_GLOBAL__N_125multi_tensor_apply_kernelINS1_18TensorListMetadataILi3EEENS1_24PointwiseOpScalarFunctorIfLi3ELi3ELi0EEEJSt10multipliesIfEfEEEvT_T0_DpT1_,"axG",@progbits,_ZN2at6native12_GLOBAL__N_125multi_tensor_apply_kernelINS1_18TensorListMetadataILi3EEENS1_24PointwiseOpScalarFunctorIfLi3ELi3ELi0EEEJSt10multipliesIfEfEEEvT_T0_DpT1_,comdat
	.globl	_ZN2at6native12_GLOBAL__N_125multi_tensor_apply_kernelINS1_18TensorListMetadataILi3EEENS1_24PointwiseOpScalarFunctorIfLi3ELi3ELi0EEEJSt10multipliesIfEfEEEvT_T0_DpT1_ ; -- Begin function _ZN2at6native12_GLOBAL__N_125multi_tensor_apply_kernelINS1_18TensorListMetadataILi3EEENS1_24PointwiseOpScalarFunctorIfLi3ELi3ELi0EEEJSt10multipliesIfEfEEEvT_T0_DpT1_
	.p2align	8
	.type	_ZN2at6native12_GLOBAL__N_125multi_tensor_apply_kernelINS1_18TensorListMetadataILi3EEENS1_24PointwiseOpScalarFunctorIfLi3ELi3ELi0EEEJSt10multipliesIfEfEEEvT_T0_DpT1_,@function
_ZN2at6native12_GLOBAL__N_125multi_tensor_apply_kernelINS1_18TensorListMetadataILi3EEENS1_24PointwiseOpScalarFunctorIfLi3ELi3ELi0EEEJSt10multipliesIfEfEEEvT_T0_DpT1_: ; @_ZN2at6native12_GLOBAL__N_125multi_tensor_apply_kernelINS1_18TensorListMetadataILi3EEENS1_24PointwiseOpScalarFunctorIfLi3ELi3ELi0EEEJSt10multipliesIfEfEEEvT_T0_DpT1_
; %bb.0:
	v_mov_b32_e32 v1, s15
	s_add_u32 s2, s0, s15
	s_mul_hi_u32 s3, s15, 3
	s_mul_i32 s15, s15, 3
	s_addc_u32 s4, s1, 0
	global_load_u8 v1, v1, s[0:1] offset:1536
	s_add_u32 s2, s2, s15
	s_addc_u32 s3, s4, s3
	s_mov_b32 s23, 0
	s_load_b32 s6, s[2:3], 0x740
	s_waitcnt vmcnt(0)
	v_readfirstlane_b32 s2, v1
	s_delay_alu instid0(VALU_DEP_1)
	s_lshl_b32 s7, s2, 3
	s_clause 0x3
	s_load_b64 s[2:3], s[0:1], s7 offset:0x0
	s_load_b64 s[4:5], s[0:1], s7 offset:0x180
	;; [unrolled: 1-line block ×4, first 2 shown]
	s_waitcnt lgkmcnt(0)
	s_ashr_i32 s7, s6, 31
	s_delay_alu instid0(SALU_CYCLE_1) | instskip(NEXT) | instid1(SALU_CYCLE_1)
	s_lshl_b64 s[8:9], s[6:7], 18
	s_add_u32 s14, s2, s8
	s_addc_u32 s15, s3, s9
	s_and_b32 s22, s14, 15
	s_add_u32 s16, s4, s8
	s_addc_u32 s17, s5, s9
	s_add_u32 s18, s12, s8
	s_addc_u32 s19, s13, s9
	s_or_b32 s20, s18, s16
	s_delay_alu instid0(SALU_CYCLE_1) | instskip(NEXT) | instid1(SALU_CYCLE_1)
	s_and_b32 s20, s20, 15
	s_cmp_eq_u32 s20, 0
	s_load_b32 s20, s[0:1], 0xc4c
	s_cselect_b32 s21, -1, 0
	s_lshl_b64 s[6:7], s[6:7], 16
	s_delay_alu instid0(SALU_CYCLE_1) | instskip(SKIP_3) | instid1(SALU_CYCLE_1)
	s_sub_u32 s6, s10, s6
	s_subb_u32 s7, s11, s7
	s_and_b32 s10, s10, 3
	s_mov_b32 s11, s23
	s_or_b64 s[10:11], s[22:23], s[10:11]
	s_delay_alu instid0(SALU_CYCLE_1) | instskip(SKIP_1) | instid1(SALU_CYCLE_1)
	s_cmp_eq_u64 s[10:11], 0
	s_cselect_b32 s10, -1, 0
	s_and_b32 s10, s21, s10
	s_delay_alu instid0(SALU_CYCLE_1)
	s_and_b32 vcc_lo, exec_lo, s10
	s_mov_b32 s10, -1
	s_cbranch_vccnz .LBB28_45
; %bb.1:
	v_cmp_lt_i64_e64 s10, s[6:7], 1
	s_delay_alu instid0(VALU_DEP_1)
	s_and_b32 vcc_lo, exec_lo, s10
	s_cbranch_vccnz .LBB28_44
; %bb.2:
	s_load_b32 s10, s[0:1], 0xc5c
	v_dual_mov_b32 v14, 0 :: v_dual_lshlrev_b32 v13, 2, v0
	v_cmp_gt_u64_e64 s11, 0x10000, s[6:7]
	s_waitcnt lgkmcnt(0)
	v_cmp_neq_f32_e64 s21, s20, 1.0
	s_delay_alu instid0(VALU_DEP_3) | instskip(NEXT) | instid1(VALU_DEP_1)
	v_add_co_u32 v1, s22, s2, v13
	v_add_co_ci_u32_e64 v2, null, s3, 0, s22
	v_add_co_u32 v3, s22, s4, v13
	s_delay_alu instid0(VALU_DEP_1)
	v_add_co_ci_u32_e64 v4, null, s5, 0, s22
	s_and_b32 s23, s10, 0xffff
	v_add_co_u32 v5, s10, s12, v13
	v_mad_u64_u32 v[11:12], null, s23, 12, v[13:14]
	v_add_co_ci_u32_e64 v6, null, s13, 0, s10
	s_and_b32 s10, s11, exec_lo
	s_cselect_b32 s11, s7, 0
	s_cselect_b32 s10, s6, 0x10000
	s_mul_i32 s24, s23, 3
	s_lshl_b32 s25, s23, 3
	s_delay_alu instid0(VALU_DEP_2) | instskip(SKIP_2) | instid1(VALU_DEP_1)
	v_add_co_u32 v7, vcc_lo, s2, v11
	v_add_co_u32 v20, s25, s25, v13
	v_add_co_u32 v13, s24, s24, v0
	v_add_co_ci_u32_e64 v14, null, 0, 0, s24
	v_add_co_u32 v19, s24, v0, s23
	v_add_co_ci_u32_e32 v8, vcc_lo, s3, v12, vcc_lo
	v_add_co_u32 v9, vcc_lo, s4, v11
	v_add_co_ci_u32_e32 v10, vcc_lo, s5, v12, vcc_lo
	v_add_co_u32 v11, vcc_lo, s12, v11
	v_add_co_ci_u32_e64 v21, null, 0, 0, s25
	v_lshlrev_b32_e32 v29, 2, v19
	v_add_co_ci_u32_e32 v12, vcc_lo, s13, v12, vcc_lo
	v_add_co_u32 v15, vcc_lo, s2, v20
	s_delay_alu instid0(VALU_DEP_4) | instskip(NEXT) | instid1(VALU_DEP_4)
	v_add_co_ci_u32_e32 v16, vcc_lo, s3, v21, vcc_lo
	v_add_co_u32 v25, s2, s2, v29
	v_add_co_u32 v17, vcc_lo, s4, v20
	s_lshl_b32 s22, s23, 1
	v_add_co_ci_u32_e64 v26, null, s3, 0, s2
	v_add_co_u32 v27, s2, s4, v29
	v_add_co_ci_u32_e32 v18, vcc_lo, s5, v21, vcc_lo
	v_add_co_u32 v20, vcc_lo, s12, v20
	v_add_co_u32 v23, s22, s22, v0
	v_add_co_ci_u32_e64 v28, null, s5, 0, s2
	v_add_co_u32 v29, s2, s12, v29
	v_add_co_ci_u32_e32 v21, vcc_lo, s13, v21, vcc_lo
	v_add_co_ci_u32_e64 v22, null, 0, 0, s24
	v_add_co_ci_u32_e64 v24, null, 0, 0, s22
	;; [unrolled: 1-line block ×3, first 2 shown]
	s_lshl_b32 s22, s23, 2
	s_lshl_b32 s23, s23, 4
	s_mov_b64 s[12:13], 0
	s_branch .LBB28_4
.LBB28_3:                               ;   in Loop: Header=BB28_4 Depth=1
	s_or_b32 exec_lo, exec_lo, s2
	v_add_co_u32 v1, vcc_lo, v1, s23
	v_add_co_ci_u32_e32 v2, vcc_lo, 0, v2, vcc_lo
	v_add_co_u32 v3, vcc_lo, v3, s23
	v_add_co_ci_u32_e32 v4, vcc_lo, 0, v4, vcc_lo
	v_add_co_u32 v5, vcc_lo, v5, s23
	v_add_co_ci_u32_e32 v6, vcc_lo, 0, v6, vcc_lo
	v_add_co_u32 v7, vcc_lo, v7, s23
	v_add_co_ci_u32_e32 v8, vcc_lo, 0, v8, vcc_lo
	v_add_co_u32 v9, vcc_lo, v9, s23
	v_add_co_ci_u32_e32 v10, vcc_lo, 0, v10, vcc_lo
	v_add_co_u32 v11, vcc_lo, v11, s23
	v_add_co_ci_u32_e32 v12, vcc_lo, 0, v12, vcc_lo
	v_add_co_u32 v15, vcc_lo, v15, s23
	v_add_co_ci_u32_e32 v16, vcc_lo, 0, v16, vcc_lo
	v_add_co_u32 v17, vcc_lo, v17, s23
	v_add_co_ci_u32_e32 v18, vcc_lo, 0, v18, vcc_lo
	v_add_co_u32 v20, vcc_lo, v20, s23
	v_add_co_ci_u32_e32 v21, vcc_lo, 0, v21, vcc_lo
	s_add_u32 s12, s12, s22
	v_add_co_u32 v25, vcc_lo, v25, s23
	s_addc_u32 s13, s13, 0
	v_add_co_ci_u32_e32 v26, vcc_lo, 0, v26, vcc_lo
	v_cmp_ge_i64_e64 s2, s[12:13], s[6:7]
	v_cmp_lt_u64_e64 s3, 0xffff, s[12:13]
	v_add_co_u32 v27, vcc_lo, v27, s23
	v_add_co_ci_u32_e32 v28, vcc_lo, 0, v28, vcc_lo
	v_add_co_u32 v29, vcc_lo, v29, s23
	v_add_co_ci_u32_e32 v30, vcc_lo, 0, v30, vcc_lo
	s_or_b32 s2, s2, s3
	s_delay_alu instid0(SALU_CYCLE_1)
	s_and_b32 vcc_lo, exec_lo, s2
	s_cbranch_vccnz .LBB28_44
.LBB28_4:                               ; =>This Inner Loop Header: Depth=1
	s_waitcnt vmcnt(1)
	v_add_co_u32 v31, s2, v0, s12
	s_delay_alu instid0(VALU_DEP_1) | instskip(SKIP_2) | instid1(VALU_DEP_2)
	v_add_co_ci_u32_e64 v32, null, 0, s13, s2
	s_waitcnt vmcnt(0)
	v_mov_b32_e32 v33, 0
	v_cmp_gt_u64_e64 s2, s[10:11], v[31:32]
	v_mov_b32_e32 v32, 0
	s_delay_alu instid0(VALU_DEP_2)
	s_and_saveexec_b32 s3, s2
	s_cbranch_execz .LBB28_6
; %bb.5:                                ;   in Loop: Header=BB28_4 Depth=1
	v_add_co_u32 v31, vcc_lo, v1, s8
	v_add_co_ci_u32_e32 v32, vcc_lo, s9, v2, vcc_lo
	v_add_co_u32 v33, vcc_lo, v3, s8
	v_add_co_ci_u32_e32 v34, vcc_lo, s9, v4, vcc_lo
	global_load_b32 v32, v[31:32], off
	global_load_b32 v33, v[33:34], off
.LBB28_6:                               ;   in Loop: Header=BB28_4 Depth=1
	s_or_b32 exec_lo, exec_lo, s3
	v_dual_mov_b32 v31, 0 :: v_dual_mov_b32 v36, 0
	s_and_saveexec_b32 s3, s2
	s_cbranch_execz .LBB28_8
; %bb.7:                                ;   in Loop: Header=BB28_4 Depth=1
	v_add_co_u32 v34, vcc_lo, v5, s8
	v_add_co_ci_u32_e32 v35, vcc_lo, s9, v6, vcc_lo
	global_load_b32 v36, v[34:35], off
.LBB28_8:                               ;   in Loop: Header=BB28_4 Depth=1
	s_or_b32 exec_lo, exec_lo, s3
	v_add_co_u32 v34, vcc_lo, v19, s12
	v_add_co_ci_u32_e32 v35, vcc_lo, s13, v22, vcc_lo
	s_delay_alu instid0(VALU_DEP_1) | instskip(SKIP_1) | instid1(VALU_DEP_2)
	v_cmp_gt_u64_e64 s3, s[10:11], v[34:35]
	v_mov_b32_e32 v35, 0
	s_and_saveexec_b32 s4, s3
	s_cbranch_execz .LBB28_10
; %bb.9:                                ;   in Loop: Header=BB28_4 Depth=1
	v_add_co_u32 v34, vcc_lo, v25, s8
	v_add_co_ci_u32_e32 v35, vcc_lo, s9, v26, vcc_lo
	v_add_co_u32 v37, vcc_lo, v27, s8
	v_add_co_ci_u32_e32 v38, vcc_lo, s9, v28, vcc_lo
	global_load_b32 v31, v[34:35], off
	global_load_b32 v35, v[37:38], off
.LBB28_10:                              ;   in Loop: Header=BB28_4 Depth=1
	s_or_b32 exec_lo, exec_lo, s4
	v_dual_mov_b32 v34, 0 :: v_dual_mov_b32 v39, 0
	s_and_saveexec_b32 s4, s3
	s_cbranch_execz .LBB28_12
; %bb.11:                               ;   in Loop: Header=BB28_4 Depth=1
	v_add_co_u32 v37, vcc_lo, v29, s8
	v_add_co_ci_u32_e32 v38, vcc_lo, s9, v30, vcc_lo
	global_load_b32 v39, v[37:38], off
.LBB28_12:                              ;   in Loop: Header=BB28_4 Depth=1
	s_or_b32 exec_lo, exec_lo, s4
	v_add_co_u32 v37, vcc_lo, v23, s12
	v_add_co_ci_u32_e32 v38, vcc_lo, s13, v24, vcc_lo
	s_delay_alu instid0(VALU_DEP_1) | instskip(SKIP_1) | instid1(VALU_DEP_2)
	v_cmp_gt_u64_e64 s4, s[10:11], v[37:38]
	v_mov_b32_e32 v38, 0
	s_and_saveexec_b32 s5, s4
	s_cbranch_execz .LBB28_14
; %bb.13:                               ;   in Loop: Header=BB28_4 Depth=1
	v_add_co_u32 v37, vcc_lo, v15, s8
	v_add_co_ci_u32_e32 v38, vcc_lo, s9, v16, vcc_lo
	v_add_co_u32 v40, vcc_lo, v17, s8
	v_add_co_ci_u32_e32 v41, vcc_lo, s9, v18, vcc_lo
	global_load_b32 v34, v[37:38], off
	global_load_b32 v38, v[40:41], off
.LBB28_14:                              ;   in Loop: Header=BB28_4 Depth=1
	s_or_b32 exec_lo, exec_lo, s5
	v_mov_b32_e32 v37, 0
	v_mov_b32_e32 v41, 0
	s_and_saveexec_b32 s5, s4
	s_cbranch_execz .LBB28_16
; %bb.15:                               ;   in Loop: Header=BB28_4 Depth=1
	v_add_co_u32 v40, vcc_lo, v20, s8
	v_add_co_ci_u32_e32 v41, vcc_lo, s9, v21, vcc_lo
	global_load_b32 v41, v[40:41], off
.LBB28_16:                              ;   in Loop: Header=BB28_4 Depth=1
	s_or_b32 exec_lo, exec_lo, s5
	v_add_co_u32 v42, vcc_lo, v13, s12
	v_add_co_ci_u32_e32 v43, vcc_lo, s13, v14, vcc_lo
	v_mov_b32_e32 v40, 0
	s_delay_alu instid0(VALU_DEP_2) | instskip(NEXT) | instid1(VALU_DEP_1)
	v_cmp_gt_u64_e64 s5, s[10:11], v[42:43]
	s_and_saveexec_b32 s24, s5
	s_cbranch_execnz .LBB28_34
; %bb.17:                               ;   in Loop: Header=BB28_4 Depth=1
	s_or_b32 exec_lo, exec_lo, s24
	v_mov_b32_e32 v42, 0
	s_and_saveexec_b32 s24, s5
	s_cbranch_execnz .LBB28_35
.LBB28_18:                              ;   in Loop: Header=BB28_4 Depth=1
	s_or_b32 exec_lo, exec_lo, s24
	s_delay_alu instid0(SALU_CYCLE_1)
	s_and_b32 vcc_lo, exec_lo, s21
	s_cbranch_vccz .LBB28_36
.LBB28_19:                              ;   in Loop: Header=BB28_4 Depth=1
	s_waitcnt vmcnt(0)
	v_mul_f32_e32 v43, v33, v36
	s_delay_alu instid0(VALU_DEP_1)
	v_fma_f32 v43, s20, v43, v32
	s_cbranch_execnz .LBB28_21
.LBB28_20:                              ;   in Loop: Header=BB28_4 Depth=1
	s_waitcnt vmcnt(0)
	v_fmac_f32_e32 v32, v33, v36
	s_delay_alu instid0(VALU_DEP_1)
	v_mov_b32_e32 v43, v32
.LBB28_21:                              ;   in Loop: Header=BB28_4 Depth=1
	s_and_not1_b32 vcc_lo, exec_lo, s21
	s_cbranch_vccnz .LBB28_41
; %bb.22:                               ;   in Loop: Header=BB28_4 Depth=1
	s_waitcnt vmcnt(0)
	v_mul_f32_e32 v32, v35, v39
	s_delay_alu instid0(VALU_DEP_1)
	v_fma_f32 v32, s20, v32, v31
	s_cbranch_execnz .LBB28_24
.LBB28_23:                              ;   in Loop: Header=BB28_4 Depth=1
	s_waitcnt vmcnt(0)
	v_fmac_f32_e32 v31, v35, v39
	s_delay_alu instid0(VALU_DEP_1)
	v_mov_b32_e32 v32, v31
.LBB28_24:                              ;   in Loop: Header=BB28_4 Depth=1
	s_and_not1_b32 vcc_lo, exec_lo, s21
	s_cbranch_vccnz .LBB28_42
; %bb.25:                               ;   in Loop: Header=BB28_4 Depth=1
	s_waitcnt vmcnt(0)
	v_mul_f32_e32 v31, v38, v41
	s_delay_alu instid0(VALU_DEP_1)
	v_fma_f32 v31, s20, v31, v34
	s_cbranch_execnz .LBB28_27
.LBB28_26:                              ;   in Loop: Header=BB28_4 Depth=1
	s_waitcnt vmcnt(0)
	v_fmac_f32_e32 v34, v38, v41
	s_delay_alu instid0(VALU_DEP_1)
	v_mov_b32_e32 v31, v34
.LBB28_27:                              ;   in Loop: Header=BB28_4 Depth=1
	s_and_not1_b32 vcc_lo, exec_lo, s21
	s_cbranch_vccnz .LBB28_43
; %bb.28:                               ;   in Loop: Header=BB28_4 Depth=1
	s_waitcnt vmcnt(0)
	v_mul_f32_e32 v33, v40, v42
	s_delay_alu instid0(VALU_DEP_1)
	v_fma_f32 v33, s20, v33, v37
	s_cbranch_execnz .LBB28_30
.LBB28_29:                              ;   in Loop: Header=BB28_4 Depth=1
	s_waitcnt vmcnt(0)
	v_fmac_f32_e32 v37, v40, v42
	s_delay_alu instid0(VALU_DEP_1)
	v_mov_b32_e32 v33, v37
.LBB28_30:                              ;   in Loop: Header=BB28_4 Depth=1
	s_and_saveexec_b32 s24, s2
	s_delay_alu instid0(SALU_CYCLE_1)
	s_xor_b32 s2, exec_lo, s24
	s_cbranch_execnz .LBB28_37
; %bb.31:                               ;   in Loop: Header=BB28_4 Depth=1
	s_or_b32 exec_lo, exec_lo, s2
	s_and_saveexec_b32 s2, s3
	s_cbranch_execnz .LBB28_38
.LBB28_32:                              ;   in Loop: Header=BB28_4 Depth=1
	s_or_b32 exec_lo, exec_lo, s2
	s_and_saveexec_b32 s2, s4
	s_cbranch_execnz .LBB28_39
.LBB28_33:                              ;   in Loop: Header=BB28_4 Depth=1
	s_or_b32 exec_lo, exec_lo, s2
	s_and_saveexec_b32 s2, s5
	s_cbranch_execz .LBB28_3
	s_branch .LBB28_40
.LBB28_34:                              ;   in Loop: Header=BB28_4 Depth=1
	v_add_co_u32 v42, vcc_lo, v7, s8
	v_add_co_ci_u32_e32 v43, vcc_lo, s9, v8, vcc_lo
	v_add_co_u32 v44, vcc_lo, v9, s8
	v_add_co_ci_u32_e32 v45, vcc_lo, s9, v10, vcc_lo
	global_load_b32 v37, v[42:43], off
	global_load_b32 v40, v[44:45], off
	s_or_b32 exec_lo, exec_lo, s24
	v_mov_b32_e32 v42, 0
	s_and_saveexec_b32 s24, s5
	s_cbranch_execz .LBB28_18
.LBB28_35:                              ;   in Loop: Header=BB28_4 Depth=1
	v_add_co_u32 v42, vcc_lo, v11, s8
	v_add_co_ci_u32_e32 v43, vcc_lo, s9, v12, vcc_lo
	global_load_b32 v42, v[42:43], off
	s_or_b32 exec_lo, exec_lo, s24
	s_delay_alu instid0(SALU_CYCLE_1)
	s_and_b32 vcc_lo, exec_lo, s21
	s_cbranch_vccnz .LBB28_19
.LBB28_36:                              ;   in Loop: Header=BB28_4 Depth=1
                                        ; implicit-def: $vgpr43
	s_branch .LBB28_20
.LBB28_37:                              ;   in Loop: Header=BB28_4 Depth=1
	s_waitcnt vmcnt(1)
	v_add_co_u32 v34, vcc_lo, v1, s8
	s_waitcnt vmcnt(0)
	v_add_co_ci_u32_e32 v35, vcc_lo, s9, v2, vcc_lo
	global_store_b32 v[34:35], v43, off
	s_or_b32 exec_lo, exec_lo, s2
	s_and_saveexec_b32 s2, s3
	s_cbranch_execz .LBB28_32
.LBB28_38:                              ;   in Loop: Header=BB28_4 Depth=1
	s_waitcnt vmcnt(1)
	v_add_co_u32 v34, vcc_lo, v25, s8
	s_waitcnt vmcnt(0)
	v_add_co_ci_u32_e32 v35, vcc_lo, s9, v26, vcc_lo
	global_store_b32 v[34:35], v32, off
	s_or_b32 exec_lo, exec_lo, s2
	s_and_saveexec_b32 s2, s4
	s_cbranch_execz .LBB28_33
.LBB28_39:                              ;   in Loop: Header=BB28_4 Depth=1
	s_waitcnt vmcnt(1)
	v_add_co_u32 v34, vcc_lo, v15, s8
	s_waitcnt vmcnt(0)
	v_add_co_ci_u32_e32 v35, vcc_lo, s9, v16, vcc_lo
	global_store_b32 v[34:35], v31, off
	s_or_b32 exec_lo, exec_lo, s2
	s_and_saveexec_b32 s2, s5
	s_cbranch_execz .LBB28_3
.LBB28_40:                              ;   in Loop: Header=BB28_4 Depth=1
	s_waitcnt vmcnt(1)
	v_add_co_u32 v31, vcc_lo, v7, s8
	v_add_co_ci_u32_e32 v32, vcc_lo, s9, v8, vcc_lo
	s_waitcnt vmcnt(0)
	global_store_b32 v[31:32], v33, off
	s_branch .LBB28_3
.LBB28_41:                              ;   in Loop: Header=BB28_4 Depth=1
                                        ; implicit-def: $vgpr32
	s_branch .LBB28_23
.LBB28_42:                              ;   in Loop: Header=BB28_4 Depth=1
                                        ; implicit-def: $vgpr31
	s_branch .LBB28_26
.LBB28_43:                              ;   in Loop: Header=BB28_4 Depth=1
                                        ; implicit-def: $vgpr33
	s_branch .LBB28_29
.LBB28_44:
	s_mov_b32 s10, 0
.LBB28_45:
	s_delay_alu instid0(SALU_CYCLE_1)
	s_and_not1_b32 vcc_lo, exec_lo, s10
	s_cbranch_vccnz .LBB28_65
; %bb.46:
	v_dual_mov_b32 v14, 0 :: v_dual_lshlrev_b32 v13, 2, v0
	s_mov_b32 s2, 0
	s_mov_b32 s3, exec_lo
	s_delay_alu instid0(VALU_DEP_1)
	v_cmpx_gt_i64_e64 s[6:7], v[13:14]
	s_cbranch_execz .LBB28_65
; %bb.47:
	s_load_b32 s0, s[0:1], 0xc5c
	v_lshlrev_b32_e32 v17, 4, v0
	s_waitcnt lgkmcnt(0)
	v_cmp_neq_f32_e64 s1, s20, 1.0
	s_and_b32 s0, s0, 0xffff
	s_delay_alu instid0(SALU_CYCLE_1)
	v_add_lshl_u32 v13, v0, s0, 2
	s_lshl_b32 s3, s0, 2
	s_lshl_b32 s4, s0, 4
	s_branch .LBB28_49
.LBB28_48:                              ;   in Loop: Header=BB28_49 Depth=1
	v_cmp_le_i64_e32 vcc_lo, s[6:7], v[13:14]
	v_cmp_lt_u64_e64 s0, 0xffff, v[13:14]
	s_waitcnt vmcnt(2)
	global_store_b128 v[15:16], v[0:3], off
	s_or_b32 s0, vcc_lo, s0
	s_add_u32 s14, s14, s4
	s_addc_u32 s15, s15, 0
	s_add_u32 s18, s18, s4
	v_add_co_u32 v13, vcc_lo, v13, s3
	s_addc_u32 s19, s19, 0
	s_add_u32 s16, s16, s4
	v_add_co_ci_u32_e32 v14, vcc_lo, 0, v14, vcc_lo
	s_addc_u32 s17, s17, 0
	s_and_b32 s0, exec_lo, s0
	s_delay_alu instid0(SALU_CYCLE_1) | instskip(NEXT) | instid1(SALU_CYCLE_1)
	s_or_b32 s2, s0, s2
	s_and_not1_b32 exec_lo, exec_lo, s2
	s_cbranch_execz .LBB28_65
.LBB28_49:                              ; =>This Inner Loop Header: Depth=1
	v_add_co_u32 v15, s0, s14, v17
	s_delay_alu instid0(VALU_DEP_1) | instskip(SKIP_2) | instid1(VALU_DEP_1)
	v_add_co_ci_u32_e64 v16, null, s15, 0, s0
	s_waitcnt vmcnt(1)
	v_add_co_u32 v5, s0, s16, v17
	v_add_co_ci_u32_e64 v6, null, s17, 0, s0
	s_waitcnt vmcnt(0)
	v_add_co_u32 v9, s0, s18, v17
	s_delay_alu instid0(VALU_DEP_1)
	v_add_co_ci_u32_e64 v10, null, s19, 0, s0
	global_load_b128 v[1:4], v[15:16], off
	global_load_b128 v[5:8], v[5:6], off
	;; [unrolled: 1-line block ×3, first 2 shown]
	s_and_b32 vcc_lo, exec_lo, s1
	s_cbranch_vccz .LBB28_60
; %bb.50:                               ;   in Loop: Header=BB28_49 Depth=1
	s_waitcnt vmcnt(0)
	v_mul_f32_e32 v0, v5, v9
	s_delay_alu instid0(VALU_DEP_1)
	v_fma_f32 v0, s20, v0, v1
	s_cbranch_execnz .LBB28_52
.LBB28_51:                              ;   in Loop: Header=BB28_49 Depth=1
	s_waitcnt vmcnt(0)
	v_fma_f32 v0, v5, v9, v1
.LBB28_52:                              ;   in Loop: Header=BB28_49 Depth=1
	s_and_not1_b32 vcc_lo, exec_lo, s1
	s_cbranch_vccnz .LBB28_61
; %bb.53:                               ;   in Loop: Header=BB28_49 Depth=1
	s_waitcnt vmcnt(0)
	v_mul_f32_e32 v1, v6, v10
	s_delay_alu instid0(VALU_DEP_1)
	v_fma_f32 v1, s20, v1, v2
	s_cbranch_execnz .LBB28_55
.LBB28_54:                              ;   in Loop: Header=BB28_49 Depth=1
	s_waitcnt vmcnt(0)
	v_fma_f32 v1, v6, v10, v2
.LBB28_55:                              ;   in Loop: Header=BB28_49 Depth=1
	s_and_not1_b32 vcc_lo, exec_lo, s1
	s_cbranch_vccnz .LBB28_62
; %bb.56:                               ;   in Loop: Header=BB28_49 Depth=1
	s_waitcnt vmcnt(0)
	v_mul_f32_e32 v2, v7, v11
	s_delay_alu instid0(VALU_DEP_1)
	v_fma_f32 v2, s20, v2, v3
	s_cbranch_execnz .LBB28_58
.LBB28_57:                              ;   in Loop: Header=BB28_49 Depth=1
	s_waitcnt vmcnt(0)
	v_fma_f32 v2, v7, v11, v3
.LBB28_58:                              ;   in Loop: Header=BB28_49 Depth=1
	s_and_not1_b32 vcc_lo, exec_lo, s1
	s_cbranch_vccnz .LBB28_63
; %bb.59:                               ;   in Loop: Header=BB28_49 Depth=1
	s_waitcnt vmcnt(0)
	v_mul_f32_e32 v3, v8, v12
	s_delay_alu instid0(VALU_DEP_1)
	v_fma_f32 v3, s20, v3, v4
	s_cbranch_execnz .LBB28_48
	s_branch .LBB28_64
.LBB28_60:                              ;   in Loop: Header=BB28_49 Depth=1
                                        ; implicit-def: $vgpr0
	s_branch .LBB28_51
.LBB28_61:                              ;   in Loop: Header=BB28_49 Depth=1
	s_branch .LBB28_54
.LBB28_62:                              ;   in Loop: Header=BB28_49 Depth=1
	s_branch .LBB28_57
.LBB28_63:                              ;   in Loop: Header=BB28_49 Depth=1
.LBB28_64:                              ;   in Loop: Header=BB28_49 Depth=1
	s_waitcnt vmcnt(0)
	v_fmac_f32_e32 v4, v8, v12
	s_delay_alu instid0(VALU_DEP_1)
	v_mov_b32_e32 v3, v4
	s_branch .LBB28_48
.LBB28_65:
	s_nop 0
	s_sendmsg sendmsg(MSG_DEALLOC_VGPRS)
	s_endpgm
	.section	.rodata,"a",@progbits
	.p2align	6, 0x0
	.amdhsa_kernel _ZN2at6native12_GLOBAL__N_125multi_tensor_apply_kernelINS1_18TensorListMetadataILi3EEENS1_24PointwiseOpScalarFunctorIfLi3ELi3ELi0EEEJSt10multipliesIfEfEEEvT_T0_DpT1_
		.amdhsa_group_segment_fixed_size 0
		.amdhsa_private_segment_fixed_size 0
		.amdhsa_kernarg_size 3408
		.amdhsa_user_sgpr_count 15
		.amdhsa_user_sgpr_dispatch_ptr 0
		.amdhsa_user_sgpr_queue_ptr 0
		.amdhsa_user_sgpr_kernarg_segment_ptr 1
		.amdhsa_user_sgpr_dispatch_id 0
		.amdhsa_user_sgpr_private_segment_size 0
		.amdhsa_wavefront_size32 1
		.amdhsa_uses_dynamic_stack 0
		.amdhsa_enable_private_segment 0
		.amdhsa_system_sgpr_workgroup_id_x 1
		.amdhsa_system_sgpr_workgroup_id_y 0
		.amdhsa_system_sgpr_workgroup_id_z 0
		.amdhsa_system_sgpr_workgroup_info 0
		.amdhsa_system_vgpr_workitem_id 0
		.amdhsa_next_free_vgpr 46
		.amdhsa_next_free_sgpr 26
		.amdhsa_reserve_vcc 1
		.amdhsa_float_round_mode_32 0
		.amdhsa_float_round_mode_16_64 0
		.amdhsa_float_denorm_mode_32 3
		.amdhsa_float_denorm_mode_16_64 3
		.amdhsa_dx10_clamp 1
		.amdhsa_ieee_mode 1
		.amdhsa_fp16_overflow 0
		.amdhsa_workgroup_processor_mode 1
		.amdhsa_memory_ordered 1
		.amdhsa_forward_progress 0
		.amdhsa_shared_vgpr_count 0
		.amdhsa_exception_fp_ieee_invalid_op 0
		.amdhsa_exception_fp_denorm_src 0
		.amdhsa_exception_fp_ieee_div_zero 0
		.amdhsa_exception_fp_ieee_overflow 0
		.amdhsa_exception_fp_ieee_underflow 0
		.amdhsa_exception_fp_ieee_inexact 0
		.amdhsa_exception_int_div_zero 0
	.end_amdhsa_kernel
	.section	.text._ZN2at6native12_GLOBAL__N_125multi_tensor_apply_kernelINS1_18TensorListMetadataILi3EEENS1_24PointwiseOpScalarFunctorIfLi3ELi3ELi0EEEJSt10multipliesIfEfEEEvT_T0_DpT1_,"axG",@progbits,_ZN2at6native12_GLOBAL__N_125multi_tensor_apply_kernelINS1_18TensorListMetadataILi3EEENS1_24PointwiseOpScalarFunctorIfLi3ELi3ELi0EEEJSt10multipliesIfEfEEEvT_T0_DpT1_,comdat
.Lfunc_end28:
	.size	_ZN2at6native12_GLOBAL__N_125multi_tensor_apply_kernelINS1_18TensorListMetadataILi3EEENS1_24PointwiseOpScalarFunctorIfLi3ELi3ELi0EEEJSt10multipliesIfEfEEEvT_T0_DpT1_, .Lfunc_end28-_ZN2at6native12_GLOBAL__N_125multi_tensor_apply_kernelINS1_18TensorListMetadataILi3EEENS1_24PointwiseOpScalarFunctorIfLi3ELi3ELi0EEEJSt10multipliesIfEfEEEvT_T0_DpT1_
                                        ; -- End function
	.section	.AMDGPU.csdata,"",@progbits
; Kernel info:
; codeLenInByte = 2236
; NumSgprs: 28
; NumVgprs: 46
; ScratchSize: 0
; MemoryBound: 1
; FloatMode: 240
; IeeeMode: 1
; LDSByteSize: 0 bytes/workgroup (compile time only)
; SGPRBlocks: 3
; VGPRBlocks: 5
; NumSGPRsForWavesPerEU: 28
; NumVGPRsForWavesPerEU: 46
; Occupancy: 16
; WaveLimiterHint : 0
; COMPUTE_PGM_RSRC2:SCRATCH_EN: 0
; COMPUTE_PGM_RSRC2:USER_SGPR: 15
; COMPUTE_PGM_RSRC2:TRAP_HANDLER: 0
; COMPUTE_PGM_RSRC2:TGID_X_EN: 1
; COMPUTE_PGM_RSRC2:TGID_Y_EN: 0
; COMPUTE_PGM_RSRC2:TGID_Z_EN: 0
; COMPUTE_PGM_RSRC2:TIDIG_COMP_CNT: 0
	.section	.text._ZN2at6native12_GLOBAL__N_125multi_tensor_apply_kernelINS1_18TensorListMetadataILi3EEENS1_24PointwiseOpScalarFunctorIN3c107complexIdEELi3ELi3ELi0EEEJSt10multipliesIS8_ES8_EEEvT_T0_DpT1_,"axG",@progbits,_ZN2at6native12_GLOBAL__N_125multi_tensor_apply_kernelINS1_18TensorListMetadataILi3EEENS1_24PointwiseOpScalarFunctorIN3c107complexIdEELi3ELi3ELi0EEEJSt10multipliesIS8_ES8_EEEvT_T0_DpT1_,comdat
	.globl	_ZN2at6native12_GLOBAL__N_125multi_tensor_apply_kernelINS1_18TensorListMetadataILi3EEENS1_24PointwiseOpScalarFunctorIN3c107complexIdEELi3ELi3ELi0EEEJSt10multipliesIS8_ES8_EEEvT_T0_DpT1_ ; -- Begin function _ZN2at6native12_GLOBAL__N_125multi_tensor_apply_kernelINS1_18TensorListMetadataILi3EEENS1_24PointwiseOpScalarFunctorIN3c107complexIdEELi3ELi3ELi0EEEJSt10multipliesIS8_ES8_EEEvT_T0_DpT1_
	.p2align	8
	.type	_ZN2at6native12_GLOBAL__N_125multi_tensor_apply_kernelINS1_18TensorListMetadataILi3EEENS1_24PointwiseOpScalarFunctorIN3c107complexIdEELi3ELi3ELi0EEEJSt10multipliesIS8_ES8_EEEvT_T0_DpT1_,@function
_ZN2at6native12_GLOBAL__N_125multi_tensor_apply_kernelINS1_18TensorListMetadataILi3EEENS1_24PointwiseOpScalarFunctorIN3c107complexIdEELi3ELi3ELi0EEEJSt10multipliesIS8_ES8_EEEvT_T0_DpT1_: ; @_ZN2at6native12_GLOBAL__N_125multi_tensor_apply_kernelINS1_18TensorListMetadataILi3EEENS1_24PointwiseOpScalarFunctorIN3c107complexIdEELi3ELi3ELi0EEEJSt10multipliesIS8_ES8_EEEvT_T0_DpT1_
; %bb.0:
	v_mov_b32_e32 v1, s15
	s_add_u32 s2, s0, s15
	s_mul_hi_u32 s3, s15, 3
	s_mul_i32 s15, s15, 3
	s_addc_u32 s4, s1, 0
	global_load_u8 v1, v1, s[0:1] offset:1536
	s_add_u32 s2, s2, s15
	s_addc_u32 s3, s4, s3
	s_mov_b32 s17, 0
	s_load_b32 s6, s[2:3], 0x740
	s_waitcnt vmcnt(0)
	v_readfirstlane_b32 s2, v1
	s_delay_alu instid0(VALU_DEP_1)
	s_lshl_b32 s7, s2, 3
	s_clause 0x3
	s_load_b64 s[2:3], s[0:1], s7 offset:0x0
	s_load_b64 s[4:5], s[0:1], s7 offset:0x180
	;; [unrolled: 1-line block ×4, first 2 shown]
	s_waitcnt lgkmcnt(0)
	s_ashr_i32 s7, s6, 31
	s_delay_alu instid0(SALU_CYCLE_1) | instskip(NEXT) | instid1(SALU_CYCLE_1)
	s_lshl_b64 s[12:13], s[6:7], 20
	s_add_u32 s20, s2, s12
	s_addc_u32 s21, s3, s13
	s_add_u32 s22, s4, s12
	s_addc_u32 s23, s5, s13
	s_add_u32 s24, s18, s12
	s_addc_u32 s25, s19, s13
	s_or_b32 s8, s24, s22
	s_and_b32 s16, s20, 63
	s_and_b32 s8, s8, 63
	s_delay_alu instid0(SALU_CYCLE_1) | instskip(SKIP_3) | instid1(SALU_CYCLE_1)
	s_cmp_eq_u32 s8, 0
	s_load_b128 s[8:11], s[0:1], 0xc50
	s_cselect_b32 s26, -1, 0
	s_lshl_b64 s[6:7], s[6:7], 16
	s_sub_u32 s6, s14, s6
	s_subb_u32 s7, s15, s7
	s_and_b32 s14, s14, 3
	s_mov_b32 s15, s17
	s_delay_alu instid0(SALU_CYCLE_1) | instskip(NEXT) | instid1(SALU_CYCLE_1)
	s_or_b64 s[14:15], s[16:17], s[14:15]
	s_cmp_eq_u64 s[14:15], 0
	s_cselect_b32 s14, -1, 0
	s_delay_alu instid0(SALU_CYCLE_1) | instskip(NEXT) | instid1(SALU_CYCLE_1)
	s_and_b32 s14, s26, s14
	s_and_b32 vcc_lo, exec_lo, s14
	s_mov_b32 s14, -1
	s_cbranch_vccnz .LBB29_37
; %bb.1:
	v_cmp_lt_i64_e64 s14, s[6:7], 1
	s_delay_alu instid0(VALU_DEP_1)
	s_and_b32 vcc_lo, exec_lo, s14
	s_cbranch_vccnz .LBB29_36
; %bb.2:
	s_waitcnt lgkmcnt(0)
	v_cmp_neq_f64_e64 s14, s[8:9], 1.0
	v_cmp_neq_f64_e64 s29, s[10:11], 0
	s_load_b32 s16, s[0:1], 0xc6c
	v_dual_mov_b32 v1, 0 :: v_dual_lshlrev_b32 v6, 4, v0
	v_cmp_gt_u64_e64 s17, 0x10000, s[6:7]
	s_mov_b32 s15, 0
	s_delay_alu instid0(VALU_DEP_2) | instskip(NEXT) | instid1(VALU_DEP_3)
	v_or_b32_e32 v2, 8, v6
	v_mov_b32_e32 v3, v1
	v_dual_mov_b32 v50, v1 :: v_dual_mov_b32 v49, v0
	s_delay_alu instid0(VALU_DEP_3) | instskip(NEXT) | instid1(VALU_DEP_1)
	v_add_co_u32 v53, s26, s4, v2
	v_add_co_ci_u32_e64 v54, null, s5, 0, s26
	v_add_co_u32 v55, s26, s2, v2
	s_delay_alu instid0(VALU_DEP_1) | instskip(SKIP_1) | instid1(VALU_DEP_1)
	v_add_co_ci_u32_e64 v56, null, s3, 0, s26
	v_add_co_u32 v57, s26, s18, v2
	v_add_co_ci_u32_e64 v58, null, s19, 0, s26
	s_waitcnt lgkmcnt(0)
	s_and_b32 s26, s16, 0xffff
	s_and_b32 s16, s17, exec_lo
	v_mad_u64_u32 v[4:5], null, s26, 48, v[2:3]
	v_add_lshl_u32 v7, v0, s26, 4
	s_cselect_b32 s17, s7, 0
	s_cselect_b32 s16, s6, 0x10000
	s_lshl_b32 s27, s26, 1
	s_mul_i32 s28, s26, 3
	v_add_co_u32 v59, s30, s18, v7
	s_delay_alu instid0(VALU_DEP_3) | instskip(SKIP_3) | instid1(VALU_DEP_1)
	v_add_co_u32 v63, vcc_lo, s4, v4
	v_add_co_ci_u32_e32 v64, vcc_lo, s5, v5, vcc_lo
	s_or_b32 s29, s14, s29
	v_add_co_u32 v65, s14, s4, v7
	v_add_co_ci_u32_e64 v66, null, s5, 0, s14
	s_lshl_b32 s14, s26, 5
	v_add_co_u32 v67, vcc_lo, s2, v4
	v_add_co_u32 v2, s14, s14, v6
	v_add_co_ci_u32_e32 v68, vcc_lo, s3, v5, vcc_lo
	v_add_co_u32 v69, vcc_lo, s18, v4
	v_add_co_ci_u32_e64 v3, null, 0, 0, s14
	s_delay_alu instid0(VALU_DEP_4) | instskip(SKIP_2) | instid1(VALU_DEP_4)
	v_or_b32_e32 v4, 8, v2
	v_add_co_ci_u32_e32 v70, vcc_lo, s19, v5, vcc_lo
	v_add_co_u32 v71, vcc_lo, s18, v2
	v_add_co_ci_u32_e32 v72, vcc_lo, s19, v3, vcc_lo
	s_delay_alu instid0(VALU_DEP_4)
	v_add_co_u32 v73, vcc_lo, s4, v4
	v_add_co_ci_u32_e32 v74, vcc_lo, s5, v3, vcc_lo
	v_add_co_ci_u32_e64 v60, null, s19, 0, s30
	v_add_co_u32 v61, s30, s2, v7
	v_add_co_u32 v75, vcc_lo, s2, v4
	v_add_co_ci_u32_e64 v62, null, s3, 0, s30
	v_add_co_ci_u32_e32 v76, vcc_lo, s3, v3, vcc_lo
	s_lshl_b32 s14, s26, 2
	s_lshl_b32 s30, s26, 6
	s_mov_b64 s[18:19], s[14:15]
	s_branch .LBB29_4
.LBB29_3:                               ;   in Loop: Header=BB29_4 Depth=1
	s_or_b32 exec_lo, exec_lo, s2
	v_add_co_u32 v49, vcc_lo, v49, s14
	v_add_co_ci_u32_e32 v50, vcc_lo, 0, v50, vcc_lo
	v_add_co_u32 v53, vcc_lo, v53, s30
	v_add_co_ci_u32_e32 v54, vcc_lo, 0, v54, vcc_lo
	;; [unrolled: 2-line block ×11, first 2 shown]
	v_cmp_ge_i64_e64 s2, s[18:19], s[6:7]
	v_cmp_lt_u64_e64 s3, 0xffff, s[18:19]
	v_add_co_u32 v73, vcc_lo, v73, s30
	v_add_co_ci_u32_e32 v74, vcc_lo, 0, v74, vcc_lo
	v_add_co_u32 v75, vcc_lo, v75, s30
	v_add_co_ci_u32_e32 v76, vcc_lo, 0, v76, vcc_lo
	s_or_b32 s2, s2, s3
	s_add_u32 s18, s18, s14
	s_addc_u32 s19, s19, 0
	s_and_b32 vcc_lo, exec_lo, s2
	s_cbranch_vccnz .LBB29_36
.LBB29_4:                               ; =>This Inner Loop Header: Depth=1
	v_mov_b32_e32 v11, 0
	v_mov_b32_e32 v12, 0
	v_cmp_gt_u64_e64 s2, s[16:17], v[49:50]
	s_delay_alu instid0(VALU_DEP_3) | instskip(NEXT) | instid1(VALU_DEP_3)
	v_mov_b32_e32 v3, v11
	v_dual_mov_b32 v1, v11 :: v_dual_mov_b32 v2, v12
	v_dual_mov_b32 v16, v12 :: v_dual_mov_b32 v15, v11
	;; [unrolled: 1-line block ×3, first 2 shown]
	v_mov_b32_e32 v4, v12
	s_and_saveexec_b32 s3, s2
	s_cbranch_execz .LBB29_6
; %bb.5:                                ;   in Loop: Header=BB29_4 Depth=1
	v_add_co_u32 v1, vcc_lo, v55, s12
	v_add_co_ci_u32_e32 v2, vcc_lo, s13, v56, vcc_lo
	v_add_co_u32 v5, vcc_lo, v53, s12
	v_add_co_ci_u32_e32 v6, vcc_lo, s13, v54, vcc_lo
	global_load_b128 v[1:4], v[1:2], off offset:-8
	global_load_b128 v[13:16], v[5:6], off offset:-8
.LBB29_6:                               ;   in Loop: Header=BB29_4 Depth=1
	s_or_b32 exec_lo, exec_lo, s3
	v_dual_mov_b32 v9, v11 :: v_dual_mov_b32 v10, v12
	s_and_saveexec_b32 s3, s2
	s_cbranch_execz .LBB29_8
; %bb.7:                                ;   in Loop: Header=BB29_4 Depth=1
	v_add_co_u32 v5, vcc_lo, v57, s12
	v_add_co_ci_u32_e32 v6, vcc_lo, s13, v58, vcc_lo
	global_load_b128 v[9:12], v[5:6], off offset:-8
.LBB29_8:                               ;   in Loop: Header=BB29_4 Depth=1
	s_or_b32 exec_lo, exec_lo, s3
	v_add_co_u32 v5, vcc_lo, s26, v49
	v_add_co_ci_u32_e32 v6, vcc_lo, 0, v50, vcc_lo
	v_mov_b32_e32 v23, 0
	v_mov_b32_e32 v24, 0
	s_delay_alu instid0(VALU_DEP_2) | instskip(NEXT) | instid1(VALU_DEP_4)
	v_mov_b32_e32 v7, v23
	v_cmp_gt_u64_e64 s3, s[16:17], v[5:6]
	s_delay_alu instid0(VALU_DEP_3)
	v_dual_mov_b32 v5, v23 :: v_dual_mov_b32 v6, v24
	v_dual_mov_b32 v28, v24 :: v_dual_mov_b32 v27, v23
	;; [unrolled: 1-line block ×3, first 2 shown]
	v_mov_b32_e32 v8, v24
	s_and_saveexec_b32 s4, s3
	s_cbranch_execz .LBB29_10
; %bb.9:                                ;   in Loop: Header=BB29_4 Depth=1
	v_add_co_u32 v5, vcc_lo, v61, s12
	v_add_co_ci_u32_e32 v6, vcc_lo, s13, v62, vcc_lo
	v_add_co_u32 v17, vcc_lo, v65, s12
	v_add_co_ci_u32_e32 v18, vcc_lo, s13, v66, vcc_lo
	global_load_b128 v[5:8], v[5:6], off
	global_load_b128 v[25:28], v[17:18], off
.LBB29_10:                              ;   in Loop: Header=BB29_4 Depth=1
	s_or_b32 exec_lo, exec_lo, s4
	v_dual_mov_b32 v21, v23 :: v_dual_mov_b32 v22, v24
	s_and_saveexec_b32 s4, s3
	s_cbranch_execz .LBB29_12
; %bb.11:                               ;   in Loop: Header=BB29_4 Depth=1
	v_add_co_u32 v17, vcc_lo, v59, s12
	v_add_co_ci_u32_e32 v18, vcc_lo, s13, v60, vcc_lo
	global_load_b128 v[21:24], v[17:18], off
.LBB29_12:                              ;   in Loop: Header=BB29_4 Depth=1
	s_or_b32 exec_lo, exec_lo, s4
	v_add_co_u32 v17, vcc_lo, s27, v49
	v_add_co_ci_u32_e32 v18, vcc_lo, 0, v50, vcc_lo
	v_mov_b32_e32 v35, 0
	v_mov_b32_e32 v36, 0
	s_delay_alu instid0(VALU_DEP_2) | instskip(NEXT) | instid1(VALU_DEP_4)
	v_mov_b32_e32 v19, v35
	v_cmp_gt_u64_e64 s4, s[16:17], v[17:18]
	s_delay_alu instid0(VALU_DEP_3)
	v_dual_mov_b32 v17, v35 :: v_dual_mov_b32 v18, v36
	v_dual_mov_b32 v40, v36 :: v_dual_mov_b32 v39, v35
	;; [unrolled: 1-line block ×3, first 2 shown]
	v_mov_b32_e32 v20, v36
	s_and_saveexec_b32 s5, s4
	s_cbranch_execz .LBB29_14
; %bb.13:                               ;   in Loop: Header=BB29_4 Depth=1
	v_add_co_u32 v17, vcc_lo, v75, s12
	v_add_co_ci_u32_e32 v18, vcc_lo, s13, v76, vcc_lo
	v_add_co_u32 v29, vcc_lo, v73, s12
	v_add_co_ci_u32_e32 v30, vcc_lo, s13, v74, vcc_lo
	global_load_b128 v[17:20], v[17:18], off offset:-8
	global_load_b128 v[37:40], v[29:30], off offset:-8
.LBB29_14:                              ;   in Loop: Header=BB29_4 Depth=1
	s_or_b32 exec_lo, exec_lo, s5
	v_dual_mov_b32 v33, v35 :: v_dual_mov_b32 v34, v36
	s_and_saveexec_b32 s5, s4
	s_cbranch_execz .LBB29_16
; %bb.15:                               ;   in Loop: Header=BB29_4 Depth=1
	v_add_co_u32 v29, vcc_lo, v71, s12
	v_add_co_ci_u32_e32 v30, vcc_lo, s13, v72, vcc_lo
	global_load_b128 v[33:36], v[29:30], off
.LBB29_16:                              ;   in Loop: Header=BB29_4 Depth=1
	s_or_b32 exec_lo, exec_lo, s5
	v_add_co_u32 v29, vcc_lo, s28, v49
	v_add_co_ci_u32_e32 v30, vcc_lo, 0, v50, vcc_lo
	v_mov_b32_e32 v43, 0
	v_mov_b32_e32 v44, 0
	s_delay_alu instid0(VALU_DEP_2) | instskip(NEXT) | instid1(VALU_DEP_4)
	v_mov_b32_e32 v31, v43
	v_cmp_gt_u64_e64 s5, s[16:17], v[29:30]
	s_delay_alu instid0(VALU_DEP_3)
	v_dual_mov_b32 v29, v43 :: v_dual_mov_b32 v30, v44
	v_dual_mov_b32 v48, v44 :: v_dual_mov_b32 v47, v43
	;; [unrolled: 1-line block ×3, first 2 shown]
	v_mov_b32_e32 v32, v44
	s_and_saveexec_b32 s15, s5
	s_cbranch_execz .LBB29_18
; %bb.17:                               ;   in Loop: Header=BB29_4 Depth=1
	v_add_co_u32 v29, vcc_lo, v67, s12
	v_add_co_ci_u32_e32 v30, vcc_lo, s13, v68, vcc_lo
	v_add_co_u32 v41, vcc_lo, v63, s12
	v_add_co_ci_u32_e32 v42, vcc_lo, s13, v64, vcc_lo
	global_load_b128 v[29:32], v[29:30], off offset:-8
	global_load_b128 v[45:48], v[41:42], off offset:-8
.LBB29_18:                              ;   in Loop: Header=BB29_4 Depth=1
	s_or_b32 exec_lo, exec_lo, s15
	v_dual_mov_b32 v41, v43 :: v_dual_mov_b32 v42, v44
	s_and_saveexec_b32 s15, s5
	s_cbranch_execz .LBB29_20
; %bb.19:                               ;   in Loop: Header=BB29_4 Depth=1
	v_add_co_u32 v41, vcc_lo, v69, s12
	v_add_co_ci_u32_e32 v42, vcc_lo, s13, v70, vcc_lo
	global_load_b128 v[41:44], v[41:42], off offset:-8
.LBB29_20:                              ;   in Loop: Header=BB29_4 Depth=1
	s_or_b32 exec_lo, exec_lo, s15
	s_waitcnt vmcnt(0)
	v_mul_f64 v[51:52], v[15:16], v[11:12]
	v_mul_f64 v[15:16], v[15:16], v[9:10]
	s_and_b32 vcc_lo, exec_lo, s29
	s_delay_alu instid0(VALU_DEP_2) | instskip(NEXT) | instid1(VALU_DEP_2)
	v_fma_f64 v[9:10], v[13:14], v[9:10], -v[51:52]
	v_fma_f64 v[51:52], v[13:14], v[11:12], v[15:16]
	s_cbranch_vccz .LBB29_22
; %bb.21:                               ;   in Loop: Header=BB29_4 Depth=1
	s_delay_alu instid0(VALU_DEP_1) | instskip(NEXT) | instid1(VALU_DEP_3)
	v_mul_f64 v[11:12], s[10:11], v[51:52]
	v_mul_f64 v[13:14], s[10:11], v[9:10]
	s_delay_alu instid0(VALU_DEP_2) | instskip(NEXT) | instid1(VALU_DEP_2)
	v_fma_f64 v[9:10], s[8:9], v[9:10], -v[11:12]
	v_fma_f64 v[51:52], s[8:9], v[51:52], v[13:14]
.LBB29_22:                              ;   in Loop: Header=BB29_4 Depth=1
	v_mul_f64 v[11:12], v[27:28], v[23:24]
	v_mul_f64 v[13:14], v[27:28], v[21:22]
	s_and_not1_b32 vcc_lo, exec_lo, s29
	s_delay_alu instid0(VALU_DEP_2) | instskip(NEXT) | instid1(VALU_DEP_2)
	v_fma_f64 v[11:12], v[25:26], v[21:22], -v[11:12]
	v_fma_f64 v[21:22], v[25:26], v[23:24], v[13:14]
	s_cbranch_vccnz .LBB29_24
; %bb.23:                               ;   in Loop: Header=BB29_4 Depth=1
	s_delay_alu instid0(VALU_DEP_1) | instskip(NEXT) | instid1(VALU_DEP_3)
	v_mul_f64 v[13:14], s[10:11], v[21:22]
	v_mul_f64 v[15:16], s[10:11], v[11:12]
	s_delay_alu instid0(VALU_DEP_2) | instskip(NEXT) | instid1(VALU_DEP_2)
	v_fma_f64 v[11:12], s[8:9], v[11:12], -v[13:14]
	v_fma_f64 v[21:22], s[8:9], v[21:22], v[15:16]
.LBB29_24:                              ;   in Loop: Header=BB29_4 Depth=1
	v_mul_f64 v[13:14], v[39:40], v[35:36]
	v_mul_f64 v[15:16], v[39:40], v[33:34]
	s_and_not1_b32 vcc_lo, exec_lo, s29
	s_delay_alu instid0(VALU_DEP_2) | instskip(NEXT) | instid1(VALU_DEP_2)
	v_fma_f64 v[13:14], v[37:38], v[33:34], -v[13:14]
	v_fma_f64 v[23:24], v[37:38], v[35:36], v[15:16]
	s_cbranch_vccnz .LBB29_26
; %bb.25:                               ;   in Loop: Header=BB29_4 Depth=1
	s_delay_alu instid0(VALU_DEP_1) | instskip(NEXT) | instid1(VALU_DEP_3)
	v_mul_f64 v[15:16], s[10:11], v[23:24]
	v_mul_f64 v[25:26], s[10:11], v[13:14]
	s_delay_alu instid0(VALU_DEP_2) | instskip(NEXT) | instid1(VALU_DEP_2)
	v_fma_f64 v[13:14], s[8:9], v[13:14], -v[15:16]
	v_fma_f64 v[23:24], s[8:9], v[23:24], v[25:26]
.LBB29_26:                              ;   in Loop: Header=BB29_4 Depth=1
	v_mul_f64 v[15:16], v[47:48], v[43:44]
	v_mul_f64 v[25:26], v[47:48], v[41:42]
	s_and_not1_b32 vcc_lo, exec_lo, s29
	s_delay_alu instid0(VALU_DEP_2) | instskip(NEXT) | instid1(VALU_DEP_2)
	v_fma_f64 v[15:16], v[45:46], v[41:42], -v[15:16]
	v_fma_f64 v[25:26], v[45:46], v[43:44], v[25:26]
	s_cbranch_vccz .LBB29_31
; %bb.27:                               ;   in Loop: Header=BB29_4 Depth=1
	s_and_saveexec_b32 s15, s2
	s_delay_alu instid0(SALU_CYCLE_1)
	s_xor_b32 s2, exec_lo, s15
	s_cbranch_execnz .LBB29_32
.LBB29_28:                              ;   in Loop: Header=BB29_4 Depth=1
	s_or_b32 exec_lo, exec_lo, s2
	s_and_saveexec_b32 s2, s3
	s_cbranch_execnz .LBB29_33
.LBB29_29:                              ;   in Loop: Header=BB29_4 Depth=1
	s_or_b32 exec_lo, exec_lo, s2
	s_and_saveexec_b32 s2, s4
	s_cbranch_execnz .LBB29_34
.LBB29_30:                              ;   in Loop: Header=BB29_4 Depth=1
	s_or_b32 exec_lo, exec_lo, s2
	s_and_saveexec_b32 s2, s5
	s_cbranch_execz .LBB29_3
	s_branch .LBB29_35
.LBB29_31:                              ;   in Loop: Header=BB29_4 Depth=1
	s_delay_alu instid0(VALU_DEP_1) | instskip(NEXT) | instid1(VALU_DEP_3)
	v_mul_f64 v[27:28], s[10:11], v[25:26]
	v_mul_f64 v[33:34], s[10:11], v[15:16]
	s_delay_alu instid0(VALU_DEP_2) | instskip(NEXT) | instid1(VALU_DEP_2)
	v_fma_f64 v[15:16], s[8:9], v[15:16], -v[27:28]
	v_fma_f64 v[25:26], s[8:9], v[25:26], v[33:34]
	s_and_saveexec_b32 s15, s2
	s_delay_alu instid0(SALU_CYCLE_1)
	s_xor_b32 s2, exec_lo, s15
	s_cbranch_execz .LBB29_28
.LBB29_32:                              ;   in Loop: Header=BB29_4 Depth=1
	v_add_f64 v[3:4], v[3:4], v[51:52]
	v_add_f64 v[1:2], v[1:2], v[9:10]
	v_add_co_u32 v9, vcc_lo, v55, s12
	v_add_co_ci_u32_e32 v10, vcc_lo, s13, v56, vcc_lo
	global_store_b128 v[9:10], v[1:4], off offset:-8
	s_or_b32 exec_lo, exec_lo, s2
	s_and_saveexec_b32 s2, s3
	s_cbranch_execz .LBB29_29
.LBB29_33:                              ;   in Loop: Header=BB29_4 Depth=1
	v_add_f64 v[3:4], v[7:8], v[21:22]
	v_add_f64 v[1:2], v[5:6], v[11:12]
	v_add_co_u32 v5, vcc_lo, v61, s12
	v_add_co_ci_u32_e32 v6, vcc_lo, s13, v62, vcc_lo
	global_store_b128 v[5:6], v[1:4], off
	s_or_b32 exec_lo, exec_lo, s2
	s_and_saveexec_b32 s2, s4
	s_cbranch_execz .LBB29_30
.LBB29_34:                              ;   in Loop: Header=BB29_4 Depth=1
	v_add_f64 v[3:4], v[19:20], v[23:24]
	v_add_f64 v[1:2], v[17:18], v[13:14]
	v_add_co_u32 v5, vcc_lo, v75, s12
	v_add_co_ci_u32_e32 v6, vcc_lo, s13, v76, vcc_lo
	global_store_b128 v[5:6], v[1:4], off offset:-8
	s_or_b32 exec_lo, exec_lo, s2
	s_and_saveexec_b32 s2, s5
	s_cbranch_execz .LBB29_3
.LBB29_35:                              ;   in Loop: Header=BB29_4 Depth=1
	s_delay_alu instid0(VALU_DEP_1) | instskip(NEXT) | instid1(VALU_DEP_3)
	v_add_f64 v[3:4], v[31:32], v[25:26]
	v_add_f64 v[1:2], v[29:30], v[15:16]
	v_add_co_u32 v5, vcc_lo, v67, s12
	v_add_co_ci_u32_e32 v6, vcc_lo, s13, v68, vcc_lo
	global_store_b128 v[5:6], v[1:4], off offset:-8
	s_branch .LBB29_3
.LBB29_36:
	s_mov_b32 s14, 0
.LBB29_37:
	s_delay_alu instid0(SALU_CYCLE_1)
	s_and_not1_b32 vcc_lo, exec_lo, s14
	s_cbranch_vccnz .LBB29_49
; %bb.38:
	v_dual_mov_b32 v41, 0 :: v_dual_lshlrev_b32 v40, 2, v0
	s_mov_b32 s2, 0
	s_mov_b32 s3, exec_lo
	s_delay_alu instid0(VALU_DEP_1)
	v_cmpx_gt_i64_e64 s[6:7], v[40:41]
	s_cbranch_execz .LBB29_49
; %bb.39:
	s_waitcnt lgkmcnt(0)
	v_cmp_neq_f64_e64 s3, s[8:9], 1.0
	v_cmp_neq_f64_e64 s4, s[10:11], 0
	s_load_b32 s0, s[0:1], 0xc6c
	v_lshlrev_b32_e32 v48, 6, v0
	s_waitcnt lgkmcnt(0)
	s_and_b32 s0, s0, 0xffff
	s_delay_alu instid0(SALU_CYCLE_1) | instskip(NEXT) | instid1(VALU_DEP_3)
	v_add_lshl_u32 v40, v0, s0, 2
	s_or_b32 s1, s3, s4
	s_lshl_b32 s3, s0, 2
	s_lshl_b32 s4, s0, 6
	s_branch .LBB29_41
.LBB29_40:                              ;   in Loop: Header=BB29_41 Depth=1
	v_add_f64 v[10:11], v[10:11], v[46:47]
	v_add_f64 v[8:9], v[8:9], v[44:45]
	v_add_f64 v[6:7], v[6:7], v[34:35]
	v_add_f64 v[4:5], v[4:5], v[32:33]
	v_add_f64 v[14:15], v[14:15], v[26:27]
	v_add_f64 v[12:13], v[12:13], v[24:25]
	v_add_f64 v[2:3], v[2:3], v[18:19]
	v_add_f64 v[0:1], v[0:1], v[16:17]
	v_cmp_le_i64_e32 vcc_lo, s[6:7], v[40:41]
	v_cmp_lt_u64_e64 s0, 0xffff, v[40:41]
	s_clause 0x3
	global_store_b128 v[42:43], v[8:11], off
	global_store_b128 v[42:43], v[4:7], off offset:16
	global_store_b128 v[42:43], v[12:15], off offset:32
	;; [unrolled: 1-line block ×3, first 2 shown]
	s_or_b32 s0, vcc_lo, s0
	s_add_u32 s20, s20, s4
	s_addc_u32 s21, s21, 0
	s_add_u32 s24, s24, s4
	s_addc_u32 s25, s25, 0
	v_add_co_u32 v40, vcc_lo, v40, s3
	s_add_u32 s22, s22, s4
	s_addc_u32 s23, s23, 0
	v_add_co_ci_u32_e32 v41, vcc_lo, 0, v41, vcc_lo
	s_and_b32 s0, exec_lo, s0
	s_delay_alu instid0(SALU_CYCLE_1) | instskip(NEXT) | instid1(SALU_CYCLE_1)
	s_or_b32 s2, s0, s2
	s_and_not1_b32 exec_lo, exec_lo, s2
	s_cbranch_execz .LBB29_49
.LBB29_41:                              ; =>This Inner Loop Header: Depth=1
	v_add_co_u32 v20, s0, s22, v48
	s_delay_alu instid0(VALU_DEP_1) | instskip(SKIP_1) | instid1(VALU_DEP_1)
	v_add_co_ci_u32_e64 v21, null, s23, 0, s0
	v_add_co_u32 v28, s0, s24, v48
	v_add_co_ci_u32_e64 v29, null, s25, 0, s0
	global_load_b128 v[44:47], v[20:21], off
	global_load_b128 v[49:52], v[28:29], off
	v_add_co_u32 v42, s0, s20, v48
	s_delay_alu instid0(VALU_DEP_1)
	v_add_co_ci_u32_e64 v43, null, s21, 0, s0
	global_load_b128 v[32:35], v[20:21], off offset:16
	global_load_b128 v[36:39], v[28:29], off offset:16
	s_clause 0x3
	global_load_b128 v[0:3], v[42:43], off offset:48
	global_load_b128 v[12:15], v[42:43], off offset:32
	;; [unrolled: 1-line block ×3, first 2 shown]
	global_load_b128 v[8:11], v[42:43], off
	s_clause 0x1
	global_load_b128 v[16:19], v[20:21], off offset:48
	global_load_b128 v[24:27], v[20:21], off offset:32
	s_clause 0x1
	global_load_b128 v[20:23], v[28:29], off offset:48
	global_load_b128 v[28:31], v[28:29], off offset:32
	s_and_not1_b32 vcc_lo, exec_lo, s1
	s_waitcnt vmcnt(10)
	v_mul_f64 v[53:54], v[46:47], v[51:52]
	v_mul_f64 v[51:52], v[44:45], v[51:52]
	s_delay_alu instid0(VALU_DEP_2) | instskip(NEXT) | instid1(VALU_DEP_2)
	v_fma_f64 v[44:45], v[44:45], v[49:50], -v[53:54]
	v_fma_f64 v[46:47], v[46:47], v[49:50], v[51:52]
	s_cbranch_vccnz .LBB29_43
; %bb.42:                               ;   in Loop: Header=BB29_41 Depth=1
	s_delay_alu instid0(VALU_DEP_1) | instskip(NEXT) | instid1(VALU_DEP_3)
	v_mul_f64 v[49:50], s[10:11], v[46:47]
	v_mul_f64 v[51:52], s[10:11], v[44:45]
	s_delay_alu instid0(VALU_DEP_2) | instskip(NEXT) | instid1(VALU_DEP_2)
	v_fma_f64 v[44:45], s[8:9], v[44:45], -v[49:50]
	v_fma_f64 v[46:47], s[8:9], v[46:47], v[51:52]
.LBB29_43:                              ;   in Loop: Header=BB29_41 Depth=1
	s_waitcnt vmcnt(8)
	v_mul_f64 v[49:50], v[34:35], v[38:39]
	v_mul_f64 v[38:39], v[32:33], v[38:39]
	s_and_not1_b32 vcc_lo, exec_lo, s1
	s_delay_alu instid0(VALU_DEP_2) | instskip(NEXT) | instid1(VALU_DEP_2)
	v_fma_f64 v[32:33], v[32:33], v[36:37], -v[49:50]
	v_fma_f64 v[34:35], v[34:35], v[36:37], v[38:39]
	s_cbranch_vccnz .LBB29_45
; %bb.44:                               ;   in Loop: Header=BB29_41 Depth=1
	s_delay_alu instid0(VALU_DEP_1) | instskip(NEXT) | instid1(VALU_DEP_3)
	v_mul_f64 v[36:37], s[10:11], v[34:35]
	v_mul_f64 v[38:39], s[10:11], v[32:33]
	s_delay_alu instid0(VALU_DEP_2) | instskip(NEXT) | instid1(VALU_DEP_2)
	v_fma_f64 v[32:33], s[8:9], v[32:33], -v[36:37]
	v_fma_f64 v[34:35], s[8:9], v[34:35], v[38:39]
.LBB29_45:                              ;   in Loop: Header=BB29_41 Depth=1
	s_waitcnt vmcnt(0)
	v_mul_f64 v[36:37], v[26:27], v[30:31]
	v_mul_f64 v[30:31], v[24:25], v[30:31]
	s_and_not1_b32 vcc_lo, exec_lo, s1
	s_delay_alu instid0(VALU_DEP_2) | instskip(NEXT) | instid1(VALU_DEP_2)
	v_fma_f64 v[24:25], v[24:25], v[28:29], -v[36:37]
	v_fma_f64 v[26:27], v[26:27], v[28:29], v[30:31]
	s_cbranch_vccnz .LBB29_47
; %bb.46:                               ;   in Loop: Header=BB29_41 Depth=1
	s_delay_alu instid0(VALU_DEP_1) | instskip(NEXT) | instid1(VALU_DEP_3)
	v_mul_f64 v[28:29], s[10:11], v[26:27]
	v_mul_f64 v[30:31], s[10:11], v[24:25]
	s_delay_alu instid0(VALU_DEP_2) | instskip(NEXT) | instid1(VALU_DEP_2)
	v_fma_f64 v[24:25], s[8:9], v[24:25], -v[28:29]
	v_fma_f64 v[26:27], s[8:9], v[26:27], v[30:31]
.LBB29_47:                              ;   in Loop: Header=BB29_41 Depth=1
	v_mul_f64 v[28:29], v[18:19], v[22:23]
	v_mul_f64 v[22:23], v[16:17], v[22:23]
	s_and_not1_b32 vcc_lo, exec_lo, s1
	s_delay_alu instid0(VALU_DEP_2) | instskip(NEXT) | instid1(VALU_DEP_2)
	v_fma_f64 v[16:17], v[16:17], v[20:21], -v[28:29]
	v_fma_f64 v[18:19], v[18:19], v[20:21], v[22:23]
	s_cbranch_vccnz .LBB29_40
; %bb.48:                               ;   in Loop: Header=BB29_41 Depth=1
	s_delay_alu instid0(VALU_DEP_1) | instskip(NEXT) | instid1(VALU_DEP_3)
	v_mul_f64 v[20:21], s[10:11], v[18:19]
	v_mul_f64 v[22:23], s[10:11], v[16:17]
	s_delay_alu instid0(VALU_DEP_2) | instskip(NEXT) | instid1(VALU_DEP_2)
	v_fma_f64 v[16:17], s[8:9], v[16:17], -v[20:21]
	v_fma_f64 v[18:19], s[8:9], v[18:19], v[22:23]
	s_branch .LBB29_40
.LBB29_49:
	s_nop 0
	s_sendmsg sendmsg(MSG_DEALLOC_VGPRS)
	s_endpgm
	.section	.rodata,"a",@progbits
	.p2align	6, 0x0
	.amdhsa_kernel _ZN2at6native12_GLOBAL__N_125multi_tensor_apply_kernelINS1_18TensorListMetadataILi3EEENS1_24PointwiseOpScalarFunctorIN3c107complexIdEELi3ELi3ELi0EEEJSt10multipliesIS8_ES8_EEEvT_T0_DpT1_
		.amdhsa_group_segment_fixed_size 0
		.amdhsa_private_segment_fixed_size 0
		.amdhsa_kernarg_size 3424
		.amdhsa_user_sgpr_count 15
		.amdhsa_user_sgpr_dispatch_ptr 0
		.amdhsa_user_sgpr_queue_ptr 0
		.amdhsa_user_sgpr_kernarg_segment_ptr 1
		.amdhsa_user_sgpr_dispatch_id 0
		.amdhsa_user_sgpr_private_segment_size 0
		.amdhsa_wavefront_size32 1
		.amdhsa_uses_dynamic_stack 0
		.amdhsa_enable_private_segment 0
		.amdhsa_system_sgpr_workgroup_id_x 1
		.amdhsa_system_sgpr_workgroup_id_y 0
		.amdhsa_system_sgpr_workgroup_id_z 0
		.amdhsa_system_sgpr_workgroup_info 0
		.amdhsa_system_vgpr_workitem_id 0
		.amdhsa_next_free_vgpr 77
		.amdhsa_next_free_sgpr 31
		.amdhsa_reserve_vcc 1
		.amdhsa_float_round_mode_32 0
		.amdhsa_float_round_mode_16_64 0
		.amdhsa_float_denorm_mode_32 3
		.amdhsa_float_denorm_mode_16_64 3
		.amdhsa_dx10_clamp 1
		.amdhsa_ieee_mode 1
		.amdhsa_fp16_overflow 0
		.amdhsa_workgroup_processor_mode 1
		.amdhsa_memory_ordered 1
		.amdhsa_forward_progress 0
		.amdhsa_shared_vgpr_count 0
		.amdhsa_exception_fp_ieee_invalid_op 0
		.amdhsa_exception_fp_denorm_src 0
		.amdhsa_exception_fp_ieee_div_zero 0
		.amdhsa_exception_fp_ieee_overflow 0
		.amdhsa_exception_fp_ieee_underflow 0
		.amdhsa_exception_fp_ieee_inexact 0
		.amdhsa_exception_int_div_zero 0
	.end_amdhsa_kernel
	.section	.text._ZN2at6native12_GLOBAL__N_125multi_tensor_apply_kernelINS1_18TensorListMetadataILi3EEENS1_24PointwiseOpScalarFunctorIN3c107complexIdEELi3ELi3ELi0EEEJSt10multipliesIS8_ES8_EEEvT_T0_DpT1_,"axG",@progbits,_ZN2at6native12_GLOBAL__N_125multi_tensor_apply_kernelINS1_18TensorListMetadataILi3EEENS1_24PointwiseOpScalarFunctorIN3c107complexIdEELi3ELi3ELi0EEEJSt10multipliesIS8_ES8_EEEvT_T0_DpT1_,comdat
.Lfunc_end29:
	.size	_ZN2at6native12_GLOBAL__N_125multi_tensor_apply_kernelINS1_18TensorListMetadataILi3EEENS1_24PointwiseOpScalarFunctorIN3c107complexIdEELi3ELi3ELi0EEEJSt10multipliesIS8_ES8_EEEvT_T0_DpT1_, .Lfunc_end29-_ZN2at6native12_GLOBAL__N_125multi_tensor_apply_kernelINS1_18TensorListMetadataILi3EEENS1_24PointwiseOpScalarFunctorIN3c107complexIdEELi3ELi3ELi0EEEJSt10multipliesIS8_ES8_EEEvT_T0_DpT1_
                                        ; -- End function
	.section	.AMDGPU.csdata,"",@progbits
; Kernel info:
; codeLenInByte = 2852
; NumSgprs: 33
; NumVgprs: 77
; ScratchSize: 0
; MemoryBound: 1
; FloatMode: 240
; IeeeMode: 1
; LDSByteSize: 0 bytes/workgroup (compile time only)
; SGPRBlocks: 4
; VGPRBlocks: 9
; NumSGPRsForWavesPerEU: 33
; NumVGPRsForWavesPerEU: 77
; Occupancy: 16
; WaveLimiterHint : 0
; COMPUTE_PGM_RSRC2:SCRATCH_EN: 0
; COMPUTE_PGM_RSRC2:USER_SGPR: 15
; COMPUTE_PGM_RSRC2:TRAP_HANDLER: 0
; COMPUTE_PGM_RSRC2:TGID_X_EN: 1
; COMPUTE_PGM_RSRC2:TGID_Y_EN: 0
; COMPUTE_PGM_RSRC2:TGID_Z_EN: 0
; COMPUTE_PGM_RSRC2:TIDIG_COMP_CNT: 0
	.section	.text._ZN2at6native12_GLOBAL__N_125multi_tensor_apply_kernelINS1_18TensorListMetadataILi3EEENS1_24PointwiseOpScalarFunctorIN3c107complexIfEELi3ELi3ELi0EEEJSt10multipliesIS8_ES8_EEEvT_T0_DpT1_,"axG",@progbits,_ZN2at6native12_GLOBAL__N_125multi_tensor_apply_kernelINS1_18TensorListMetadataILi3EEENS1_24PointwiseOpScalarFunctorIN3c107complexIfEELi3ELi3ELi0EEEJSt10multipliesIS8_ES8_EEEvT_T0_DpT1_,comdat
	.globl	_ZN2at6native12_GLOBAL__N_125multi_tensor_apply_kernelINS1_18TensorListMetadataILi3EEENS1_24PointwiseOpScalarFunctorIN3c107complexIfEELi3ELi3ELi0EEEJSt10multipliesIS8_ES8_EEEvT_T0_DpT1_ ; -- Begin function _ZN2at6native12_GLOBAL__N_125multi_tensor_apply_kernelINS1_18TensorListMetadataILi3EEENS1_24PointwiseOpScalarFunctorIN3c107complexIfEELi3ELi3ELi0EEEJSt10multipliesIS8_ES8_EEEvT_T0_DpT1_
	.p2align	8
	.type	_ZN2at6native12_GLOBAL__N_125multi_tensor_apply_kernelINS1_18TensorListMetadataILi3EEENS1_24PointwiseOpScalarFunctorIN3c107complexIfEELi3ELi3ELi0EEEJSt10multipliesIS8_ES8_EEEvT_T0_DpT1_,@function
_ZN2at6native12_GLOBAL__N_125multi_tensor_apply_kernelINS1_18TensorListMetadataILi3EEENS1_24PointwiseOpScalarFunctorIN3c107complexIfEELi3ELi3ELi0EEEJSt10multipliesIS8_ES8_EEEvT_T0_DpT1_: ; @_ZN2at6native12_GLOBAL__N_125multi_tensor_apply_kernelINS1_18TensorListMetadataILi3EEENS1_24PointwiseOpScalarFunctorIN3c107complexIfEELi3ELi3ELi0EEEJSt10multipliesIS8_ES8_EEEvT_T0_DpT1_
; %bb.0:
	v_mov_b32_e32 v1, s15
	s_add_u32 s2, s0, s15
	s_mul_hi_u32 s3, s15, 3
	s_mul_i32 s15, s15, 3
	s_addc_u32 s4, s1, 0
	global_load_u8 v1, v1, s[0:1] offset:1536
	s_add_u32 s2, s2, s15
	s_addc_u32 s3, s4, s3
	s_mov_b32 s25, 0
	s_load_b32 s2, s[2:3], 0x740
	s_waitcnt vmcnt(0)
	v_readfirstlane_b32 s3, v1
	s_delay_alu instid0(VALU_DEP_1)
	s_lshl_b32 s3, s3, 3
	s_clause 0x3
	s_load_b64 s[4:5], s[0:1], s3 offset:0x0
	s_load_b64 s[6:7], s[0:1], s3 offset:0x180
	;; [unrolled: 1-line block ×4, first 2 shown]
	s_waitcnt lgkmcnt(0)
	s_ashr_i32 s3, s2, 31
	s_delay_alu instid0(SALU_CYCLE_1) | instskip(NEXT) | instid1(SALU_CYCLE_1)
	s_lshl_b64 s[12:13], s[2:3], 19
	s_add_u32 s18, s4, s12
	s_addc_u32 s19, s5, s13
	s_add_u32 s20, s6, s12
	s_addc_u32 s21, s7, s13
	;; [unrolled: 2-line block ×3, first 2 shown]
	s_or_b32 s8, s22, s20
	s_and_b32 s24, s18, 31
	s_and_b32 s8, s8, 31
	s_delay_alu instid0(SALU_CYCLE_1) | instskip(SKIP_3) | instid1(SALU_CYCLE_1)
	s_cmp_eq_u32 s8, 0
	s_load_b64 s[8:9], s[0:1], 0xc50
	s_cselect_b32 s26, -1, 0
	s_lshl_b64 s[2:3], s[2:3], 16
	s_sub_u32 s10, s14, s2
	s_subb_u32 s11, s15, s3
	s_and_b32 s2, s14, 3
	s_mov_b32 s3, s25
	s_delay_alu instid0(SALU_CYCLE_1) | instskip(NEXT) | instid1(SALU_CYCLE_1)
	s_or_b64 s[2:3], s[24:25], s[2:3]
	s_cmp_eq_u64 s[2:3], 0
	s_cselect_b32 s2, -1, 0
	s_delay_alu instid0(SALU_CYCLE_1) | instskip(NEXT) | instid1(SALU_CYCLE_1)
	s_and_b32 s2, s26, s2
	s_and_b32 vcc_lo, exec_lo, s2
	s_mov_b32 s2, -1
	s_cbranch_vccnz .LBB30_29
; %bb.1:
	v_cmp_lt_i64_e64 s2, s[10:11], 1
	s_delay_alu instid0(VALU_DEP_1)
	s_and_b32 vcc_lo, exec_lo, s2
	s_cbranch_vccnz .LBB30_28
; %bb.2:
	s_load_b32 s2, s[0:1], 0xc64
	v_dual_mov_b32 v2, 0 :: v_dual_lshlrev_b32 v1, 3, v0
	v_cmp_gt_u64_e64 s3, 0x10000, s[10:11]
	s_waitcnt lgkmcnt(0)
	v_cmp_eq_f32_e64 s24, s8, 1.0
	s_delay_alu instid0(VALU_DEP_3) | instskip(NEXT) | instid1(VALU_DEP_1)
	v_add_co_u32 v25, s14, s4, v1
	v_add_co_ci_u32_e64 v26, null, s5, 0, s14
	v_add_co_u32 v27, s14, s6, v1
	s_delay_alu instid0(VALU_DEP_1)
	v_add_co_ci_u32_e64 v28, null, s7, 0, s14
	s_and_b32 s25, s2, 0xffff
	s_and_b32 s2, s3, exec_lo
	v_mad_u64_u32 v[3:4], null, s25, 24, v[1:2]
	s_cselect_b32 s15, s11, 0
	s_cselect_b32 s14, s10, 0x10000
	s_and_b32 s2, s9, 0x7fffffff
	s_lshl_b32 s3, s25, 1
	s_cmp_eq_u32 s2, 0
	v_add_co_u32 v29, s2, s16, v1
	s_delay_alu instid0(VALU_DEP_1)
	v_add_co_ci_u32_e64 v30, null, s17, 0, s2
	s_cselect_b32 s2, -1, 0
	v_add_co_u32 v31, vcc_lo, s4, v3
	s_and_b32 s2, s24, s2
	v_add_co_ci_u32_e32 v32, vcc_lo, s5, v4, vcc_lo
	s_lshl_b32 s24, s25, 4
	v_add_co_u32 v33, vcc_lo, s6, v3
	v_add_co_u32 v1, s24, s24, v1
	v_add_co_ci_u32_e32 v34, vcc_lo, s7, v4, vcc_lo
	s_mul_i32 s26, s25, 3
	v_add_co_u32 v35, vcc_lo, s16, v3
	v_add_co_ci_u32_e64 v2, null, 0, 0, s24
	v_add_co_ci_u32_e32 v36, vcc_lo, s17, v4, vcc_lo
	v_add_co_u32 v37, s24, s26, v0
	v_add_co_u32 v39, vcc_lo, s4, v1
	v_add_co_ci_u32_e64 v38, null, 0, 0, s24
	v_add_co_u32 v43, s24, v0, s25
	v_add_co_ci_u32_e32 v40, vcc_lo, s5, v2, vcc_lo
	v_add_co_u32 v41, vcc_lo, s6, v1
	v_add_co_ci_u32_e32 v42, vcc_lo, s7, v2, vcc_lo
	v_add_co_u32 v44, vcc_lo, s16, v1
	v_lshlrev_b32_e32 v1, 3, v43
	v_add_co_u32 v47, s3, s3, v0
	s_delay_alu instid0(VALU_DEP_1) | instskip(NEXT) | instid1(VALU_DEP_3)
	v_add_co_ci_u32_e64 v48, null, 0, 0, s3
	v_add_co_u32 v49, s3, s4, v1
	s_delay_alu instid0(VALU_DEP_1) | instskip(SKIP_1) | instid1(VALU_DEP_1)
	v_add_co_ci_u32_e64 v50, null, s5, 0, s3
	v_add_co_u32 v51, s3, s6, v1
	v_add_co_ci_u32_e64 v52, null, s7, 0, s3
	v_add_co_u32 v53, s3, s16, v1
	v_add_co_ci_u32_e32 v45, vcc_lo, s17, v2, vcc_lo
	v_add_co_ci_u32_e64 v46, null, 0, 0, s24
	v_add_co_ci_u32_e64 v54, null, s17, 0, s3
	s_lshl_b32 s7, s25, 2
	s_lshl_b32 s24, s25, 5
	s_mov_b64 s[16:17], 0
	s_branch .LBB30_4
.LBB30_3:                               ;   in Loop: Header=BB30_4 Depth=1
	s_or_b32 exec_lo, exec_lo, s3
	v_add_co_u32 v25, vcc_lo, v25, s24
	v_add_co_ci_u32_e32 v26, vcc_lo, 0, v26, vcc_lo
	v_add_co_u32 v27, vcc_lo, v27, s24
	v_add_co_ci_u32_e32 v28, vcc_lo, 0, v28, vcc_lo
	;; [unrolled: 2-line block ×9, first 2 shown]
	s_add_u32 s16, s16, s7
	v_add_co_u32 v49, vcc_lo, v49, s24
	s_addc_u32 s17, s17, 0
	v_add_co_ci_u32_e32 v50, vcc_lo, 0, v50, vcc_lo
	v_cmp_lt_i64_e64 s3, s[16:17], s[10:11]
	v_cmp_gt_u64_e64 s4, 0x10000, s[16:17]
	v_add_co_u32 v51, vcc_lo, v51, s24
	v_add_co_ci_u32_e32 v52, vcc_lo, 0, v52, vcc_lo
	v_add_co_u32 v53, vcc_lo, v53, s24
	v_add_co_ci_u32_e32 v54, vcc_lo, 0, v54, vcc_lo
	s_and_b32 s3, s3, s4
	s_delay_alu instid0(SALU_CYCLE_1)
	s_and_b32 vcc_lo, exec_lo, s3
	s_cbranch_vccz .LBB30_28
.LBB30_4:                               ; =>This Inner Loop Header: Depth=1
	s_waitcnt vmcnt(1)
	v_add_co_u32 v1, s3, v0, s16
	s_delay_alu instid0(VALU_DEP_1) | instskip(SKIP_2) | instid1(VALU_DEP_2)
	v_add_co_ci_u32_e64 v2, null, 0, s17, s3
	s_waitcnt vmcnt(0)
	v_dual_mov_b32 v4, 0 :: v_dual_mov_b32 v3, 0
	v_cmp_gt_u64_e32 vcc_lo, s[14:15], v[1:2]
	v_dual_mov_b32 v2, 0 :: v_dual_mov_b32 v1, 0
	s_and_saveexec_b32 s4, vcc_lo
	s_cbranch_execz .LBB30_6
; %bb.5:                                ;   in Loop: Header=BB30_4 Depth=1
	v_add_co_u32 v1, s3, v25, s12
	s_delay_alu instid0(VALU_DEP_1) | instskip(SKIP_1) | instid1(VALU_DEP_1)
	v_add_co_ci_u32_e64 v2, s3, s13, v26, s3
	v_add_co_u32 v3, s3, v27, s12
	v_add_co_ci_u32_e64 v4, s3, s13, v28, s3
	global_load_b64 v[1:2], v[1:2], off
	global_load_b64 v[3:4], v[3:4], off
.LBB30_6:                               ;   in Loop: Header=BB30_4 Depth=1
	s_or_b32 exec_lo, exec_lo, s4
	v_dual_mov_b32 v6, 0 :: v_dual_mov_b32 v9, 0
	v_mov_b32_e32 v10, 0
	s_and_saveexec_b32 s4, vcc_lo
	s_cbranch_execz .LBB30_8
; %bb.7:                                ;   in Loop: Header=BB30_4 Depth=1
	v_add_co_u32 v7, s3, v29, s12
	s_delay_alu instid0(VALU_DEP_1)
	v_add_co_ci_u32_e64 v8, s3, s13, v30, s3
	global_load_b64 v[9:10], v[7:8], off
.LBB30_8:                               ;   in Loop: Header=BB30_4 Depth=1
	s_or_b32 exec_lo, exec_lo, s4
	v_add_co_u32 v7, s3, v43, s16
	s_delay_alu instid0(VALU_DEP_1) | instskip(SKIP_1) | instid1(VALU_DEP_2)
	v_add_co_ci_u32_e64 v8, s3, s17, v46, s3
	v_mov_b32_e32 v5, 0
	v_cmp_gt_u64_e64 s3, s[14:15], v[7:8]
	v_dual_mov_b32 v8, 0 :: v_dual_mov_b32 v7, 0
	s_delay_alu instid0(VALU_DEP_2)
	s_and_saveexec_b32 s5, s3
	s_cbranch_execz .LBB30_10
; %bb.9:                                ;   in Loop: Header=BB30_4 Depth=1
	v_add_co_u32 v5, s4, v49, s12
	s_delay_alu instid0(VALU_DEP_1) | instskip(SKIP_1) | instid1(VALU_DEP_1)
	v_add_co_ci_u32_e64 v6, s4, s13, v50, s4
	v_add_co_u32 v11, s4, v51, s12
	v_add_co_ci_u32_e64 v12, s4, s13, v52, s4
	global_load_b64 v[7:8], v[5:6], off
	global_load_b64 v[5:6], v[11:12], off
.LBB30_10:                              ;   in Loop: Header=BB30_4 Depth=1
	s_or_b32 exec_lo, exec_lo, s5
	v_dual_mov_b32 v12, 0 :: v_dual_mov_b32 v15, 0
	v_mov_b32_e32 v16, 0
	s_and_saveexec_b32 s5, s3
	s_cbranch_execz .LBB30_12
; %bb.11:                               ;   in Loop: Header=BB30_4 Depth=1
	v_add_co_u32 v13, s4, v53, s12
	s_delay_alu instid0(VALU_DEP_1)
	v_add_co_ci_u32_e64 v14, s4, s13, v54, s4
	global_load_b64 v[15:16], v[13:14], off
.LBB30_12:                              ;   in Loop: Header=BB30_4 Depth=1
	s_or_b32 exec_lo, exec_lo, s5
	v_add_co_u32 v13, s4, v47, s16
	s_delay_alu instid0(VALU_DEP_1) | instskip(SKIP_1) | instid1(VALU_DEP_2)
	v_add_co_ci_u32_e64 v14, s4, s17, v48, s4
	v_mov_b32_e32 v11, 0
	v_cmp_gt_u64_e64 s4, s[14:15], v[13:14]
	v_dual_mov_b32 v14, 0 :: v_dual_mov_b32 v13, 0
	s_delay_alu instid0(VALU_DEP_2)
	s_and_saveexec_b32 s6, s4
	s_cbranch_execz .LBB30_14
; %bb.13:                               ;   in Loop: Header=BB30_4 Depth=1
	v_add_co_u32 v11, s5, v39, s12
	s_delay_alu instid0(VALU_DEP_1) | instskip(SKIP_1) | instid1(VALU_DEP_1)
	v_add_co_ci_u32_e64 v12, s5, s13, v40, s5
	v_add_co_u32 v17, s5, v41, s12
	v_add_co_ci_u32_e64 v18, s5, s13, v42, s5
	global_load_b64 v[13:14], v[11:12], off
	global_load_b64 v[11:12], v[17:18], off
.LBB30_14:                              ;   in Loop: Header=BB30_4 Depth=1
	s_or_b32 exec_lo, exec_lo, s6
	v_dual_mov_b32 v18, 0 :: v_dual_mov_b32 v21, 0
	v_mov_b32_e32 v22, 0
	s_and_saveexec_b32 s6, s4
	s_cbranch_execz .LBB30_16
; %bb.15:                               ;   in Loop: Header=BB30_4 Depth=1
	v_add_co_u32 v19, s5, v44, s12
	s_delay_alu instid0(VALU_DEP_1)
	v_add_co_ci_u32_e64 v20, s5, s13, v45, s5
	global_load_b64 v[21:22], v[19:20], off
.LBB30_16:                              ;   in Loop: Header=BB30_4 Depth=1
	s_or_b32 exec_lo, exec_lo, s6
	v_add_co_u32 v19, s5, v37, s16
	s_delay_alu instid0(VALU_DEP_1) | instskip(SKIP_1) | instid1(VALU_DEP_2)
	v_add_co_ci_u32_e64 v20, s5, s17, v38, s5
	v_mov_b32_e32 v17, 0
	v_cmp_gt_u64_e64 s5, s[14:15], v[19:20]
	v_dual_mov_b32 v20, 0 :: v_dual_mov_b32 v19, 0
	s_delay_alu instid0(VALU_DEP_2)
	s_and_saveexec_b32 s25, s5
	s_cbranch_execz .LBB30_18
; %bb.17:                               ;   in Loop: Header=BB30_4 Depth=1
	v_add_co_u32 v17, s6, v31, s12
	s_delay_alu instid0(VALU_DEP_1) | instskip(SKIP_1) | instid1(VALU_DEP_1)
	v_add_co_ci_u32_e64 v18, s6, s13, v32, s6
	v_add_co_u32 v23, s6, v33, s12
	v_add_co_ci_u32_e64 v24, s6, s13, v34, s6
	global_load_b64 v[19:20], v[17:18], off
	global_load_b64 v[17:18], v[23:24], off
.LBB30_18:                              ;   in Loop: Header=BB30_4 Depth=1
	s_or_b32 exec_lo, exec_lo, s25
	v_dual_mov_b32 v24, 0 :: v_dual_mov_b32 v23, 0
	s_and_saveexec_b32 s25, s5
	s_cbranch_execnz .LBB30_23
; %bb.19:                               ;   in Loop: Header=BB30_4 Depth=1
	s_or_b32 exec_lo, exec_lo, s25
	s_and_saveexec_b32 s6, vcc_lo
	s_cbranch_execnz .LBB30_24
.LBB30_20:                              ;   in Loop: Header=BB30_4 Depth=1
	s_or_b32 exec_lo, exec_lo, s6
	s_and_saveexec_b32 s6, s3
	s_cbranch_execnz .LBB30_25
.LBB30_21:                              ;   in Loop: Header=BB30_4 Depth=1
	s_or_b32 exec_lo, exec_lo, s6
	s_and_saveexec_b32 s3, s4
	s_cbranch_execnz .LBB30_26
.LBB30_22:                              ;   in Loop: Header=BB30_4 Depth=1
	s_or_b32 exec_lo, exec_lo, s3
	s_and_saveexec_b32 s3, s5
	s_cbranch_execz .LBB30_3
	s_branch .LBB30_27
.LBB30_23:                              ;   in Loop: Header=BB30_4 Depth=1
	v_add_co_u32 v23, s6, v35, s12
	s_delay_alu instid0(VALU_DEP_1)
	v_add_co_ci_u32_e64 v24, s6, s13, v36, s6
	global_load_b64 v[23:24], v[23:24], off
	s_or_b32 exec_lo, exec_lo, s25
	s_and_saveexec_b32 s6, vcc_lo
	s_cbranch_execz .LBB30_20
.LBB30_24:                              ;   in Loop: Header=BB30_4 Depth=1
	s_waitcnt vmcnt(0)
	v_mul_f32_e32 v55, v4, v10
	v_mul_f32_e32 v4, v4, v9
	s_delay_alu instid0(VALU_DEP_1) | instskip(NEXT) | instid1(VALU_DEP_1)
	v_fmac_f32_e32 v4, v3, v10
	v_mul_f32_e32 v10, s9, v4
	s_delay_alu instid0(VALU_DEP_4) | instskip(NEXT) | instid1(VALU_DEP_1)
	v_fma_f32 v9, v3, v9, -v55
	v_mul_f32_e32 v3, s9, v9
	s_delay_alu instid0(VALU_DEP_3) | instskip(NEXT) | instid1(VALU_DEP_2)
	v_fma_f32 v10, v9, s8, -v10
	v_fmac_f32_e32 v3, s8, v4
	s_delay_alu instid0(VALU_DEP_1) | instskip(NEXT) | instid1(VALU_DEP_3)
	v_cndmask_b32_e64 v3, v3, v4, s2
	v_cndmask_b32_e64 v4, v10, v9, s2
	s_delay_alu instid0(VALU_DEP_1)
	v_dual_add_f32 v2, v2, v3 :: v_dual_add_f32 v1, v1, v4
	v_add_co_u32 v3, vcc_lo, v25, s12
	v_add_co_ci_u32_e32 v4, vcc_lo, s13, v26, vcc_lo
	global_store_b64 v[3:4], v[1:2], off
	s_or_b32 exec_lo, exec_lo, s6
	s_and_saveexec_b32 s6, s3
	s_cbranch_execz .LBB30_21
.LBB30_25:                              ;   in Loop: Header=BB30_4 Depth=1
	s_waitcnt vmcnt(0)
	v_mul_f32_e32 v2, v6, v16
	s_delay_alu instid0(VALU_DEP_1) | instskip(NEXT) | instid1(VALU_DEP_1)
	v_fma_f32 v2, v5, v15, -v2
	v_dual_mul_f32 v1, v6, v15 :: v_dual_mul_f32 v4, s9, v2
	s_delay_alu instid0(VALU_DEP_1) | instskip(NEXT) | instid1(VALU_DEP_1)
	v_fmac_f32_e32 v1, v5, v16
	v_mul_f32_e32 v3, s9, v1
	s_delay_alu instid0(VALU_DEP_1) | instskip(NEXT) | instid1(VALU_DEP_1)
	v_fma_f32 v3, v2, s8, -v3
	v_cndmask_b32_e64 v2, v3, v2, s2
	v_fmac_f32_e32 v4, s8, v1
	s_delay_alu instid0(VALU_DEP_1) | instskip(NEXT) | instid1(VALU_DEP_1)
	v_cndmask_b32_e64 v3, v4, v1, s2
	v_dual_add_f32 v1, v7, v2 :: v_dual_add_f32 v2, v8, v3
	v_add_co_u32 v3, vcc_lo, v49, s12
	v_add_co_ci_u32_e32 v4, vcc_lo, s13, v50, vcc_lo
	global_store_b64 v[3:4], v[1:2], off
	s_or_b32 exec_lo, exec_lo, s6
	s_and_saveexec_b32 s3, s4
	s_cbranch_execz .LBB30_22
.LBB30_26:                              ;   in Loop: Header=BB30_4 Depth=1
	s_waitcnt vmcnt(0)
	v_mul_f32_e32 v2, v12, v22
	s_delay_alu instid0(VALU_DEP_1) | instskip(NEXT) | instid1(VALU_DEP_1)
	v_fma_f32 v2, v11, v21, -v2
	v_dual_mul_f32 v1, v12, v21 :: v_dual_mul_f32 v4, s9, v2
	s_delay_alu instid0(VALU_DEP_1) | instskip(NEXT) | instid1(VALU_DEP_1)
	v_fmac_f32_e32 v1, v11, v22
	v_mul_f32_e32 v3, s9, v1
	s_delay_alu instid0(VALU_DEP_1) | instskip(NEXT) | instid1(VALU_DEP_1)
	v_fma_f32 v3, v2, s8, -v3
	v_cndmask_b32_e64 v2, v3, v2, s2
	v_fmac_f32_e32 v4, s8, v1
	s_delay_alu instid0(VALU_DEP_1) | instskip(NEXT) | instid1(VALU_DEP_1)
	v_cndmask_b32_e64 v3, v4, v1, s2
	v_dual_add_f32 v1, v13, v2 :: v_dual_add_f32 v2, v14, v3
	v_add_co_u32 v3, vcc_lo, v39, s12
	v_add_co_ci_u32_e32 v4, vcc_lo, s13, v40, vcc_lo
	global_store_b64 v[3:4], v[1:2], off
	s_or_b32 exec_lo, exec_lo, s3
	s_and_saveexec_b32 s3, s5
	s_cbranch_execz .LBB30_3
.LBB30_27:                              ;   in Loop: Header=BB30_4 Depth=1
	s_waitcnt vmcnt(0)
	v_mul_f32_e32 v2, v18, v24
	s_delay_alu instid0(VALU_DEP_1) | instskip(NEXT) | instid1(VALU_DEP_1)
	v_fma_f32 v2, v17, v23, -v2
	v_dual_mul_f32 v1, v18, v23 :: v_dual_mul_f32 v4, s9, v2
	s_delay_alu instid0(VALU_DEP_1) | instskip(NEXT) | instid1(VALU_DEP_1)
	v_fmac_f32_e32 v1, v17, v24
	v_mul_f32_e32 v3, s9, v1
	s_delay_alu instid0(VALU_DEP_1) | instskip(NEXT) | instid1(VALU_DEP_1)
	v_fma_f32 v3, v2, s8, -v3
	v_cndmask_b32_e64 v2, v3, v2, s2
	v_fmac_f32_e32 v4, s8, v1
	s_delay_alu instid0(VALU_DEP_1) | instskip(NEXT) | instid1(VALU_DEP_1)
	v_cndmask_b32_e64 v3, v4, v1, s2
	v_dual_add_f32 v1, v19, v2 :: v_dual_add_f32 v2, v20, v3
	v_add_co_u32 v3, vcc_lo, v31, s12
	v_add_co_ci_u32_e32 v4, vcc_lo, s13, v32, vcc_lo
	global_store_b64 v[3:4], v[1:2], off
	s_branch .LBB30_3
.LBB30_28:
	s_mov_b32 s2, 0
.LBB30_29:
	s_delay_alu instid0(SALU_CYCLE_1)
	s_and_not1_b32 vcc_lo, exec_lo, s2
	s_cbranch_vccnz .LBB30_33
; %bb.30:
	s_waitcnt vmcnt(1)
	v_dual_mov_b32 v2, 0 :: v_dual_lshlrev_b32 v1, 2, v0
	s_mov_b32 s3, 0
	s_mov_b32 s2, exec_lo
	s_delay_alu instid0(VALU_DEP_1)
	v_cmpx_gt_i64_e64 s[10:11], v[1:2]
	s_cbranch_execz .LBB30_33
; %bb.31:
	s_load_b32 s0, s[0:1], 0xc64
	s_waitcnt lgkmcnt(0)
	s_and_b32 s1, s9, 0x7fffffff
	s_delay_alu instid0(SALU_CYCLE_1)
	s_cmp_eq_u32 s1, 0
	v_cmp_eq_f32_e64 s1, s8, 1.0
	s_cselect_b32 s2, -1, 0
	s_delay_alu instid0(VALU_DEP_1) | instid1(SALU_CYCLE_1)
	s_and_b32 vcc_lo, s1, s2
	s_and_b32 s0, s0, 0xffff
	s_delay_alu instid0(SALU_CYCLE_1)
	v_add_lshl_u32 v1, v0, s0, 2
	v_lshlrev_b32_e32 v0, 5, v0
	s_lshl_b32 s4, s0, 2
	s_lshl_b32 s5, s0, 5
.LBB30_32:                              ; =>This Inner Loop Header: Depth=1
	s_waitcnt vmcnt(0)
	s_delay_alu instid0(VALU_DEP_1) | instskip(NEXT) | instid1(VALU_DEP_1)
	v_add_co_u32 v11, s0, s20, v0
	v_add_co_ci_u32_e64 v12, null, s21, 0, s0
	v_add_co_u32 v15, s0, s22, v0
	s_delay_alu instid0(VALU_DEP_1)
	v_add_co_ci_u32_e64 v16, null, s23, 0, s0
	global_load_b128 v[3:6], v[11:12], off
	global_load_b128 v[7:10], v[15:16], off
	global_load_b128 v[11:14], v[11:12], off offset:16
	global_load_b128 v[15:18], v[15:16], off offset:16
	v_add_co_u32 v27, s0, s18, v0
	s_delay_alu instid0(VALU_DEP_1)
	v_add_co_ci_u32_e64 v28, null, s19, 0, s0
	s_clause 0x1
	global_load_b128 v[19:22], v[27:28], off
	global_load_b128 v[23:26], v[27:28], off offset:16
	v_cmp_le_i64_e64 s0, s[10:11], v[1:2]
	v_cmp_lt_u64_e64 s1, 0xffff, v[1:2]
	v_add_co_u32 v1, s2, v1, s4
	s_delay_alu instid0(VALU_DEP_1) | instskip(NEXT) | instid1(VALU_DEP_3)
	v_add_co_ci_u32_e64 v2, s2, 0, v2, s2
	s_or_b32 s0, s0, s1
	s_add_u32 s18, s18, s5
	s_addc_u32 s19, s19, 0
	s_add_u32 s22, s22, s5
	s_addc_u32 s23, s23, 0
	;; [unrolled: 2-line block ×3, first 2 shown]
	s_and_b32 s0, exec_lo, s0
	s_delay_alu instid0(SALU_CYCLE_1)
	s_or_b32 s3, s0, s3
	s_waitcnt vmcnt(4)
	v_dual_mul_f32 v29, v4, v8 :: v_dual_mul_f32 v30, v6, v10
	v_mul_f32_e32 v8, v3, v8
	s_waitcnt vmcnt(2)
	v_dual_mul_f32 v10, v5, v10 :: v_dual_mul_f32 v31, v12, v16
	s_delay_alu instid0(VALU_DEP_3) | instskip(NEXT) | instid1(VALU_DEP_3)
	v_fma_f32 v3, v3, v7, -v29
	v_fmac_f32_e32 v8, v4, v7
	s_delay_alu instid0(VALU_DEP_3)
	v_fmac_f32_e32 v10, v6, v9
	v_mul_f32_e32 v16, v11, v16
	v_mul_f32_e32 v32, v14, v18
	v_fma_f32 v4, v5, v9, -v30
	v_mul_f32_e32 v7, s9, v8
	v_fma_f32 v5, v11, v15, -v31
	v_mul_f32_e32 v9, s9, v3
	v_dual_mul_f32 v11, s9, v10 :: v_dual_fmac_f32 v16, v12, v15
	v_mul_f32_e32 v18, v13, v18
	v_fma_f32 v6, v13, v17, -v32
	v_fma_f32 v7, v3, s8, -v7
	s_delay_alu instid0(VALU_DEP_4) | instskip(NEXT) | instid1(VALU_DEP_4)
	v_fma_f32 v11, v4, s8, -v11
	v_dual_mul_f32 v13, s9, v16 :: v_dual_fmac_f32 v18, v14, v17
	s_delay_alu instid0(VALU_DEP_4) | instskip(NEXT) | instid1(VALU_DEP_4)
	v_mul_f32_e32 v17, s9, v6
	v_dual_cndmask_b32 v3, v7, v3 :: v_dual_mul_f32 v12, s9, v4
	s_delay_alu instid0(VALU_DEP_3) | instskip(NEXT) | instid1(VALU_DEP_4)
	v_fma_f32 v13, v5, s8, -v13
	v_mul_f32_e32 v15, s9, v18
	s_delay_alu instid0(VALU_DEP_4) | instskip(SKIP_4) | instid1(VALU_DEP_3)
	v_fmac_f32_e32 v17, s8, v18
	v_dual_fmac_f32 v9, s8, v8 :: v_dual_mul_f32 v14, s9, v5
	s_waitcnt vmcnt(1)
	v_add_f32_e32 v3, v19, v3
	v_fma_f32 v15, v6, s8, -v15
	v_cndmask_b32_e32 v7, v9, v8, vcc_lo
	v_fmac_f32_e32 v14, s8, v16
	v_fmac_f32_e32 v12, s8, v10
	v_cndmask_b32_e32 v8, v11, v4, vcc_lo
	s_delay_alu instid0(VALU_DEP_3) | instskip(NEXT) | instid1(VALU_DEP_3)
	v_cndmask_b32_e32 v11, v14, v16, vcc_lo
	v_dual_cndmask_b32 v9, v12, v10 :: v_dual_cndmask_b32 v10, v13, v5
	v_cndmask_b32_e32 v13, v17, v18, vcc_lo
	s_delay_alu instid0(VALU_DEP_4) | instskip(SKIP_1) | instid1(VALU_DEP_3)
	v_dual_cndmask_b32 v12, v15, v6 :: v_dual_add_f32 v5, v21, v8
	s_waitcnt vmcnt(0)
	v_dual_add_f32 v4, v20, v7 :: v_dual_add_f32 v7, v23, v10
	s_delay_alu instid0(VALU_DEP_2)
	v_dual_add_f32 v6, v22, v9 :: v_dual_add_f32 v9, v25, v12
	v_add_f32_e32 v8, v24, v11
	v_add_f32_e32 v10, v26, v13
	s_clause 0x1
	global_store_b128 v[27:28], v[3:6], off
	global_store_b128 v[27:28], v[7:10], off offset:16
	s_and_not1_b32 exec_lo, exec_lo, s3
	s_cbranch_execnz .LBB30_32
.LBB30_33:
	s_nop 0
	s_sendmsg sendmsg(MSG_DEALLOC_VGPRS)
	s_endpgm
	.section	.rodata,"a",@progbits
	.p2align	6, 0x0
	.amdhsa_kernel _ZN2at6native12_GLOBAL__N_125multi_tensor_apply_kernelINS1_18TensorListMetadataILi3EEENS1_24PointwiseOpScalarFunctorIN3c107complexIfEELi3ELi3ELi0EEEJSt10multipliesIS8_ES8_EEEvT_T0_DpT1_
		.amdhsa_group_segment_fixed_size 0
		.amdhsa_private_segment_fixed_size 0
		.amdhsa_kernarg_size 3416
		.amdhsa_user_sgpr_count 15
		.amdhsa_user_sgpr_dispatch_ptr 0
		.amdhsa_user_sgpr_queue_ptr 0
		.amdhsa_user_sgpr_kernarg_segment_ptr 1
		.amdhsa_user_sgpr_dispatch_id 0
		.amdhsa_user_sgpr_private_segment_size 0
		.amdhsa_wavefront_size32 1
		.amdhsa_uses_dynamic_stack 0
		.amdhsa_enable_private_segment 0
		.amdhsa_system_sgpr_workgroup_id_x 1
		.amdhsa_system_sgpr_workgroup_id_y 0
		.amdhsa_system_sgpr_workgroup_id_z 0
		.amdhsa_system_sgpr_workgroup_info 0
		.amdhsa_system_vgpr_workitem_id 0
		.amdhsa_next_free_vgpr 56
		.amdhsa_next_free_sgpr 27
		.amdhsa_reserve_vcc 1
		.amdhsa_float_round_mode_32 0
		.amdhsa_float_round_mode_16_64 0
		.amdhsa_float_denorm_mode_32 3
		.amdhsa_float_denorm_mode_16_64 3
		.amdhsa_dx10_clamp 1
		.amdhsa_ieee_mode 1
		.amdhsa_fp16_overflow 0
		.amdhsa_workgroup_processor_mode 1
		.amdhsa_memory_ordered 1
		.amdhsa_forward_progress 0
		.amdhsa_shared_vgpr_count 0
		.amdhsa_exception_fp_ieee_invalid_op 0
		.amdhsa_exception_fp_denorm_src 0
		.amdhsa_exception_fp_ieee_div_zero 0
		.amdhsa_exception_fp_ieee_overflow 0
		.amdhsa_exception_fp_ieee_underflow 0
		.amdhsa_exception_fp_ieee_inexact 0
		.amdhsa_exception_int_div_zero 0
	.end_amdhsa_kernel
	.section	.text._ZN2at6native12_GLOBAL__N_125multi_tensor_apply_kernelINS1_18TensorListMetadataILi3EEENS1_24PointwiseOpScalarFunctorIN3c107complexIfEELi3ELi3ELi0EEEJSt10multipliesIS8_ES8_EEEvT_T0_DpT1_,"axG",@progbits,_ZN2at6native12_GLOBAL__N_125multi_tensor_apply_kernelINS1_18TensorListMetadataILi3EEENS1_24PointwiseOpScalarFunctorIN3c107complexIfEELi3ELi3ELi0EEEJSt10multipliesIS8_ES8_EEEvT_T0_DpT1_,comdat
.Lfunc_end30:
	.size	_ZN2at6native12_GLOBAL__N_125multi_tensor_apply_kernelINS1_18TensorListMetadataILi3EEENS1_24PointwiseOpScalarFunctorIN3c107complexIfEELi3ELi3ELi0EEEJSt10multipliesIS8_ES8_EEEvT_T0_DpT1_, .Lfunc_end30-_ZN2at6native12_GLOBAL__N_125multi_tensor_apply_kernelINS1_18TensorListMetadataILi3EEENS1_24PointwiseOpScalarFunctorIN3c107complexIfEELi3ELi3ELi0EEEJSt10multipliesIS8_ES8_EEEvT_T0_DpT1_
                                        ; -- End function
	.section	.AMDGPU.csdata,"",@progbits
; Kernel info:
; codeLenInByte = 2620
; NumSgprs: 29
; NumVgprs: 56
; ScratchSize: 0
; MemoryBound: 0
; FloatMode: 240
; IeeeMode: 1
; LDSByteSize: 0 bytes/workgroup (compile time only)
; SGPRBlocks: 3
; VGPRBlocks: 6
; NumSGPRsForWavesPerEU: 29
; NumVGPRsForWavesPerEU: 56
; Occupancy: 16
; WaveLimiterHint : 0
; COMPUTE_PGM_RSRC2:SCRATCH_EN: 0
; COMPUTE_PGM_RSRC2:USER_SGPR: 15
; COMPUTE_PGM_RSRC2:TRAP_HANDLER: 0
; COMPUTE_PGM_RSRC2:TGID_X_EN: 1
; COMPUTE_PGM_RSRC2:TGID_Y_EN: 0
; COMPUTE_PGM_RSRC2:TGID_Z_EN: 0
; COMPUTE_PGM_RSRC2:TIDIG_COMP_CNT: 0
	.section	.text._ZN2at6native12_GLOBAL__N_125multi_tensor_apply_kernelINS1_18TensorListMetadataILi3EEENS1_24PointwiseOpScalarFunctorIN3c104HalfELi3ELi3ELi0EEEJSt10multipliesIfEfEEEvT_T0_DpT1_,"axG",@progbits,_ZN2at6native12_GLOBAL__N_125multi_tensor_apply_kernelINS1_18TensorListMetadataILi3EEENS1_24PointwiseOpScalarFunctorIN3c104HalfELi3ELi3ELi0EEEJSt10multipliesIfEfEEEvT_T0_DpT1_,comdat
	.globl	_ZN2at6native12_GLOBAL__N_125multi_tensor_apply_kernelINS1_18TensorListMetadataILi3EEENS1_24PointwiseOpScalarFunctorIN3c104HalfELi3ELi3ELi0EEEJSt10multipliesIfEfEEEvT_T0_DpT1_ ; -- Begin function _ZN2at6native12_GLOBAL__N_125multi_tensor_apply_kernelINS1_18TensorListMetadataILi3EEENS1_24PointwiseOpScalarFunctorIN3c104HalfELi3ELi3ELi0EEEJSt10multipliesIfEfEEEvT_T0_DpT1_
	.p2align	8
	.type	_ZN2at6native12_GLOBAL__N_125multi_tensor_apply_kernelINS1_18TensorListMetadataILi3EEENS1_24PointwiseOpScalarFunctorIN3c104HalfELi3ELi3ELi0EEEJSt10multipliesIfEfEEEvT_T0_DpT1_,@function
_ZN2at6native12_GLOBAL__N_125multi_tensor_apply_kernelINS1_18TensorListMetadataILi3EEENS1_24PointwiseOpScalarFunctorIN3c104HalfELi3ELi3ELi0EEEJSt10multipliesIfEfEEEvT_T0_DpT1_: ; @_ZN2at6native12_GLOBAL__N_125multi_tensor_apply_kernelINS1_18TensorListMetadataILi3EEENS1_24PointwiseOpScalarFunctorIN3c104HalfELi3ELi3ELi0EEEJSt10multipliesIfEfEEEvT_T0_DpT1_
; %bb.0:
	v_mov_b32_e32 v1, s15
	s_add_u32 s2, s0, s15
	s_mul_hi_u32 s3, s15, 3
	s_mul_i32 s15, s15, 3
	s_addc_u32 s4, s1, 0
	global_load_u8 v1, v1, s[0:1] offset:1536
	s_add_u32 s2, s2, s15
	s_addc_u32 s3, s4, s3
	s_mov_b32 s23, 0
	s_load_b32 s6, s[2:3], 0x740
	s_waitcnt vmcnt(0)
	v_readfirstlane_b32 s2, v1
	s_delay_alu instid0(VALU_DEP_1)
	s_lshl_b32 s7, s2, 3
	s_clause 0x3
	s_load_b64 s[2:3], s[0:1], s7 offset:0x0
	s_load_b64 s[4:5], s[0:1], s7 offset:0x180
	;; [unrolled: 1-line block ×4, first 2 shown]
	s_waitcnt lgkmcnt(0)
	s_ashr_i32 s7, s6, 31
	s_delay_alu instid0(SALU_CYCLE_1) | instskip(NEXT) | instid1(SALU_CYCLE_1)
	s_lshl_b64 s[8:9], s[6:7], 17
	s_add_u32 s14, s2, s8
	s_addc_u32 s15, s3, s9
	s_and_b32 s22, s14, 7
	s_add_u32 s16, s4, s8
	s_addc_u32 s17, s5, s9
	s_add_u32 s18, s12, s8
	s_addc_u32 s19, s13, s9
	s_or_b32 s20, s18, s16
	s_delay_alu instid0(SALU_CYCLE_1) | instskip(NEXT) | instid1(SALU_CYCLE_1)
	s_and_b32 s20, s20, 7
	s_cmp_eq_u32 s20, 0
	s_load_b32 s20, s[0:1], 0xc4c
	s_cselect_b32 s21, -1, 0
	s_lshl_b64 s[6:7], s[6:7], 16
	s_delay_alu instid0(SALU_CYCLE_1) | instskip(SKIP_3) | instid1(SALU_CYCLE_1)
	s_sub_u32 s6, s10, s6
	s_subb_u32 s7, s11, s7
	s_and_b32 s10, s10, 3
	s_mov_b32 s11, s23
	s_or_b64 s[10:11], s[22:23], s[10:11]
	s_delay_alu instid0(SALU_CYCLE_1) | instskip(SKIP_1) | instid1(SALU_CYCLE_1)
	s_cmp_eq_u64 s[10:11], 0
	s_cselect_b32 s10, -1, 0
	s_and_b32 s10, s21, s10
	s_delay_alu instid0(SALU_CYCLE_1)
	s_and_b32 vcc_lo, exec_lo, s10
	s_mov_b32 s10, -1
	s_cbranch_vccnz .LBB31_45
; %bb.1:
	v_cmp_lt_i64_e64 s10, s[6:7], 1
	s_delay_alu instid0(VALU_DEP_1)
	s_and_b32 vcc_lo, exec_lo, s10
	s_cbranch_vccnz .LBB31_44
; %bb.2:
	s_load_b32 s10, s[0:1], 0xc5c
	v_dual_mov_b32 v14, 0 :: v_dual_lshlrev_b32 v13, 1, v0
	v_cmp_gt_u64_e64 s11, 0x10000, s[6:7]
	s_waitcnt lgkmcnt(0)
	v_cmp_neq_f32_e64 s21, s20, 1.0
	s_delay_alu instid0(VALU_DEP_3) | instskip(NEXT) | instid1(VALU_DEP_1)
	v_add_co_u32 v1, s22, s2, v13
	v_add_co_ci_u32_e64 v2, null, s3, 0, s22
	v_add_co_u32 v3, s22, s4, v13
	s_delay_alu instid0(VALU_DEP_1) | instskip(SKIP_1) | instid1(VALU_DEP_1)
	v_add_co_ci_u32_e64 v4, null, s5, 0, s22
	v_add_co_u32 v5, s22, s12, v13
	v_add_co_ci_u32_e64 v6, null, s13, 0, s22
	s_and_b32 s23, s10, 0xffff
	s_and_b32 s10, s11, exec_lo
	v_mad_u64_u32 v[11:12], null, s23, 6, v[13:14]
	s_cselect_b32 s11, s7, 0
	s_cselect_b32 s10, s6, 0x10000
	s_mul_i32 s25, s23, 3
	s_lshl_b32 s22, s23, 2
	s_lshl_b32 s24, s23, 1
	v_add_co_u32 v20, s26, s22, v13
	v_add_co_u32 v13, s25, s25, v0
	v_add_co_u32 v7, vcc_lo, s2, v11
	v_add_co_ci_u32_e64 v14, null, 0, 0, s25
	v_add_co_u32 v19, s25, v0, s23
	v_add_co_ci_u32_e32 v8, vcc_lo, s3, v12, vcc_lo
	v_add_co_u32 v9, vcc_lo, s4, v11
	v_add_co_ci_u32_e32 v10, vcc_lo, s5, v12, vcc_lo
	v_add_co_u32 v11, vcc_lo, s12, v11
	v_add_co_ci_u32_e64 v21, null, 0, 0, s26
	v_lshlrev_b32_e32 v29, 1, v19
	v_add_co_ci_u32_e32 v12, vcc_lo, s13, v12, vcc_lo
	v_add_co_u32 v15, vcc_lo, s2, v20
	s_delay_alu instid0(VALU_DEP_4) | instskip(NEXT) | instid1(VALU_DEP_4)
	v_add_co_ci_u32_e32 v16, vcc_lo, s3, v21, vcc_lo
	v_add_co_u32 v25, s2, s2, v29
	v_add_co_u32 v17, vcc_lo, s4, v20
	v_add_co_ci_u32_e64 v26, null, s3, 0, s2
	v_add_co_u32 v27, s2, s4, v29
	v_add_co_ci_u32_e32 v18, vcc_lo, s5, v21, vcc_lo
	v_add_co_u32 v20, vcc_lo, s12, v20
	v_add_co_u32 v23, s24, s24, v0
	v_add_co_ci_u32_e64 v28, null, s5, 0, s2
	v_add_co_u32 v29, s2, s12, v29
	v_add_co_ci_u32_e32 v21, vcc_lo, s13, v21, vcc_lo
	v_add_co_ci_u32_e64 v22, null, 0, 0, s25
	v_add_co_ci_u32_e64 v24, null, 0, 0, s24
	;; [unrolled: 1-line block ×3, first 2 shown]
	s_lshl_b32 s23, s23, 3
	s_mov_b64 s[12:13], 0
	s_branch .LBB31_4
.LBB31_3:                               ;   in Loop: Header=BB31_4 Depth=1
	s_or_b32 exec_lo, exec_lo, s2
	v_add_co_u32 v1, vcc_lo, v1, s23
	v_add_co_ci_u32_e32 v2, vcc_lo, 0, v2, vcc_lo
	v_add_co_u32 v3, vcc_lo, v3, s23
	v_add_co_ci_u32_e32 v4, vcc_lo, 0, v4, vcc_lo
	;; [unrolled: 2-line block ×9, first 2 shown]
	s_add_u32 s12, s12, s22
	v_add_co_u32 v25, vcc_lo, v25, s23
	s_addc_u32 s13, s13, 0
	v_add_co_ci_u32_e32 v26, vcc_lo, 0, v26, vcc_lo
	v_cmp_ge_i64_e64 s2, s[12:13], s[6:7]
	v_cmp_lt_u64_e64 s3, 0xffff, s[12:13]
	v_add_co_u32 v27, vcc_lo, v27, s23
	v_add_co_ci_u32_e32 v28, vcc_lo, 0, v28, vcc_lo
	v_add_co_u32 v29, vcc_lo, v29, s23
	v_add_co_ci_u32_e32 v30, vcc_lo, 0, v30, vcc_lo
	s_or_b32 s2, s2, s3
	s_delay_alu instid0(SALU_CYCLE_1)
	s_and_b32 vcc_lo, exec_lo, s2
	s_cbranch_vccnz .LBB31_44
.LBB31_4:                               ; =>This Inner Loop Header: Depth=1
	v_add_co_u32 v31, s2, v0, s12
	s_delay_alu instid0(VALU_DEP_1) | instskip(SKIP_1) | instid1(VALU_DEP_2)
	v_add_co_ci_u32_e64 v32, null, 0, s13, s2
	v_dual_mov_b32 v33, 0 :: v_dual_mov_b32 v34, 0
	v_cmp_gt_u64_e64 s2, s[10:11], v[31:32]
	s_delay_alu instid0(VALU_DEP_1)
	s_and_saveexec_b32 s3, s2
	s_cbranch_execz .LBB31_6
; %bb.5:                                ;   in Loop: Header=BB31_4 Depth=1
	v_add_co_u32 v31, vcc_lo, v1, s8
	v_add_co_ci_u32_e32 v32, vcc_lo, s9, v2, vcc_lo
	v_add_co_u32 v34, vcc_lo, v3, s8
	v_add_co_ci_u32_e32 v35, vcc_lo, s9, v4, vcc_lo
	global_load_u16 v33, v[31:32], off
	global_load_u16 v34, v[34:35], off
.LBB31_6:                               ;   in Loop: Header=BB31_4 Depth=1
	s_or_b32 exec_lo, exec_lo, s3
	v_mov_b32_e32 v31, 0
	v_mov_b32_e32 v37, 0
	s_and_saveexec_b32 s3, s2
	s_cbranch_execz .LBB31_8
; %bb.7:                                ;   in Loop: Header=BB31_4 Depth=1
	v_add_co_u32 v35, vcc_lo, v5, s8
	v_add_co_ci_u32_e32 v36, vcc_lo, s9, v6, vcc_lo
	global_load_u16 v37, v[35:36], off
.LBB31_8:                               ;   in Loop: Header=BB31_4 Depth=1
	s_or_b32 exec_lo, exec_lo, s3
	v_add_co_u32 v35, vcc_lo, v19, s12
	v_add_co_ci_u32_e32 v36, vcc_lo, s13, v22, vcc_lo
	s_delay_alu instid0(VALU_DEP_1) | instskip(SKIP_1) | instid1(VALU_DEP_2)
	v_cmp_gt_u64_e64 s3, s[10:11], v[35:36]
	v_mov_b32_e32 v36, 0
	s_and_saveexec_b32 s4, s3
	s_cbranch_execz .LBB31_10
; %bb.9:                                ;   in Loop: Header=BB31_4 Depth=1
	v_add_co_u32 v31, vcc_lo, v25, s8
	v_add_co_ci_u32_e32 v32, vcc_lo, s9, v26, vcc_lo
	v_add_co_u32 v35, vcc_lo, v27, s8
	v_add_co_ci_u32_e32 v36, vcc_lo, s9, v28, vcc_lo
	global_load_u16 v31, v[31:32], off
	global_load_u16 v36, v[35:36], off
.LBB31_10:                              ;   in Loop: Header=BB31_4 Depth=1
	s_or_b32 exec_lo, exec_lo, s4
	v_dual_mov_b32 v32, 0 :: v_dual_mov_b32 v39, 0
	s_and_saveexec_b32 s4, s3
	s_cbranch_execz .LBB31_12
; %bb.11:                               ;   in Loop: Header=BB31_4 Depth=1
	v_add_co_u32 v38, vcc_lo, v29, s8
	v_add_co_ci_u32_e32 v39, vcc_lo, s9, v30, vcc_lo
	global_load_u16 v39, v[38:39], off
.LBB31_12:                              ;   in Loop: Header=BB31_4 Depth=1
	s_or_b32 exec_lo, exec_lo, s4
	v_add_co_u32 v40, vcc_lo, v23, s12
	v_add_co_ci_u32_e32 v41, vcc_lo, s13, v24, vcc_lo
	v_mov_b32_e32 v38, 0
	s_delay_alu instid0(VALU_DEP_2) | instskip(NEXT) | instid1(VALU_DEP_1)
	v_cmp_gt_u64_e64 s4, s[10:11], v[40:41]
	s_and_saveexec_b32 s5, s4
	s_cbranch_execz .LBB31_14
; %bb.13:                               ;   in Loop: Header=BB31_4 Depth=1
	v_add_co_u32 v40, vcc_lo, v15, s8
	v_add_co_ci_u32_e32 v41, vcc_lo, s9, v16, vcc_lo
	v_add_co_u32 v42, vcc_lo, v17, s8
	v_add_co_ci_u32_e32 v43, vcc_lo, s9, v18, vcc_lo
	global_load_u16 v32, v[40:41], off
	global_load_u16 v38, v[42:43], off
.LBB31_14:                              ;   in Loop: Header=BB31_4 Depth=1
	s_or_b32 exec_lo, exec_lo, s5
	v_mov_b32_e32 v35, 0
	v_mov_b32_e32 v41, 0
	s_and_saveexec_b32 s5, s4
	s_cbranch_execz .LBB31_16
; %bb.15:                               ;   in Loop: Header=BB31_4 Depth=1
	v_add_co_u32 v40, vcc_lo, v20, s8
	v_add_co_ci_u32_e32 v41, vcc_lo, s9, v21, vcc_lo
	global_load_u16 v41, v[40:41], off
.LBB31_16:                              ;   in Loop: Header=BB31_4 Depth=1
	s_or_b32 exec_lo, exec_lo, s5
	v_add_co_u32 v42, vcc_lo, v13, s12
	v_add_co_ci_u32_e32 v43, vcc_lo, s13, v14, vcc_lo
	v_mov_b32_e32 v40, 0
	s_delay_alu instid0(VALU_DEP_2) | instskip(NEXT) | instid1(VALU_DEP_1)
	v_cmp_gt_u64_e64 s5, s[10:11], v[42:43]
	s_and_saveexec_b32 s24, s5
	s_cbranch_execz .LBB31_18
; %bb.17:                               ;   in Loop: Header=BB31_4 Depth=1
	v_add_co_u32 v42, vcc_lo, v7, s8
	v_add_co_ci_u32_e32 v43, vcc_lo, s9, v8, vcc_lo
	v_add_co_u32 v44, vcc_lo, v9, s8
	v_add_co_ci_u32_e32 v45, vcc_lo, s9, v10, vcc_lo
	global_load_u16 v35, v[42:43], off
	global_load_u16 v40, v[44:45], off
.LBB31_18:                              ;   in Loop: Header=BB31_4 Depth=1
	s_or_b32 exec_lo, exec_lo, s24
	v_mov_b32_e32 v42, 0
	s_and_saveexec_b32 s24, s5
	s_cbranch_execz .LBB31_20
; %bb.19:                               ;   in Loop: Header=BB31_4 Depth=1
	v_add_co_u32 v42, vcc_lo, v11, s8
	v_add_co_ci_u32_e32 v43, vcc_lo, s9, v12, vcc_lo
	global_load_u16 v42, v[42:43], off
.LBB31_20:                              ;   in Loop: Header=BB31_4 Depth=1
	s_or_b32 exec_lo, exec_lo, s24
	s_waitcnt vmcnt(1)
	v_cvt_f32_f16_e32 v43, v33
	s_waitcnt vmcnt(0)
	v_cvt_f32_f16_e32 v34, v34
	v_cvt_f32_f16_e32 v37, v37
	s_and_b32 vcc_lo, exec_lo, s21
	s_cbranch_vccz .LBB31_40
; %bb.21:                               ;   in Loop: Header=BB31_4 Depth=1
	s_delay_alu instid0(VALU_DEP_1) | instskip(NEXT) | instid1(VALU_DEP_1)
	v_mul_f32_e32 v33, v34, v37
	v_fma_f32 v33, s20, v33, v43
	s_cbranch_execnz .LBB31_23
.LBB31_22:                              ;   in Loop: Header=BB31_4 Depth=1
	s_delay_alu instid0(VALU_DEP_1) | instskip(NEXT) | instid1(VALU_DEP_1)
	v_fmac_f32_e32 v43, v34, v37
	v_mov_b32_e32 v33, v43
.LBB31_23:                              ;   in Loop: Header=BB31_4 Depth=1
	v_cvt_f32_f16_e32 v34, v31
	v_cvt_f32_f16_e32 v36, v36
	v_cvt_f32_f16_e32 v37, v39
	s_and_not1_b32 vcc_lo, exec_lo, s21
	s_cbranch_vccnz .LBB31_41
; %bb.24:                               ;   in Loop: Header=BB31_4 Depth=1
	s_delay_alu instid0(VALU_DEP_1) | instskip(NEXT) | instid1(VALU_DEP_1)
	v_mul_f32_e32 v31, v36, v37
	v_fma_f32 v31, s20, v31, v34
	s_cbranch_execnz .LBB31_26
.LBB31_25:                              ;   in Loop: Header=BB31_4 Depth=1
	s_delay_alu instid0(VALU_DEP_1) | instskip(NEXT) | instid1(VALU_DEP_1)
	v_fmac_f32_e32 v34, v36, v37
	v_mov_b32_e32 v31, v34
.LBB31_26:                              ;   in Loop: Header=BB31_4 Depth=1
	v_cvt_f32_f16_e32 v34, v32
	v_cvt_f32_f16_e32 v36, v38
	;; [unrolled: 1-line block ×3, first 2 shown]
	s_and_not1_b32 vcc_lo, exec_lo, s21
	s_cbranch_vccnz .LBB31_42
; %bb.27:                               ;   in Loop: Header=BB31_4 Depth=1
	s_delay_alu instid0(VALU_DEP_1) | instskip(NEXT) | instid1(VALU_DEP_1)
	v_mul_f32_e32 v32, v36, v37
	v_fma_f32 v32, s20, v32, v34
	s_cbranch_execnz .LBB31_29
.LBB31_28:                              ;   in Loop: Header=BB31_4 Depth=1
	s_delay_alu instid0(VALU_DEP_1) | instskip(NEXT) | instid1(VALU_DEP_1)
	v_fmac_f32_e32 v34, v36, v37
	v_mov_b32_e32 v32, v34
.LBB31_29:                              ;   in Loop: Header=BB31_4 Depth=1
	v_cvt_f32_f16_e32 v35, v35
	v_cvt_f32_f16_e32 v36, v40
	;; [unrolled: 1-line block ×3, first 2 shown]
	s_and_not1_b32 vcc_lo, exec_lo, s21
	s_cbranch_vccnz .LBB31_43
; %bb.30:                               ;   in Loop: Header=BB31_4 Depth=1
	s_delay_alu instid0(VALU_DEP_1) | instskip(NEXT) | instid1(VALU_DEP_1)
	v_mul_f32_e32 v34, v36, v37
	v_fma_f32 v34, s20, v34, v35
	s_cbranch_execnz .LBB31_32
.LBB31_31:                              ;   in Loop: Header=BB31_4 Depth=1
	s_delay_alu instid0(VALU_DEP_1) | instskip(NEXT) | instid1(VALU_DEP_1)
	v_fmac_f32_e32 v35, v36, v37
	v_mov_b32_e32 v34, v35
.LBB31_32:                              ;   in Loop: Header=BB31_4 Depth=1
	s_and_saveexec_b32 s24, s2
	s_delay_alu instid0(SALU_CYCLE_1)
	s_xor_b32 s2, exec_lo, s24
	s_cbranch_execnz .LBB31_36
; %bb.33:                               ;   in Loop: Header=BB31_4 Depth=1
	s_or_b32 exec_lo, exec_lo, s2
	s_and_saveexec_b32 s2, s3
	s_cbranch_execnz .LBB31_37
.LBB31_34:                              ;   in Loop: Header=BB31_4 Depth=1
	s_or_b32 exec_lo, exec_lo, s2
	s_and_saveexec_b32 s2, s4
	s_cbranch_execnz .LBB31_38
.LBB31_35:                              ;   in Loop: Header=BB31_4 Depth=1
	s_or_b32 exec_lo, exec_lo, s2
	s_and_saveexec_b32 s2, s5
	s_cbranch_execz .LBB31_3
	s_branch .LBB31_39
.LBB31_36:                              ;   in Loop: Header=BB31_4 Depth=1
	v_add_co_u32 v35, vcc_lo, v1, s8
	v_cvt_f16_f32_e32 v33, v33
	v_add_co_ci_u32_e32 v36, vcc_lo, s9, v2, vcc_lo
	global_store_b16 v[35:36], v33, off
	s_or_b32 exec_lo, exec_lo, s2
	s_and_saveexec_b32 s2, s3
	s_cbranch_execz .LBB31_34
.LBB31_37:                              ;   in Loop: Header=BB31_4 Depth=1
	v_add_co_u32 v35, vcc_lo, v25, s8
	v_cvt_f16_f32_e32 v31, v31
	v_add_co_ci_u32_e32 v36, vcc_lo, s9, v26, vcc_lo
	global_store_b16 v[35:36], v31, off
	s_or_b32 exec_lo, exec_lo, s2
	s_and_saveexec_b32 s2, s4
	s_cbranch_execz .LBB31_35
.LBB31_38:                              ;   in Loop: Header=BB31_4 Depth=1
	v_add_co_u32 v31, vcc_lo, v15, s8
	v_cvt_f16_f32_e32 v33, v32
	v_add_co_ci_u32_e32 v32, vcc_lo, s9, v16, vcc_lo
	global_store_b16 v[31:32], v33, off
	s_or_b32 exec_lo, exec_lo, s2
	s_and_saveexec_b32 s2, s5
	s_cbranch_execz .LBB31_3
.LBB31_39:                              ;   in Loop: Header=BB31_4 Depth=1
	v_add_co_u32 v31, vcc_lo, v7, s8
	v_cvt_f16_f32_e32 v33, v34
	v_add_co_ci_u32_e32 v32, vcc_lo, s9, v8, vcc_lo
	global_store_b16 v[31:32], v33, off
	s_branch .LBB31_3
.LBB31_40:                              ;   in Loop: Header=BB31_4 Depth=1
                                        ; implicit-def: $vgpr33
	s_branch .LBB31_22
.LBB31_41:                              ;   in Loop: Header=BB31_4 Depth=1
                                        ; implicit-def: $vgpr31
	s_branch .LBB31_25
.LBB31_42:                              ;   in Loop: Header=BB31_4 Depth=1
                                        ; implicit-def: $vgpr32
	s_branch .LBB31_28
.LBB31_43:                              ;   in Loop: Header=BB31_4 Depth=1
                                        ; implicit-def: $vgpr34
	s_branch .LBB31_31
.LBB31_44:
	s_mov_b32 s10, 0
.LBB31_45:
	s_delay_alu instid0(SALU_CYCLE_1)
	s_and_not1_b32 vcc_lo, exec_lo, s10
	s_cbranch_vccnz .LBB31_65
; %bb.46:
	v_dual_mov_b32 v2, 0 :: v_dual_lshlrev_b32 v1, 2, v0
	s_mov_b32 s2, 0
	s_mov_b32 s3, exec_lo
	s_delay_alu instid0(VALU_DEP_1)
	v_cmpx_gt_i64_e64 s[6:7], v[1:2]
	s_cbranch_execz .LBB31_65
; %bb.47:
	s_load_b32 s0, s[0:1], 0xc5c
	v_lshlrev_b32_e32 v11, 3, v0
	s_waitcnt lgkmcnt(0)
	v_cmp_neq_f32_e64 s1, s20, 1.0
	s_and_b32 s0, s0, 0xffff
	s_delay_alu instid0(SALU_CYCLE_1)
	v_add_lshl_u32 v1, v0, s0, 2
	s_lshl_b32 s3, s0, 3
	s_lshl_b32 s4, s0, 2
	s_branch .LBB31_49
.LBB31_48:                              ;   in Loop: Header=BB31_49 Depth=1
	v_cmp_le_i64_e32 vcc_lo, s[6:7], v[1:2]
	v_cmp_lt_u64_e64 s0, 0xffff, v[1:2]
	v_cvt_f16_f32_e32 v6, v7
	v_cvt_f16_f32_e32 v5, v5
	;; [unrolled: 1-line block ×4, first 2 shown]
	s_or_b32 s0, vcc_lo, s0
	s_add_u32 s14, s14, s3
	s_addc_u32 s15, s15, 0
	s_add_u32 s16, s16, s3
	s_addc_u32 s17, s17, 0
	v_add_co_u32 v1, vcc_lo, v1, s4
	s_add_u32 s18, s18, s3
	v_pack_b32_f16 v6, v6, v7
	v_pack_b32_f16 v5, v0, v5
	s_addc_u32 s19, s19, 0
	v_add_co_ci_u32_e32 v2, vcc_lo, 0, v2, vcc_lo
	s_and_b32 s0, exec_lo, s0
	global_store_b64 v[3:4], v[5:6], off
	s_or_b32 s2, s0, s2
	s_delay_alu instid0(SALU_CYCLE_1)
	s_and_not1_b32 exec_lo, exec_lo, s2
	s_cbranch_execz .LBB31_65
.LBB31_49:                              ; =>This Inner Loop Header: Depth=1
	v_add_co_u32 v3, s0, s14, v11
	s_delay_alu instid0(VALU_DEP_1) | instskip(SKIP_1) | instid1(VALU_DEP_1)
	v_add_co_ci_u32_e64 v4, null, s15, 0, s0
	v_add_co_u32 v7, s0, s16, v11
	v_add_co_ci_u32_e64 v8, null, s17, 0, s0
	v_add_co_u32 v9, s0, s18, v11
	s_delay_alu instid0(VALU_DEP_1)
	v_add_co_ci_u32_e64 v10, null, s19, 0, s0
	global_load_b64 v[5:6], v[3:4], off
	global_load_b64 v[7:8], v[7:8], off
	;; [unrolled: 1-line block ×3, first 2 shown]
	s_and_b32 vcc_lo, exec_lo, s1
	s_waitcnt vmcnt(2)
	v_cvt_f32_f16_e32 v12, v5
	s_waitcnt vmcnt(1)
	v_cvt_f32_f16_e32 v13, v7
	;; [unrolled: 2-line block ×3, first 2 shown]
	s_cbranch_vccz .LBB31_60
; %bb.50:                               ;   in Loop: Header=BB31_49 Depth=1
	s_delay_alu instid0(VALU_DEP_1) | instskip(NEXT) | instid1(VALU_DEP_1)
	v_mul_f32_e32 v0, v13, v14
	v_fma_f32 v0, s20, v0, v12
	s_cbranch_execnz .LBB31_52
.LBB31_51:                              ;   in Loop: Header=BB31_49 Depth=1
	s_delay_alu instid0(VALU_DEP_1) | instskip(NEXT) | instid1(VALU_DEP_1)
	v_fmac_f32_e32 v12, v13, v14
	v_mov_b32_e32 v0, v12
.LBB31_52:                              ;   in Loop: Header=BB31_49 Depth=1
	v_lshrrev_b32_e32 v5, 16, v5
	v_lshrrev_b32_e32 v12, 16, v7
	;; [unrolled: 1-line block ×3, first 2 shown]
	s_and_not1_b32 vcc_lo, exec_lo, s1
	s_delay_alu instid0(VALU_DEP_3) | instskip(NEXT) | instid1(VALU_DEP_3)
	v_cvt_f32_f16_e32 v7, v5
	v_cvt_f32_f16_e32 v9, v12
	s_delay_alu instid0(VALU_DEP_3)
	v_cvt_f32_f16_e32 v12, v13
	s_cbranch_vccnz .LBB31_61
; %bb.53:                               ;   in Loop: Header=BB31_49 Depth=1
	s_delay_alu instid0(VALU_DEP_1) | instskip(NEXT) | instid1(VALU_DEP_1)
	v_mul_f32_e32 v5, v9, v12
	v_fma_f32 v5, s20, v5, v7
	s_cbranch_execnz .LBB31_55
.LBB31_54:                              ;   in Loop: Header=BB31_49 Depth=1
	s_delay_alu instid0(VALU_DEP_1) | instskip(NEXT) | instid1(VALU_DEP_1)
	v_fmac_f32_e32 v7, v9, v12
	v_mov_b32_e32 v5, v7
.LBB31_55:                              ;   in Loop: Header=BB31_49 Depth=1
	v_cvt_f32_f16_e32 v9, v6
	v_cvt_f32_f16_e32 v12, v8
	v_cvt_f32_f16_e32 v13, v10
	s_and_not1_b32 vcc_lo, exec_lo, s1
	s_cbranch_vccnz .LBB31_62
; %bb.56:                               ;   in Loop: Header=BB31_49 Depth=1
	s_delay_alu instid0(VALU_DEP_1) | instskip(NEXT) | instid1(VALU_DEP_1)
	v_mul_f32_e32 v7, v12, v13
	v_fma_f32 v7, s20, v7, v9
	s_cbranch_execnz .LBB31_58
.LBB31_57:                              ;   in Loop: Header=BB31_49 Depth=1
	s_delay_alu instid0(VALU_DEP_1) | instskip(NEXT) | instid1(VALU_DEP_1)
	v_fmac_f32_e32 v9, v12, v13
	v_mov_b32_e32 v7, v9
.LBB31_58:                              ;   in Loop: Header=BB31_49 Depth=1
	v_lshrrev_b32_e32 v6, 16, v6
	v_lshrrev_b32_e32 v8, 16, v8
	;; [unrolled: 1-line block ×3, first 2 shown]
	s_and_not1_b32 vcc_lo, exec_lo, s1
	s_delay_alu instid0(VALU_DEP_3) | instskip(NEXT) | instid1(VALU_DEP_3)
	v_cvt_f32_f16_e32 v6, v6
	v_cvt_f32_f16_e32 v8, v8
	s_delay_alu instid0(VALU_DEP_3)
	v_cvt_f32_f16_e32 v9, v9
	s_cbranch_vccnz .LBB31_63
; %bb.59:                               ;   in Loop: Header=BB31_49 Depth=1
	s_delay_alu instid0(VALU_DEP_1) | instskip(NEXT) | instid1(VALU_DEP_1)
	v_mul_f32_e32 v10, v8, v9
	v_fma_f32 v10, s20, v10, v6
	s_cbranch_execnz .LBB31_48
	s_branch .LBB31_64
.LBB31_60:                              ;   in Loop: Header=BB31_49 Depth=1
                                        ; implicit-def: $vgpr0
	s_branch .LBB31_51
.LBB31_61:                              ;   in Loop: Header=BB31_49 Depth=1
                                        ; implicit-def: $vgpr5
	s_branch .LBB31_54
.LBB31_62:                              ;   in Loop: Header=BB31_49 Depth=1
                                        ; implicit-def: $vgpr7
	s_branch .LBB31_57
.LBB31_63:                              ;   in Loop: Header=BB31_49 Depth=1
                                        ; implicit-def: $vgpr10
.LBB31_64:                              ;   in Loop: Header=BB31_49 Depth=1
	s_delay_alu instid0(VALU_DEP_1) | instskip(NEXT) | instid1(VALU_DEP_1)
	v_fmac_f32_e32 v6, v8, v9
	v_mov_b32_e32 v10, v6
	s_branch .LBB31_48
.LBB31_65:
	s_nop 0
	s_sendmsg sendmsg(MSG_DEALLOC_VGPRS)
	s_endpgm
	.section	.rodata,"a",@progbits
	.p2align	6, 0x0
	.amdhsa_kernel _ZN2at6native12_GLOBAL__N_125multi_tensor_apply_kernelINS1_18TensorListMetadataILi3EEENS1_24PointwiseOpScalarFunctorIN3c104HalfELi3ELi3ELi0EEEJSt10multipliesIfEfEEEvT_T0_DpT1_
		.amdhsa_group_segment_fixed_size 0
		.amdhsa_private_segment_fixed_size 0
		.amdhsa_kernarg_size 3408
		.amdhsa_user_sgpr_count 15
		.amdhsa_user_sgpr_dispatch_ptr 0
		.amdhsa_user_sgpr_queue_ptr 0
		.amdhsa_user_sgpr_kernarg_segment_ptr 1
		.amdhsa_user_sgpr_dispatch_id 0
		.amdhsa_user_sgpr_private_segment_size 0
		.amdhsa_wavefront_size32 1
		.amdhsa_uses_dynamic_stack 0
		.amdhsa_enable_private_segment 0
		.amdhsa_system_sgpr_workgroup_id_x 1
		.amdhsa_system_sgpr_workgroup_id_y 0
		.amdhsa_system_sgpr_workgroup_id_z 0
		.amdhsa_system_sgpr_workgroup_info 0
		.amdhsa_system_vgpr_workitem_id 0
		.amdhsa_next_free_vgpr 46
		.amdhsa_next_free_sgpr 27
		.amdhsa_reserve_vcc 1
		.amdhsa_float_round_mode_32 0
		.amdhsa_float_round_mode_16_64 0
		.amdhsa_float_denorm_mode_32 3
		.amdhsa_float_denorm_mode_16_64 3
		.amdhsa_dx10_clamp 1
		.amdhsa_ieee_mode 1
		.amdhsa_fp16_overflow 0
		.amdhsa_workgroup_processor_mode 1
		.amdhsa_memory_ordered 1
		.amdhsa_forward_progress 0
		.amdhsa_shared_vgpr_count 0
		.amdhsa_exception_fp_ieee_invalid_op 0
		.amdhsa_exception_fp_denorm_src 0
		.amdhsa_exception_fp_ieee_div_zero 0
		.amdhsa_exception_fp_ieee_overflow 0
		.amdhsa_exception_fp_ieee_underflow 0
		.amdhsa_exception_fp_ieee_inexact 0
		.amdhsa_exception_int_div_zero 0
	.end_amdhsa_kernel
	.section	.text._ZN2at6native12_GLOBAL__N_125multi_tensor_apply_kernelINS1_18TensorListMetadataILi3EEENS1_24PointwiseOpScalarFunctorIN3c104HalfELi3ELi3ELi0EEEJSt10multipliesIfEfEEEvT_T0_DpT1_,"axG",@progbits,_ZN2at6native12_GLOBAL__N_125multi_tensor_apply_kernelINS1_18TensorListMetadataILi3EEENS1_24PointwiseOpScalarFunctorIN3c104HalfELi3ELi3ELi0EEEJSt10multipliesIfEfEEEvT_T0_DpT1_,comdat
.Lfunc_end31:
	.size	_ZN2at6native12_GLOBAL__N_125multi_tensor_apply_kernelINS1_18TensorListMetadataILi3EEENS1_24PointwiseOpScalarFunctorIN3c104HalfELi3ELi3ELi0EEEJSt10multipliesIfEfEEEvT_T0_DpT1_, .Lfunc_end31-_ZN2at6native12_GLOBAL__N_125multi_tensor_apply_kernelINS1_18TensorListMetadataILi3EEENS1_24PointwiseOpScalarFunctorIN3c104HalfELi3ELi3ELi0EEEJSt10multipliesIfEfEEEvT_T0_DpT1_
                                        ; -- End function
	.section	.AMDGPU.csdata,"",@progbits
; Kernel info:
; codeLenInByte = 2292
; NumSgprs: 29
; NumVgprs: 46
; ScratchSize: 0
; MemoryBound: 0
; FloatMode: 240
; IeeeMode: 1
; LDSByteSize: 0 bytes/workgroup (compile time only)
; SGPRBlocks: 3
; VGPRBlocks: 5
; NumSGPRsForWavesPerEU: 29
; NumVGPRsForWavesPerEU: 46
; Occupancy: 16
; WaveLimiterHint : 0
; COMPUTE_PGM_RSRC2:SCRATCH_EN: 0
; COMPUTE_PGM_RSRC2:USER_SGPR: 15
; COMPUTE_PGM_RSRC2:TRAP_HANDLER: 0
; COMPUTE_PGM_RSRC2:TGID_X_EN: 1
; COMPUTE_PGM_RSRC2:TGID_Y_EN: 0
; COMPUTE_PGM_RSRC2:TGID_Z_EN: 0
; COMPUTE_PGM_RSRC2:TIDIG_COMP_CNT: 0
	.section	.text._ZN2at6native12_GLOBAL__N_125multi_tensor_apply_kernelINS1_18TensorListMetadataILi3EEENS1_24PointwiseOpScalarFunctorIN3c108BFloat16ELi3ELi3ELi0EEEJSt10multipliesIfEfEEEvT_T0_DpT1_,"axG",@progbits,_ZN2at6native12_GLOBAL__N_125multi_tensor_apply_kernelINS1_18TensorListMetadataILi3EEENS1_24PointwiseOpScalarFunctorIN3c108BFloat16ELi3ELi3ELi0EEEJSt10multipliesIfEfEEEvT_T0_DpT1_,comdat
	.globl	_ZN2at6native12_GLOBAL__N_125multi_tensor_apply_kernelINS1_18TensorListMetadataILi3EEENS1_24PointwiseOpScalarFunctorIN3c108BFloat16ELi3ELi3ELi0EEEJSt10multipliesIfEfEEEvT_T0_DpT1_ ; -- Begin function _ZN2at6native12_GLOBAL__N_125multi_tensor_apply_kernelINS1_18TensorListMetadataILi3EEENS1_24PointwiseOpScalarFunctorIN3c108BFloat16ELi3ELi3ELi0EEEJSt10multipliesIfEfEEEvT_T0_DpT1_
	.p2align	8
	.type	_ZN2at6native12_GLOBAL__N_125multi_tensor_apply_kernelINS1_18TensorListMetadataILi3EEENS1_24PointwiseOpScalarFunctorIN3c108BFloat16ELi3ELi3ELi0EEEJSt10multipliesIfEfEEEvT_T0_DpT1_,@function
_ZN2at6native12_GLOBAL__N_125multi_tensor_apply_kernelINS1_18TensorListMetadataILi3EEENS1_24PointwiseOpScalarFunctorIN3c108BFloat16ELi3ELi3ELi0EEEJSt10multipliesIfEfEEEvT_T0_DpT1_: ; @_ZN2at6native12_GLOBAL__N_125multi_tensor_apply_kernelINS1_18TensorListMetadataILi3EEENS1_24PointwiseOpScalarFunctorIN3c108BFloat16ELi3ELi3ELi0EEEJSt10multipliesIfEfEEEvT_T0_DpT1_
; %bb.0:
	v_mov_b32_e32 v1, s15
	s_add_u32 s2, s0, s15
	s_mul_hi_u32 s3, s15, 3
	s_mul_i32 s15, s15, 3
	s_addc_u32 s4, s1, 0
	global_load_u8 v1, v1, s[0:1] offset:1536
	s_load_b32 s20, s[0:1], 0xc4c
	s_add_u32 s2, s2, s15
	s_addc_u32 s3, s4, s3
	s_mov_b32 s17, 0
	s_load_b32 s2, s[2:3], 0x740
	s_waitcnt vmcnt(0)
	v_readfirstlane_b32 s3, v1
	s_delay_alu instid0(VALU_DEP_1)
	s_lshl_b32 s3, s3, 3
	s_clause 0x3
	s_load_b64 s[6:7], s[0:1], s3 offset:0x180
	s_load_b64 s[8:9], s[0:1], s3 offset:0x300
	;; [unrolled: 1-line block ×4, first 2 shown]
	s_waitcnt lgkmcnt(0)
	s_ashr_i32 s3, s2, 31
	s_delay_alu instid0(SALU_CYCLE_1) | instskip(NEXT) | instid1(SALU_CYCLE_1)
	s_lshl_b64 s[14:15], s[2:3], 17
	s_add_u32 s12, s6, s14
	s_delay_alu instid0(SALU_CYCLE_1) | instskip(SKIP_2) | instid1(SALU_CYCLE_1)
	s_or_b32 s12, s8, s12
	s_and_b32 s16, s10, 7
	s_and_b32 s12, s12, 7
	s_cmp_eq_u32 s12, 0
	s_cselect_b32 s18, -1, 0
	s_lshl_b64 s[2:3], s[2:3], 16
	s_delay_alu instid0(SALU_CYCLE_1) | instskip(SKIP_3) | instid1(SALU_CYCLE_1)
	s_sub_u32 s12, s4, s2
	s_subb_u32 s13, s5, s3
	s_and_b32 s2, s4, 3
	s_mov_b32 s3, s17
	s_or_b64 s[2:3], s[16:17], s[2:3]
	s_delay_alu instid0(SALU_CYCLE_1) | instskip(SKIP_1) | instid1(SALU_CYCLE_1)
	s_cmp_eq_u64 s[2:3], 0
	s_cselect_b32 s2, -1, 0
	s_and_b32 s2, s18, s2
	s_delay_alu instid0(SALU_CYCLE_1)
	s_and_b32 vcc_lo, exec_lo, s2
	s_mov_b32 s2, -1
	s_cbranch_vccnz .LBB32_45
; %bb.1:
	v_cmp_lt_i64_e64 s2, s[12:13], 1
	s_delay_alu instid0(VALU_DEP_1)
	s_and_b32 vcc_lo, exec_lo, s2
	s_cbranch_vccnz .LBB32_44
; %bb.2:
	s_load_b32 s2, s[0:1], 0xc5c
	v_dual_mov_b32 v14, 0 :: v_dual_lshlrev_b32 v13, 1, v0
	v_cmp_gt_u64_e64 s3, 0x10000, s[12:13]
	v_cmp_neq_f32_e64 s21, s20, 1.0
	s_mov_b64 s[18:19], 0
	s_delay_alu instid0(VALU_DEP_3) | instskip(NEXT) | instid1(VALU_DEP_1)
	v_add_co_u32 v1, s4, s10, v13
	v_add_co_ci_u32_e64 v2, null, s11, 0, s4
	v_add_co_u32 v3, s4, s6, v13
	s_delay_alu instid0(VALU_DEP_1) | instskip(SKIP_1) | instid1(VALU_DEP_1)
	v_add_co_ci_u32_e64 v4, null, s7, 0, s4
	v_add_co_u32 v5, s4, s8, v13
	v_add_co_ci_u32_e64 v6, null, s9, 0, s4
	s_waitcnt lgkmcnt(0)
	s_and_b32 s2, s2, 0xffff
	s_and_b32 s3, s3, exec_lo
	v_mad_u64_u32 v[11:12], null, s2, 6, v[13:14]
	s_cselect_b32 s17, s13, 0
	s_cselect_b32 s16, s12, 0x10000
	s_mul_i32 s4, s2, 3
	s_lshl_b32 s22, s2, 2
	s_lshl_b32 s3, s2, 1
	v_add_co_u32 v20, s5, s22, v13
	v_add_co_u32 v13, s4, s4, v0
	v_add_co_u32 v7, vcc_lo, s10, v11
	v_add_co_ci_u32_e64 v14, null, 0, 0, s4
	v_add_co_u32 v19, s4, v0, s2
	v_add_co_ci_u32_e32 v8, vcc_lo, s11, v12, vcc_lo
	v_add_co_u32 v9, vcc_lo, s6, v11
	v_add_co_ci_u32_e32 v10, vcc_lo, s7, v12, vcc_lo
	v_add_co_u32 v11, vcc_lo, s8, v11
	v_add_co_ci_u32_e64 v21, null, 0, 0, s5
	v_lshlrev_b32_e32 v29, 1, v19
	v_add_co_ci_u32_e32 v12, vcc_lo, s9, v12, vcc_lo
	v_add_co_u32 v15, vcc_lo, s10, v20
	v_add_co_u32 v23, s3, s3, v0
	v_add_co_ci_u32_e32 v16, vcc_lo, s11, v21, vcc_lo
	v_add_co_ci_u32_e64 v24, null, 0, 0, s3
	v_add_co_u32 v25, s3, s10, v29
	v_add_co_u32 v17, vcc_lo, s6, v20
	v_add_co_ci_u32_e64 v26, null, s11, 0, s3
	v_add_co_u32 v27, s3, s6, v29
	v_add_co_ci_u32_e32 v18, vcc_lo, s7, v21, vcc_lo
	v_add_co_u32 v20, vcc_lo, s8, v20
	v_add_co_ci_u32_e64 v28, null, s7, 0, s3
	v_add_co_u32 v29, s3, s8, v29
	v_add_co_ci_u32_e32 v21, vcc_lo, s9, v21, vcc_lo
	v_add_co_ci_u32_e64 v22, null, 0, 0, s4
	v_add_co_ci_u32_e64 v30, null, s9, 0, s3
	s_lshl_b32 s23, s2, 3
	s_branch .LBB32_4
.LBB32_3:                               ;   in Loop: Header=BB32_4 Depth=1
	s_or_b32 exec_lo, exec_lo, s2
	v_add_co_u32 v1, vcc_lo, v1, s23
	v_add_co_ci_u32_e32 v2, vcc_lo, 0, v2, vcc_lo
	v_add_co_u32 v3, vcc_lo, v3, s23
	v_add_co_ci_u32_e32 v4, vcc_lo, 0, v4, vcc_lo
	;; [unrolled: 2-line block ×9, first 2 shown]
	s_add_u32 s18, s18, s22
	v_add_co_u32 v25, vcc_lo, v25, s23
	s_addc_u32 s19, s19, 0
	v_add_co_ci_u32_e32 v26, vcc_lo, 0, v26, vcc_lo
	v_cmp_ge_i64_e64 s2, s[18:19], s[12:13]
	v_cmp_lt_u64_e64 s3, 0xffff, s[18:19]
	v_add_co_u32 v27, vcc_lo, v27, s23
	v_add_co_ci_u32_e32 v28, vcc_lo, 0, v28, vcc_lo
	v_add_co_u32 v29, vcc_lo, v29, s23
	v_add_co_ci_u32_e32 v30, vcc_lo, 0, v30, vcc_lo
	s_or_b32 s2, s2, s3
	s_delay_alu instid0(SALU_CYCLE_1)
	s_and_b32 vcc_lo, exec_lo, s2
	s_cbranch_vccnz .LBB32_44
.LBB32_4:                               ; =>This Inner Loop Header: Depth=1
	v_add_co_u32 v31, s2, v0, s18
	s_delay_alu instid0(VALU_DEP_1) | instskip(SKIP_1) | instid1(VALU_DEP_2)
	v_add_co_ci_u32_e64 v32, null, 0, s19, s2
	v_mov_b32_e32 v34, 0
	v_cmp_gt_u64_e64 s2, s[16:17], v[31:32]
	v_mov_b32_e32 v32, 0
	s_delay_alu instid0(VALU_DEP_2)
	s_and_saveexec_b32 s3, s2
	s_cbranch_execz .LBB32_6
; %bb.5:                                ;   in Loop: Header=BB32_4 Depth=1
	v_add_co_u32 v31, vcc_lo, v1, s14
	v_add_co_ci_u32_e32 v32, vcc_lo, s15, v2, vcc_lo
	v_add_co_u32 v33, vcc_lo, v3, s14
	v_add_co_ci_u32_e32 v34, vcc_lo, s15, v4, vcc_lo
	global_load_u16 v32, v[31:32], off
	global_load_u16 v34, v[33:34], off
.LBB32_6:                               ;   in Loop: Header=BB32_4 Depth=1
	s_or_b32 exec_lo, exec_lo, s3
	v_mov_b32_e32 v31, 0
	v_mov_b32_e32 v37, 0
	s_and_saveexec_b32 s3, s2
	s_cbranch_execz .LBB32_8
; %bb.7:                                ;   in Loop: Header=BB32_4 Depth=1
	v_add_co_u32 v35, vcc_lo, v5, s14
	v_add_co_ci_u32_e32 v36, vcc_lo, s15, v6, vcc_lo
	global_load_u16 v37, v[35:36], off
.LBB32_8:                               ;   in Loop: Header=BB32_4 Depth=1
	s_or_b32 exec_lo, exec_lo, s3
	v_add_co_u32 v35, vcc_lo, v19, s18
	v_add_co_ci_u32_e32 v36, vcc_lo, s19, v22, vcc_lo
	s_delay_alu instid0(VALU_DEP_1) | instskip(SKIP_1) | instid1(VALU_DEP_2)
	v_cmp_gt_u64_e64 s3, s[16:17], v[35:36]
	v_mov_b32_e32 v35, 0
	s_and_saveexec_b32 s4, s3
	s_cbranch_execz .LBB32_10
; %bb.9:                                ;   in Loop: Header=BB32_4 Depth=1
	v_add_co_u32 v35, vcc_lo, v25, s14
	v_add_co_ci_u32_e32 v36, vcc_lo, s15, v26, vcc_lo
	v_add_co_u32 v38, vcc_lo, v27, s14
	v_add_co_ci_u32_e32 v39, vcc_lo, s15, v28, vcc_lo
	global_load_u16 v31, v[35:36], off
	global_load_u16 v35, v[38:39], off
.LBB32_10:                              ;   in Loop: Header=BB32_4 Depth=1
	s_or_b32 exec_lo, exec_lo, s4
	v_mov_b32_e32 v33, 0
	v_mov_b32_e32 v39, 0
	s_and_saveexec_b32 s4, s3
	s_cbranch_execz .LBB32_12
; %bb.11:                               ;   in Loop: Header=BB32_4 Depth=1
	v_add_co_u32 v38, vcc_lo, v29, s14
	v_add_co_ci_u32_e32 v39, vcc_lo, s15, v30, vcc_lo
	global_load_u16 v39, v[38:39], off
.LBB32_12:                              ;   in Loop: Header=BB32_4 Depth=1
	s_or_b32 exec_lo, exec_lo, s4
	v_add_co_u32 v40, vcc_lo, v23, s18
	v_add_co_ci_u32_e32 v41, vcc_lo, s19, v24, vcc_lo
	v_mov_b32_e32 v38, 0
	s_delay_alu instid0(VALU_DEP_2) | instskip(NEXT) | instid1(VALU_DEP_1)
	v_cmp_gt_u64_e64 s4, s[16:17], v[40:41]
	s_and_saveexec_b32 s5, s4
	s_cbranch_execz .LBB32_14
; %bb.13:                               ;   in Loop: Header=BB32_4 Depth=1
	v_add_co_u32 v40, vcc_lo, v15, s14
	v_add_co_ci_u32_e32 v41, vcc_lo, s15, v16, vcc_lo
	v_add_co_u32 v42, vcc_lo, v17, s14
	v_add_co_ci_u32_e32 v43, vcc_lo, s15, v18, vcc_lo
	global_load_u16 v33, v[40:41], off
	global_load_u16 v38, v[42:43], off
.LBB32_14:                              ;   in Loop: Header=BB32_4 Depth=1
	s_or_b32 exec_lo, exec_lo, s5
	v_dual_mov_b32 v36, 0 :: v_dual_mov_b32 v41, 0
	s_and_saveexec_b32 s5, s4
	s_cbranch_execz .LBB32_16
; %bb.15:                               ;   in Loop: Header=BB32_4 Depth=1
	v_add_co_u32 v40, vcc_lo, v20, s14
	v_add_co_ci_u32_e32 v41, vcc_lo, s15, v21, vcc_lo
	global_load_u16 v41, v[40:41], off
.LBB32_16:                              ;   in Loop: Header=BB32_4 Depth=1
	s_or_b32 exec_lo, exec_lo, s5
	v_add_co_u32 v42, vcc_lo, v13, s18
	v_add_co_ci_u32_e32 v43, vcc_lo, s19, v14, vcc_lo
	v_mov_b32_e32 v40, 0
	s_delay_alu instid0(VALU_DEP_2) | instskip(NEXT) | instid1(VALU_DEP_1)
	v_cmp_gt_u64_e64 s5, s[16:17], v[42:43]
	s_and_saveexec_b32 s24, s5
	s_cbranch_execz .LBB32_18
; %bb.17:                               ;   in Loop: Header=BB32_4 Depth=1
	v_add_co_u32 v42, vcc_lo, v7, s14
	v_add_co_ci_u32_e32 v43, vcc_lo, s15, v8, vcc_lo
	v_add_co_u32 v44, vcc_lo, v9, s14
	v_add_co_ci_u32_e32 v45, vcc_lo, s15, v10, vcc_lo
	global_load_u16 v36, v[42:43], off
	global_load_u16 v40, v[44:45], off
.LBB32_18:                              ;   in Loop: Header=BB32_4 Depth=1
	s_or_b32 exec_lo, exec_lo, s24
	v_mov_b32_e32 v42, 0
	s_and_saveexec_b32 s24, s5
	s_cbranch_execz .LBB32_20
; %bb.19:                               ;   in Loop: Header=BB32_4 Depth=1
	v_add_co_u32 v42, vcc_lo, v11, s14
	v_add_co_ci_u32_e32 v43, vcc_lo, s15, v12, vcc_lo
	global_load_u16 v42, v[42:43], off
.LBB32_20:                              ;   in Loop: Header=BB32_4 Depth=1
	s_or_b32 exec_lo, exec_lo, s24
	s_waitcnt vmcnt(1)
	v_lshlrev_b32_e32 v43, 16, v32
	s_waitcnt vmcnt(0)
	v_lshlrev_b32_e32 v34, 16, v34
	v_lshlrev_b32_e32 v37, 16, v37
	s_and_b32 vcc_lo, exec_lo, s21
	s_cbranch_vccz .LBB32_40
; %bb.21:                               ;   in Loop: Header=BB32_4 Depth=1
	s_delay_alu instid0(VALU_DEP_1) | instskip(NEXT) | instid1(VALU_DEP_1)
	v_mul_f32_e32 v32, v34, v37
	v_fma_f32 v32, s20, v32, v43
	s_cbranch_execnz .LBB32_23
.LBB32_22:                              ;   in Loop: Header=BB32_4 Depth=1
	s_delay_alu instid0(VALU_DEP_1) | instskip(NEXT) | instid1(VALU_DEP_1)
	v_fmac_f32_e32 v43, v34, v37
	v_mov_b32_e32 v32, v43
.LBB32_23:                              ;   in Loop: Header=BB32_4 Depth=1
	v_lshlrev_b32_e32 v34, 16, v31
	v_lshlrev_b32_e32 v35, 16, v35
	v_lshlrev_b32_e32 v37, 16, v39
	s_and_not1_b32 vcc_lo, exec_lo, s21
	s_cbranch_vccnz .LBB32_41
; %bb.24:                               ;   in Loop: Header=BB32_4 Depth=1
	s_delay_alu instid0(VALU_DEP_1) | instskip(NEXT) | instid1(VALU_DEP_1)
	v_mul_f32_e32 v31, v35, v37
	v_fma_f32 v31, s20, v31, v34
	s_cbranch_execnz .LBB32_26
.LBB32_25:                              ;   in Loop: Header=BB32_4 Depth=1
	s_delay_alu instid0(VALU_DEP_1) | instskip(NEXT) | instid1(VALU_DEP_1)
	v_fmac_f32_e32 v34, v35, v37
	v_mov_b32_e32 v31, v34
.LBB32_26:                              ;   in Loop: Header=BB32_4 Depth=1
	v_lshlrev_b32_e32 v34, 16, v33
	v_lshlrev_b32_e32 v35, 16, v38
	v_lshlrev_b32_e32 v37, 16, v41
	s_and_not1_b32 vcc_lo, exec_lo, s21
	s_cbranch_vccnz .LBB32_42
; %bb.27:                               ;   in Loop: Header=BB32_4 Depth=1
	s_delay_alu instid0(VALU_DEP_1) | instskip(NEXT) | instid1(VALU_DEP_1)
	v_mul_f32_e32 v33, v35, v37
	v_fma_f32 v33, s20, v33, v34
	s_cbranch_execnz .LBB32_29
.LBB32_28:                              ;   in Loop: Header=BB32_4 Depth=1
	s_delay_alu instid0(VALU_DEP_1) | instskip(NEXT) | instid1(VALU_DEP_1)
	v_fmac_f32_e32 v34, v35, v37
	v_mov_b32_e32 v33, v34
.LBB32_29:                              ;   in Loop: Header=BB32_4 Depth=1
	v_lshlrev_b32_e32 v35, 16, v36
	v_lshlrev_b32_e32 v36, 16, v40
	;; [unrolled: 1-line block ×3, first 2 shown]
	s_and_not1_b32 vcc_lo, exec_lo, s21
	s_cbranch_vccnz .LBB32_43
; %bb.30:                               ;   in Loop: Header=BB32_4 Depth=1
	s_delay_alu instid0(VALU_DEP_1) | instskip(NEXT) | instid1(VALU_DEP_1)
	v_mul_f32_e32 v34, v36, v37
	v_fma_f32 v34, s20, v34, v35
	s_cbranch_execnz .LBB32_32
.LBB32_31:                              ;   in Loop: Header=BB32_4 Depth=1
	s_delay_alu instid0(VALU_DEP_1) | instskip(NEXT) | instid1(VALU_DEP_1)
	v_fmac_f32_e32 v35, v36, v37
	v_mov_b32_e32 v34, v35
.LBB32_32:                              ;   in Loop: Header=BB32_4 Depth=1
	s_and_saveexec_b32 s24, s2
	s_delay_alu instid0(SALU_CYCLE_1)
	s_xor_b32 s2, exec_lo, s24
	s_cbranch_execnz .LBB32_36
; %bb.33:                               ;   in Loop: Header=BB32_4 Depth=1
	s_or_b32 exec_lo, exec_lo, s2
	s_and_saveexec_b32 s2, s3
	s_cbranch_execnz .LBB32_37
.LBB32_34:                              ;   in Loop: Header=BB32_4 Depth=1
	s_or_b32 exec_lo, exec_lo, s2
	s_and_saveexec_b32 s2, s4
	s_cbranch_execnz .LBB32_38
.LBB32_35:                              ;   in Loop: Header=BB32_4 Depth=1
	s_or_b32 exec_lo, exec_lo, s2
	s_and_saveexec_b32 s2, s5
	s_cbranch_execz .LBB32_3
	s_branch .LBB32_39
.LBB32_36:                              ;   in Loop: Header=BB32_4 Depth=1
	v_bfe_u32 v35, v32, 16, 1
	v_cmp_o_f32_e32 vcc_lo, v32, v32
	s_delay_alu instid0(VALU_DEP_2) | instskip(NEXT) | instid1(VALU_DEP_1)
	v_add3_u32 v35, v32, v35, 0x7fff
	v_lshrrev_b32_e32 v35, 16, v35
	s_delay_alu instid0(VALU_DEP_1)
	v_cndmask_b32_e32 v32, 0x7fc0, v35, vcc_lo
	v_add_co_u32 v35, vcc_lo, v1, s14
	v_add_co_ci_u32_e32 v36, vcc_lo, s15, v2, vcc_lo
	global_store_b16 v[35:36], v32, off
	s_or_b32 exec_lo, exec_lo, s2
	s_and_saveexec_b32 s2, s3
	s_cbranch_execz .LBB32_34
.LBB32_37:                              ;   in Loop: Header=BB32_4 Depth=1
	v_bfe_u32 v32, v31, 16, 1
	v_add_co_u32 v35, vcc_lo, v25, s14
	v_add_co_ci_u32_e32 v36, vcc_lo, s15, v26, vcc_lo
	s_delay_alu instid0(VALU_DEP_3) | instskip(SKIP_1) | instid1(VALU_DEP_2)
	v_add3_u32 v32, v31, v32, 0x7fff
	v_cmp_o_f32_e32 vcc_lo, v31, v31
	v_lshrrev_b32_e32 v32, 16, v32
	s_delay_alu instid0(VALU_DEP_1)
	v_cndmask_b32_e32 v31, 0x7fc0, v32, vcc_lo
	global_store_b16 v[35:36], v31, off
	s_or_b32 exec_lo, exec_lo, s2
	s_and_saveexec_b32 s2, s4
	s_cbranch_execz .LBB32_35
.LBB32_38:                              ;   in Loop: Header=BB32_4 Depth=1
	v_bfe_u32 v31, v33, 16, 1
	s_delay_alu instid0(VALU_DEP_1) | instskip(NEXT) | instid1(VALU_DEP_1)
	v_add3_u32 v31, v33, v31, 0x7fff
	v_lshrrev_b32_e32 v35, 16, v31
	v_add_co_u32 v31, vcc_lo, v15, s14
	v_add_co_ci_u32_e32 v32, vcc_lo, s15, v16, vcc_lo
	v_cmp_o_f32_e32 vcc_lo, v33, v33
	s_delay_alu instid0(VALU_DEP_4)
	v_cndmask_b32_e32 v33, 0x7fc0, v35, vcc_lo
	global_store_b16 v[31:32], v33, off
	s_or_b32 exec_lo, exec_lo, s2
	s_and_saveexec_b32 s2, s5
	s_cbranch_execz .LBB32_3
.LBB32_39:                              ;   in Loop: Header=BB32_4 Depth=1
	v_bfe_u32 v31, v34, 16, 1
	s_delay_alu instid0(VALU_DEP_1) | instskip(NEXT) | instid1(VALU_DEP_1)
	v_add3_u32 v31, v34, v31, 0x7fff
	v_lshrrev_b32_e32 v33, 16, v31
	v_add_co_u32 v31, vcc_lo, v7, s14
	v_add_co_ci_u32_e32 v32, vcc_lo, s15, v8, vcc_lo
	v_cmp_o_f32_e32 vcc_lo, v34, v34
	s_delay_alu instid0(VALU_DEP_4)
	v_cndmask_b32_e32 v33, 0x7fc0, v33, vcc_lo
	global_store_b16 v[31:32], v33, off
	s_branch .LBB32_3
.LBB32_40:                              ;   in Loop: Header=BB32_4 Depth=1
                                        ; implicit-def: $vgpr32
	s_branch .LBB32_22
.LBB32_41:                              ;   in Loop: Header=BB32_4 Depth=1
                                        ; implicit-def: $vgpr31
	s_branch .LBB32_25
.LBB32_42:                              ;   in Loop: Header=BB32_4 Depth=1
                                        ; implicit-def: $vgpr33
	s_branch .LBB32_28
.LBB32_43:                              ;   in Loop: Header=BB32_4 Depth=1
                                        ; implicit-def: $vgpr34
	s_branch .LBB32_31
.LBB32_44:
	s_mov_b32 s2, 0
.LBB32_45:
	s_delay_alu instid0(SALU_CYCLE_1)
	s_and_not1_b32 vcc_lo, exec_lo, s2
	s_cbranch_vccnz .LBB32_65
; %bb.46:
	v_dual_mov_b32 v2, 0 :: v_dual_lshlrev_b32 v1, 2, v0
	s_mov_b32 s2, 0
	s_mov_b32 s3, exec_lo
	s_delay_alu instid0(VALU_DEP_1)
	v_cmpx_gt_i64_e64 s[12:13], v[1:2]
	s_cbranch_execz .LBB32_65
; %bb.47:
	s_load_b32 s0, s[0:1], 0xc5c
	v_lshlrev_b32_e32 v1, 3, v0
	v_cmp_neq_f32_e64 s3, s20, 1.0
	s_delay_alu instid0(VALU_DEP_2) | instskip(NEXT) | instid1(VALU_DEP_1)
	v_add_co_u32 v11, s1, s14, v1
	v_add_co_ci_u32_e64 v12, null, s15, 0, s1
	s_waitcnt lgkmcnt(0)
	s_and_b32 s0, s0, 0xffff
	s_delay_alu instid0(SALU_CYCLE_1)
	v_add_lshl_u32 v1, v0, s0, 2
	s_lshl_b32 s4, s0, 3
	s_lshl_b32 s5, s0, 2
	s_branch .LBB32_49
.LBB32_48:                              ;   in Loop: Header=BB32_49 Depth=1
	v_bfe_u32 v7, v0, 16, 1
	v_bfe_u32 v8, v13, 16, 1
	;; [unrolled: 1-line block ×3, first 2 shown]
	v_cmp_o_f32_e32 vcc_lo, v0, v0
	v_bfe_u32 v10, v6, 16, 1
	v_add3_u32 v7, v0, v7, 0x7fff
	v_add3_u32 v8, v13, v8, 0x7fff
	;; [unrolled: 1-line block ×3, first 2 shown]
	v_cmp_lt_u64_e64 s0, 0xffff, v[1:2]
	v_add3_u32 v10, v6, v10, 0x7fff
	v_lshrrev_b32_e32 v7, 16, v7
	v_and_b32_e32 v8, 0xffff0000, v8
	v_lshrrev_b32_e32 v9, 16, v9
	v_cmp_o_f32_e64 s1, v6, v6
	v_and_b32_e32 v10, 0xffff0000, v10
	v_cndmask_b32_e32 v0, 0x7fc0, v7, vcc_lo
	v_cmp_o_f32_e32 vcc_lo, v13, v13
	s_delay_alu instid0(VALU_DEP_3) | instskip(SKIP_2) | instid1(VALU_DEP_2)
	v_cndmask_b32_e64 v6, 0x7fc00000, v10, s1
	v_cndmask_b32_e32 v7, 0x7fc00000, v8, vcc_lo
	v_cmp_o_f32_e32 vcc_lo, v5, v5
	v_or_b32_e32 v0, v7, v0
	v_cndmask_b32_e32 v5, 0x7fc0, v9, vcc_lo
	v_cmp_le_i64_e32 vcc_lo, s[12:13], v[1:2]
	s_delay_alu instid0(VALU_DEP_2) | instskip(NEXT) | instid1(VALU_DEP_4)
	v_or3_b32 v6, 0, v5, v6
	v_or3_b32 v5, v0, 0, 0
	s_or_b32 s0, vcc_lo, s0
	v_add_co_u32 v11, vcc_lo, v11, s4
	v_add_co_ci_u32_e32 v12, vcc_lo, 0, v12, vcc_lo
	v_add_co_u32 v1, vcc_lo, v1, s5
	v_add_co_ci_u32_e32 v2, vcc_lo, 0, v2, vcc_lo
	s_and_b32 s0, exec_lo, s0
	global_store_b64 v[3:4], v[5:6], off
	s_or_b32 s2, s0, s2
	s_delay_alu instid0(SALU_CYCLE_1)
	s_and_not1_b32 exec_lo, exec_lo, s2
	s_cbranch_execz .LBB32_65
.LBB32_49:                              ; =>This Inner Loop Header: Depth=1
	v_add_co_u32 v3, vcc_lo, s10, v11
	v_add_co_ci_u32_e32 v4, vcc_lo, s11, v12, vcc_lo
	v_add_co_u32 v7, vcc_lo, s6, v11
	v_add_co_ci_u32_e32 v8, vcc_lo, s7, v12, vcc_lo
	;; [unrolled: 2-line block ×3, first 2 shown]
	global_load_b64 v[5:6], v[3:4], off
	global_load_b64 v[7:8], v[7:8], off
	;; [unrolled: 1-line block ×3, first 2 shown]
	s_and_b32 vcc_lo, exec_lo, s3
	s_waitcnt vmcnt(2)
	v_lshlrev_b32_e32 v13, 16, v5
	s_waitcnt vmcnt(1)
	v_lshlrev_b32_e32 v14, 16, v7
	;; [unrolled: 2-line block ×3, first 2 shown]
	s_cbranch_vccz .LBB32_60
; %bb.50:                               ;   in Loop: Header=BB32_49 Depth=1
	s_delay_alu instid0(VALU_DEP_1) | instskip(NEXT) | instid1(VALU_DEP_1)
	v_mul_f32_e32 v0, v14, v15
	v_fma_f32 v0, s20, v0, v13
	s_cbranch_execnz .LBB32_52
.LBB32_51:                              ;   in Loop: Header=BB32_49 Depth=1
	s_delay_alu instid0(VALU_DEP_1) | instskip(NEXT) | instid1(VALU_DEP_1)
	v_fmac_f32_e32 v13, v14, v15
	v_mov_b32_e32 v0, v13
.LBB32_52:                              ;   in Loop: Header=BB32_49 Depth=1
	v_and_b32_e32 v14, 0xffff0000, v5
	v_and_b32_e32 v15, 0xffff0000, v7
	;; [unrolled: 1-line block ×3, first 2 shown]
	s_and_not1_b32 vcc_lo, exec_lo, s3
	s_cbranch_vccnz .LBB32_61
; %bb.53:                               ;   in Loop: Header=BB32_49 Depth=1
	s_delay_alu instid0(VALU_DEP_1) | instskip(NEXT) | instid1(VALU_DEP_1)
	v_mul_f32_e32 v13, v15, v16
	v_fma_f32 v13, s20, v13, v14
	s_cbranch_execnz .LBB32_55
.LBB32_54:                              ;   in Loop: Header=BB32_49 Depth=1
	s_delay_alu instid0(VALU_DEP_1) | instskip(NEXT) | instid1(VALU_DEP_1)
	v_fmac_f32_e32 v14, v15, v16
	v_mov_b32_e32 v13, v14
.LBB32_55:                              ;   in Loop: Header=BB32_49 Depth=1
	v_alignbit_b32 v5, v6, v5, 16
	v_alignbit_b32 v14, v8, v7, 16
	;; [unrolled: 1-line block ×3, first 2 shown]
	s_and_not1_b32 vcc_lo, exec_lo, s3
	s_delay_alu instid0(VALU_DEP_3) | instskip(NEXT) | instid1(VALU_DEP_3)
	v_and_b32_e32 v7, 0xffff0000, v5
	v_and_b32_e32 v9, 0xffff0000, v14
	s_delay_alu instid0(VALU_DEP_3)
	v_and_b32_e32 v14, 0xffff0000, v15
	s_cbranch_vccnz .LBB32_62
; %bb.56:                               ;   in Loop: Header=BB32_49 Depth=1
	s_delay_alu instid0(VALU_DEP_1) | instskip(NEXT) | instid1(VALU_DEP_1)
	v_mul_f32_e32 v5, v9, v14
	v_fma_f32 v5, s20, v5, v7
	s_cbranch_execnz .LBB32_58
.LBB32_57:                              ;   in Loop: Header=BB32_49 Depth=1
	s_delay_alu instid0(VALU_DEP_1) | instskip(NEXT) | instid1(VALU_DEP_1)
	v_fmac_f32_e32 v7, v9, v14
	v_mov_b32_e32 v5, v7
.LBB32_58:                              ;   in Loop: Header=BB32_49 Depth=1
	v_and_b32_e32 v7, 0xffff0000, v6
	v_and_b32_e32 v8, 0xffff0000, v8
	v_and_b32_e32 v9, 0xffff0000, v10
	s_and_not1_b32 vcc_lo, exec_lo, s3
	s_cbranch_vccnz .LBB32_63
; %bb.59:                               ;   in Loop: Header=BB32_49 Depth=1
	s_delay_alu instid0(VALU_DEP_1) | instskip(NEXT) | instid1(VALU_DEP_1)
	v_mul_f32_e32 v6, v8, v9
	v_fma_f32 v6, s20, v6, v7
	s_cbranch_execnz .LBB32_48
	s_branch .LBB32_64
.LBB32_60:                              ;   in Loop: Header=BB32_49 Depth=1
                                        ; implicit-def: $vgpr0
	s_branch .LBB32_51
.LBB32_61:                              ;   in Loop: Header=BB32_49 Depth=1
                                        ; implicit-def: $vgpr13
	s_branch .LBB32_54
.LBB32_62:                              ;   in Loop: Header=BB32_49 Depth=1
                                        ; implicit-def: $vgpr5
	s_branch .LBB32_57
.LBB32_63:                              ;   in Loop: Header=BB32_49 Depth=1
                                        ; implicit-def: $vgpr6
.LBB32_64:                              ;   in Loop: Header=BB32_49 Depth=1
	s_delay_alu instid0(VALU_DEP_1) | instskip(NEXT) | instid1(VALU_DEP_1)
	v_fmac_f32_e32 v7, v8, v9
	v_mov_b32_e32 v6, v7
	s_branch .LBB32_48
.LBB32_65:
	s_nop 0
	s_sendmsg sendmsg(MSG_DEALLOC_VGPRS)
	s_endpgm
	.section	.rodata,"a",@progbits
	.p2align	6, 0x0
	.amdhsa_kernel _ZN2at6native12_GLOBAL__N_125multi_tensor_apply_kernelINS1_18TensorListMetadataILi3EEENS1_24PointwiseOpScalarFunctorIN3c108BFloat16ELi3ELi3ELi0EEEJSt10multipliesIfEfEEEvT_T0_DpT1_
		.amdhsa_group_segment_fixed_size 0
		.amdhsa_private_segment_fixed_size 0
		.amdhsa_kernarg_size 3408
		.amdhsa_user_sgpr_count 15
		.amdhsa_user_sgpr_dispatch_ptr 0
		.amdhsa_user_sgpr_queue_ptr 0
		.amdhsa_user_sgpr_kernarg_segment_ptr 1
		.amdhsa_user_sgpr_dispatch_id 0
		.amdhsa_user_sgpr_private_segment_size 0
		.amdhsa_wavefront_size32 1
		.amdhsa_uses_dynamic_stack 0
		.amdhsa_enable_private_segment 0
		.amdhsa_system_sgpr_workgroup_id_x 1
		.amdhsa_system_sgpr_workgroup_id_y 0
		.amdhsa_system_sgpr_workgroup_id_z 0
		.amdhsa_system_sgpr_workgroup_info 0
		.amdhsa_system_vgpr_workitem_id 0
		.amdhsa_next_free_vgpr 46
		.amdhsa_next_free_sgpr 25
		.amdhsa_reserve_vcc 1
		.amdhsa_float_round_mode_32 0
		.amdhsa_float_round_mode_16_64 0
		.amdhsa_float_denorm_mode_32 3
		.amdhsa_float_denorm_mode_16_64 3
		.amdhsa_dx10_clamp 1
		.amdhsa_ieee_mode 1
		.amdhsa_fp16_overflow 0
		.amdhsa_workgroup_processor_mode 1
		.amdhsa_memory_ordered 1
		.amdhsa_forward_progress 0
		.amdhsa_shared_vgpr_count 0
		.amdhsa_exception_fp_ieee_invalid_op 0
		.amdhsa_exception_fp_denorm_src 0
		.amdhsa_exception_fp_ieee_div_zero 0
		.amdhsa_exception_fp_ieee_overflow 0
		.amdhsa_exception_fp_ieee_underflow 0
		.amdhsa_exception_fp_ieee_inexact 0
		.amdhsa_exception_int_div_zero 0
	.end_amdhsa_kernel
	.section	.text._ZN2at6native12_GLOBAL__N_125multi_tensor_apply_kernelINS1_18TensorListMetadataILi3EEENS1_24PointwiseOpScalarFunctorIN3c108BFloat16ELi3ELi3ELi0EEEJSt10multipliesIfEfEEEvT_T0_DpT1_,"axG",@progbits,_ZN2at6native12_GLOBAL__N_125multi_tensor_apply_kernelINS1_18TensorListMetadataILi3EEENS1_24PointwiseOpScalarFunctorIN3c108BFloat16ELi3ELi3ELi0EEEJSt10multipliesIfEfEEEvT_T0_DpT1_,comdat
.Lfunc_end32:
	.size	_ZN2at6native12_GLOBAL__N_125multi_tensor_apply_kernelINS1_18TensorListMetadataILi3EEENS1_24PointwiseOpScalarFunctorIN3c108BFloat16ELi3ELi3ELi0EEEJSt10multipliesIfEfEEEvT_T0_DpT1_, .Lfunc_end32-_ZN2at6native12_GLOBAL__N_125multi_tensor_apply_kernelINS1_18TensorListMetadataILi3EEENS1_24PointwiseOpScalarFunctorIN3c108BFloat16ELi3ELi3ELi0EEEJSt10multipliesIfEfEEEvT_T0_DpT1_
                                        ; -- End function
	.section	.AMDGPU.csdata,"",@progbits
; Kernel info:
; codeLenInByte = 2600
; NumSgprs: 27
; NumVgprs: 46
; ScratchSize: 0
; MemoryBound: 0
; FloatMode: 240
; IeeeMode: 1
; LDSByteSize: 0 bytes/workgroup (compile time only)
; SGPRBlocks: 3
; VGPRBlocks: 5
; NumSGPRsForWavesPerEU: 27
; NumVGPRsForWavesPerEU: 46
; Occupancy: 16
; WaveLimiterHint : 0
; COMPUTE_PGM_RSRC2:SCRATCH_EN: 0
; COMPUTE_PGM_RSRC2:USER_SGPR: 15
; COMPUTE_PGM_RSRC2:TRAP_HANDLER: 0
; COMPUTE_PGM_RSRC2:TGID_X_EN: 1
; COMPUTE_PGM_RSRC2:TGID_Y_EN: 0
; COMPUTE_PGM_RSRC2:TGID_Z_EN: 0
; COMPUTE_PGM_RSRC2:TIDIG_COMP_CNT: 0
	.section	.text._ZN2at6native12_GLOBAL__N_125multi_tensor_apply_kernelINS1_18TensorListMetadataILi3EEENS1_32PointwiseOpScalar0dTensorFunctorIhLi3ELi2ELi0EEEJSt10multipliesIhEhEEEvT_T0_DpT1_,"axG",@progbits,_ZN2at6native12_GLOBAL__N_125multi_tensor_apply_kernelINS1_18TensorListMetadataILi3EEENS1_32PointwiseOpScalar0dTensorFunctorIhLi3ELi2ELi0EEEJSt10multipliesIhEhEEEvT_T0_DpT1_,comdat
	.globl	_ZN2at6native12_GLOBAL__N_125multi_tensor_apply_kernelINS1_18TensorListMetadataILi3EEENS1_32PointwiseOpScalar0dTensorFunctorIhLi3ELi2ELi0EEEJSt10multipliesIhEhEEEvT_T0_DpT1_ ; -- Begin function _ZN2at6native12_GLOBAL__N_125multi_tensor_apply_kernelINS1_18TensorListMetadataILi3EEENS1_32PointwiseOpScalar0dTensorFunctorIhLi3ELi2ELi0EEEJSt10multipliesIhEhEEEvT_T0_DpT1_
	.p2align	8
	.type	_ZN2at6native12_GLOBAL__N_125multi_tensor_apply_kernelINS1_18TensorListMetadataILi3EEENS1_32PointwiseOpScalar0dTensorFunctorIhLi3ELi2ELi0EEEJSt10multipliesIhEhEEEvT_T0_DpT1_,@function
_ZN2at6native12_GLOBAL__N_125multi_tensor_apply_kernelINS1_18TensorListMetadataILi3EEENS1_32PointwiseOpScalar0dTensorFunctorIhLi3ELi2ELi0EEEJSt10multipliesIhEhEEEvT_T0_DpT1_: ; @_ZN2at6native12_GLOBAL__N_125multi_tensor_apply_kernelINS1_18TensorListMetadataILi3EEENS1_32PointwiseOpScalar0dTensorFunctorIhLi3ELi2ELi0EEEJSt10multipliesIhEhEEEvT_T0_DpT1_
; %bb.0:
	v_dual_mov_b32 v1, s15 :: v_dual_mov_b32 v2, 0
	s_mul_i32 s4, s15, 3
	s_mul_hi_u32 s7, s15, 3
	s_load_b32 s2, s[0:1], 0xc48
	global_load_u8 v1, v1, s[0:1] offset:1536
	s_waitcnt lgkmcnt(0)
	s_lshr_b32 s3, s2, 16
	s_add_u32 s2, s0, s15
	s_addc_u32 s5, s1, 0
	s_add_u32 s4, s2, s4
	s_addc_u32 s5, s5, s7
	s_waitcnt vmcnt(0)
	v_readfirstlane_b32 s6, v1
	s_delay_alu instid0(VALU_DEP_1)
	s_lshl_b32 s2, s6, 3
	s_clause 0x1
	s_load_b64 s[14:15], s[0:1], s2 offset:0x180
	s_load_b64 s[6:7], s[0:1], s2 offset:0x300
	s_waitcnt lgkmcnt(0)
	global_load_u8 v1, v2, s[14:15]
	s_clause 0x2
	s_load_b32 s4, s[4:5], 0x740
	s_load_b64 s[8:9], s[0:1], s2 offset:0x0
	s_load_b64 s[18:19], s[0:1], s2 offset:0x480
	s_waitcnt lgkmcnt(0)
	s_ashr_i32 s5, s4, 31
	s_delay_alu instid0(SALU_CYCLE_1) | instskip(NEXT) | instid1(SALU_CYCLE_1)
	s_lshl_b64 s[10:11], s[4:5], 16
	s_add_u32 s12, s8, s10
	s_addc_u32 s13, s9, s11
	s_add_u32 s2, s14, s10
	s_add_u32 s15, s6, s10
	s_addc_u32 s16, s7, s11
	s_or_b32 s2, s15, s2
	s_delay_alu instid0(SALU_CYCLE_1) | instskip(NEXT) | instid1(SALU_CYCLE_1)
	s_and_b32 s2, s2, 3
	s_cmp_lg_u32 s2, 0
	s_cselect_b32 s2, -1, 0
	s_sub_u32 s4, s18, s10
	s_subb_u32 s5, s19, s11
	s_or_b64 s[18:19], s[18:19], s[12:13]
	s_mov_b32 s19, 0
	s_and_b32 s18, s18, 3
	s_delay_alu instid0(SALU_CYCLE_1) | instskip(SKIP_1) | instid1(SALU_CYCLE_1)
	s_cmp_lg_u64 s[18:19], 0
	s_cselect_b32 s14, -1, 0
	s_or_b32 s2, s2, s14
	s_delay_alu instid0(SALU_CYCLE_1)
	s_and_not1_b32 vcc_lo, exec_lo, s2
	s_mov_b32 s2, -1
	s_waitcnt vmcnt(0)
	v_readfirstlane_b32 s14, v1
	s_cbranch_vccz .LBB33_5
; %bb.1:
	v_lshlrev_b32_e32 v1, 2, v0
	s_mov_b32 s17, exec_lo
	s_delay_alu instid0(VALU_DEP_1)
	v_cmpx_gt_i64_e64 s[4:5], v[1:2]
	s_cbranch_execz .LBB33_4
; %bb.2:
	s_load_b32 s2, s[0:1], 0xc5c
	s_and_b32 s18, s14, 0xff
	s_and_b32 s19, s3, 0xff
	s_mov_b32 s20, 0
	s_mul_i32 s18, s18, s19
	s_waitcnt lgkmcnt(0)
	s_and_b32 s2, s2, 0xffff
	s_delay_alu instid0(SALU_CYCLE_1)
	s_lshl_b32 s19, s2, 2
.LBB33_3:                               ; =>This Inner Loop Header: Depth=1
	v_add_co_u32 v3, vcc_lo, s12, v1
	v_add_co_ci_u32_e32 v4, vcc_lo, s13, v2, vcc_lo
	v_add_co_u32 v5, vcc_lo, s15, v1
	v_add_co_ci_u32_e32 v6, vcc_lo, s16, v2, vcc_lo
	v_add_co_u32 v1, vcc_lo, s19, v1
	global_load_b32 v7, v[3:4], off
	global_load_b32 v5, v[5:6], off
	v_add_co_ci_u32_e32 v2, vcc_lo, 0, v2, vcc_lo
	s_delay_alu instid0(VALU_DEP_1) | instskip(SKIP_1) | instid1(VALU_DEP_1)
	v_cmp_le_i64_e32 vcc_lo, s[4:5], v[1:2]
	v_cmp_lt_u64_e64 s2, 0xffff, v[1:2]
	s_or_b32 s2, vcc_lo, s2
	s_delay_alu instid0(SALU_CYCLE_1) | instskip(NEXT) | instid1(SALU_CYCLE_1)
	s_and_b32 s2, exec_lo, s2
	s_or_b32 s20, s2, s20
	s_waitcnt vmcnt(1)
	v_lshrrev_b32_e32 v6, 8, v7
	s_waitcnt vmcnt(0)
	v_lshrrev_b32_e32 v8, 8, v5
	v_lshrrev_b32_e32 v9, 16, v7
	;; [unrolled: 1-line block ×5, first 2 shown]
	v_mad_u16 v6, s18, v8, v6
	v_mad_u16 v5, s18, v5, v7
	;; [unrolled: 1-line block ×3, first 2 shown]
	s_delay_alu instid0(VALU_DEP_4) | instskip(NEXT) | instid1(VALU_DEP_4)
	v_mad_u16 v7, s18, v12, v11
	v_and_b32_e32 v6, 0xff, v6
	s_delay_alu instid0(VALU_DEP_3) | instskip(NEXT) | instid1(VALU_DEP_3)
	v_and_b32_e32 v8, 0xff, v8
	v_lshlrev_b32_e32 v7, 24, v7
	s_delay_alu instid0(VALU_DEP_3) | instskip(NEXT) | instid1(VALU_DEP_3)
	v_perm_b32 v5, v6, v5, 0x6050400
	v_lshlrev_b32_e32 v6, 16, v8
	s_delay_alu instid0(VALU_DEP_1)
	v_or3_b32 v5, v5, v6, v7
	global_store_b32 v[3:4], v5, off
	s_and_not1_b32 exec_lo, exec_lo, s20
	s_cbranch_execnz .LBB33_3
.LBB33_4:
	s_or_b32 exec_lo, exec_lo, s17
	s_mov_b32 s2, 0
.LBB33_5:
	s_delay_alu instid0(SALU_CYCLE_1)
	s_and_not1_b32 vcc_lo, exec_lo, s2
	s_cbranch_vccnz .LBB33_25
; %bb.6:
	v_cmp_lt_i64_e64 s2, s[4:5], 1
	s_delay_alu instid0(VALU_DEP_1)
	s_and_b32 vcc_lo, exec_lo, s2
	s_cbranch_vccnz .LBB33_25
; %bb.7:
	s_load_b32 s0, s[0:1], 0xc5c
	v_add_co_u32 v1, s1, s10, v0
	s_delay_alu instid0(VALU_DEP_1)
	v_add_co_ci_u32_e64 v2, null, s11, 0, s1
	v_cmp_gt_u64_e64 s1, 0x10000, s[4:5]
	s_and_b32 s12, s14, 0xff
	s_and_b32 s13, s3, 0xff
	v_add_co_u32 v9, vcc_lo, s8, v1
	v_add_co_ci_u32_e32 v10, vcc_lo, s9, v2, vcc_lo
	v_add_co_u32 v11, vcc_lo, s6, v1
	v_add_co_ci_u32_e32 v12, vcc_lo, s7, v2, vcc_lo
	s_waitcnt lgkmcnt(0)
	s_and_b32 s0, s0, 0xffff
	s_and_b32 s1, s1, exec_lo
	s_mul_i32 s15, s0, 3
	s_cselect_b32 s3, s5, 0
	s_cselect_b32 s2, s4, 0x10000
	s_lshl_b32 s14, s0, 1
	s_lshl_b32 s1, s0, 2
	s_add_u32 s16, s10, s15
	s_addc_u32 s17, s11, 0
	v_add_co_u32 v3, s16, s16, v0
	s_delay_alu instid0(VALU_DEP_1) | instskip(SKIP_1) | instid1(VALU_DEP_2)
	v_add_co_ci_u32_e64 v4, null, s17, 0, s16
	s_add_u32 s10, s10, s14
	v_add_co_u32 v13, vcc_lo, s8, v3
	s_delay_alu instid0(VALU_DEP_2)
	v_add_co_ci_u32_e32 v14, vcc_lo, s9, v4, vcc_lo
	v_add_co_u32 v15, vcc_lo, s6, v3
	s_addc_u32 s11, s11, 0
	v_add_co_u32 v3, s10, s10, v0
	v_add_co_ci_u32_e32 v16, vcc_lo, s7, v4, vcc_lo
	v_add_co_ci_u32_e64 v4, null, s11, 0, s10
	s_delay_alu instid0(VALU_DEP_3) | instskip(SKIP_1) | instid1(VALU_DEP_3)
	v_add_co_u32 v19, vcc_lo, s8, v3
	v_add_co_u32 v17, s10, s15, v0
	v_add_co_ci_u32_e32 v20, vcc_lo, s9, v4, vcc_lo
	v_add_co_u32 v21, vcc_lo, s6, v3
	v_add_co_ci_u32_e32 v22, vcc_lo, s7, v4, vcc_lo
	v_add_co_u32 v1, vcc_lo, v1, s0
	v_add_co_ci_u32_e32 v2, vcc_lo, 0, v2, vcc_lo
	v_add_co_ci_u32_e64 v18, null, 0, 0, s10
	s_delay_alu instid0(VALU_DEP_3) | instskip(NEXT) | instid1(VALU_DEP_3)
	v_add_co_u32 v25, vcc_lo, s8, v1
	v_add_co_ci_u32_e32 v26, vcc_lo, s9, v2, vcc_lo
	v_add_co_u32 v23, s10, s14, v0
	v_add_co_u32 v27, vcc_lo, s6, v1
	v_add_co_u32 v29, s0, v0, s0
	v_add_co_ci_u32_e64 v24, null, 0, 0, s10
	v_add_co_ci_u32_e32 v28, vcc_lo, s7, v2, vcc_lo
	v_add_co_ci_u32_e64 v30, null, 0, 0, s0
	s_mul_i32 s8, s12, s13
	s_mov_b64 s[6:7], 0
	s_branch .LBB33_9
.LBB33_8:                               ;   in Loop: Header=BB33_9 Depth=1
	s_or_b32 exec_lo, exec_lo, s0
	s_add_u32 s6, s6, s1
	s_addc_u32 s7, s7, 0
	s_delay_alu instid0(SALU_CYCLE_1) | instskip(SKIP_1) | instid1(VALU_DEP_1)
	v_cmp_ge_i64_e64 s0, s[6:7], s[4:5]
	v_cmp_lt_u64_e64 s9, 0xffff, s[6:7]
	s_or_b32 s0, s0, s9
	s_delay_alu instid0(SALU_CYCLE_1)
	s_and_b32 vcc_lo, exec_lo, s0
	s_cbranch_vccnz .LBB33_25
.LBB33_9:                               ; =>This Inner Loop Header: Depth=1
	v_add_co_u32 v1, s0, v0, s6
	s_delay_alu instid0(VALU_DEP_1) | instskip(SKIP_2) | instid1(VALU_DEP_2)
	v_add_co_ci_u32_e64 v2, null, 0, s7, s0
	s_waitcnt vmcnt(0)
	v_dual_mov_b32 v31, 0 :: v_dual_mov_b32 v32, 0
	v_cmp_gt_i64_e32 vcc_lo, s[4:5], v[1:2]
	v_cmp_gt_u64_e64 s0, 0x10000, v[1:2]
	s_delay_alu instid0(VALU_DEP_1) | instskip(NEXT) | instid1(SALU_CYCLE_1)
	s_and_b32 s9, vcc_lo, s0
	s_and_saveexec_b32 s0, s9
	s_cbranch_execz .LBB33_11
; %bb.10:                               ;   in Loop: Header=BB33_9 Depth=1
	v_add_co_u32 v3, vcc_lo, v9, s6
	v_add_co_ci_u32_e32 v4, vcc_lo, s7, v10, vcc_lo
	v_add_co_u32 v5, vcc_lo, v11, s6
	v_add_co_ci_u32_e32 v6, vcc_lo, s7, v12, vcc_lo
	global_load_u8 v32, v[3:4], off
	global_load_u8 v31, v[5:6], off
.LBB33_11:                              ;   in Loop: Header=BB33_9 Depth=1
	s_or_b32 exec_lo, exec_lo, s0
	v_add_co_u32 v3, vcc_lo, v29, s6
	v_add_co_ci_u32_e32 v4, vcc_lo, s7, v30, vcc_lo
	s_delay_alu instid0(VALU_DEP_1) | instskip(SKIP_1) | instid1(VALU_DEP_1)
	v_cmp_gt_i64_e32 vcc_lo, s[4:5], v[3:4]
	v_cmp_gt_u64_e64 s0, 0x10000, v[3:4]
	s_and_b32 s9, vcc_lo, s0
	s_delay_alu instid0(SALU_CYCLE_1)
	s_and_saveexec_b32 s0, s9
	s_cbranch_execz .LBB33_13
; %bb.12:                               ;   in Loop: Header=BB33_9 Depth=1
	v_add_co_u32 v5, vcc_lo, v25, s6
	v_add_co_ci_u32_e32 v6, vcc_lo, s7, v26, vcc_lo
	v_add_co_u32 v7, vcc_lo, v27, s6
	v_add_co_ci_u32_e32 v8, vcc_lo, s7, v28, vcc_lo
	global_load_u8 v5, v[5:6], off
	global_load_u8 v6, v[7:8], off
	s_waitcnt vmcnt(1)
	v_lshl_or_b32 v32, v5, 8, v32
	s_waitcnt vmcnt(0)
	v_lshl_or_b32 v31, v6, 8, v31
.LBB33_13:                              ;   in Loop: Header=BB33_9 Depth=1
	s_or_b32 exec_lo, exec_lo, s0
	v_add_co_u32 v5, vcc_lo, v23, s6
	v_add_co_ci_u32_e32 v6, vcc_lo, s7, v24, vcc_lo
	s_delay_alu instid0(VALU_DEP_1) | instskip(SKIP_1) | instid1(VALU_DEP_1)
	v_cmp_gt_i64_e32 vcc_lo, s[4:5], v[5:6]
	v_cmp_gt_u64_e64 s0, 0x10000, v[5:6]
	s_and_b32 s9, vcc_lo, s0
	s_delay_alu instid0(SALU_CYCLE_1)
	s_and_saveexec_b32 s0, s9
	s_cbranch_execz .LBB33_15
; %bb.14:                               ;   in Loop: Header=BB33_9 Depth=1
	v_add_co_u32 v7, vcc_lo, v19, s6
	v_add_co_ci_u32_e32 v8, vcc_lo, s7, v20, vcc_lo
	v_add_co_u32 v33, vcc_lo, v21, s6
	v_add_co_ci_u32_e32 v34, vcc_lo, s7, v22, vcc_lo
	global_load_u8 v7, v[7:8], off
	global_load_u8 v8, v[33:34], off
	s_waitcnt vmcnt(1)
	v_lshl_or_b32 v32, v7, 16, v32
	s_waitcnt vmcnt(0)
	v_lshl_or_b32 v31, v8, 16, v31
.LBB33_15:                              ;   in Loop: Header=BB33_9 Depth=1
	s_or_b32 exec_lo, exec_lo, s0
	v_add_co_u32 v7, vcc_lo, v17, s6
	v_add_co_ci_u32_e32 v8, vcc_lo, s7, v18, vcc_lo
	s_delay_alu instid0(VALU_DEP_1) | instskip(SKIP_1) | instid1(VALU_DEP_1)
	v_cmp_gt_i64_e32 vcc_lo, s[4:5], v[7:8]
	v_cmp_gt_u64_e64 s0, 0x10000, v[7:8]
	s_and_b32 s9, vcc_lo, s0
	s_delay_alu instid0(SALU_CYCLE_1)
	s_and_saveexec_b32 s0, s9
	s_cbranch_execnz .LBB33_20
; %bb.16:                               ;   in Loop: Header=BB33_9 Depth=1
	s_or_b32 exec_lo, exec_lo, s0
	s_delay_alu instid0(SALU_CYCLE_1)
	s_mov_b32 s0, exec_lo
	v_cmpx_gt_u64_e64 s[2:3], v[1:2]
	s_cbranch_execnz .LBB33_21
.LBB33_17:                              ;   in Loop: Header=BB33_9 Depth=1
	s_or_b32 exec_lo, exec_lo, s0
	s_delay_alu instid0(SALU_CYCLE_1)
	s_mov_b32 s0, exec_lo
	v_cmpx_gt_u64_e64 s[2:3], v[3:4]
	s_cbranch_execnz .LBB33_22
.LBB33_18:                              ;   in Loop: Header=BB33_9 Depth=1
	s_or_b32 exec_lo, exec_lo, s0
	s_delay_alu instid0(SALU_CYCLE_1)
	s_mov_b32 s0, exec_lo
	v_cmpx_gt_u64_e64 s[2:3], v[5:6]
	s_cbranch_execnz .LBB33_23
.LBB33_19:                              ;   in Loop: Header=BB33_9 Depth=1
	s_or_b32 exec_lo, exec_lo, s0
	s_delay_alu instid0(SALU_CYCLE_1)
	s_mov_b32 s0, exec_lo
	v_cmpx_gt_u64_e64 s[2:3], v[7:8]
	s_cbranch_execz .LBB33_8
	s_branch .LBB33_24
.LBB33_20:                              ;   in Loop: Header=BB33_9 Depth=1
	v_add_co_u32 v33, vcc_lo, v13, s6
	v_add_co_ci_u32_e32 v34, vcc_lo, s7, v14, vcc_lo
	v_add_co_u32 v35, vcc_lo, v15, s6
	v_add_co_ci_u32_e32 v36, vcc_lo, s7, v16, vcc_lo
	global_load_u8 v33, v[33:34], off
	global_load_u8 v34, v[35:36], off
	s_waitcnt vmcnt(1)
	v_lshl_or_b32 v32, v33, 24, v32
	s_waitcnt vmcnt(0)
	v_lshl_or_b32 v31, v34, 24, v31
	s_or_b32 exec_lo, exec_lo, s0
	s_delay_alu instid0(SALU_CYCLE_1)
	s_mov_b32 s0, exec_lo
	v_cmpx_gt_u64_e64 s[2:3], v[1:2]
	s_cbranch_execz .LBB33_17
.LBB33_21:                              ;   in Loop: Header=BB33_9 Depth=1
	v_add_co_u32 v1, vcc_lo, v9, s6
	s_waitcnt vmcnt(0)
	v_mad_u16 v33, s8, v31, v32
	v_add_co_ci_u32_e32 v2, vcc_lo, s7, v10, vcc_lo
	global_store_b8 v[1:2], v33, off
	s_or_b32 exec_lo, exec_lo, s0
	s_delay_alu instid0(SALU_CYCLE_1)
	s_mov_b32 s0, exec_lo
	v_cmpx_gt_u64_e64 s[2:3], v[3:4]
	s_cbranch_execz .LBB33_18
.LBB33_22:                              ;   in Loop: Header=BB33_9 Depth=1
	s_waitcnt vmcnt(1)
	v_lshrrev_b32_e32 v1, 8, v32
	s_waitcnt vmcnt(0)
	v_lshrrev_b32_e32 v2, 8, v31
	s_delay_alu instid0(VALU_DEP_1) | instskip(SKIP_4) | instid1(SALU_CYCLE_1)
	v_mad_u16 v3, s8, v2, v1
	v_add_co_u32 v1, vcc_lo, v25, s6
	v_add_co_ci_u32_e32 v2, vcc_lo, s7, v26, vcc_lo
	global_store_b8 v[1:2], v3, off
	s_or_b32 exec_lo, exec_lo, s0
	s_mov_b32 s0, exec_lo
	v_cmpx_gt_u64_e64 s[2:3], v[5:6]
	s_cbranch_execz .LBB33_19
.LBB33_23:                              ;   in Loop: Header=BB33_9 Depth=1
	s_waitcnt vmcnt(1)
	v_lshrrev_b32_e32 v1, 16, v32
	s_waitcnt vmcnt(0)
	v_lshrrev_b32_e32 v2, 16, v31
	s_delay_alu instid0(VALU_DEP_1) | instskip(SKIP_4) | instid1(SALU_CYCLE_1)
	v_mad_u16 v3, s8, v2, v1
	v_add_co_u32 v1, vcc_lo, v19, s6
	v_add_co_ci_u32_e32 v2, vcc_lo, s7, v20, vcc_lo
	global_store_b8 v[1:2], v3, off
	s_or_b32 exec_lo, exec_lo, s0
	s_mov_b32 s0, exec_lo
	v_cmpx_gt_u64_e64 s[2:3], v[7:8]
	s_cbranch_execz .LBB33_8
.LBB33_24:                              ;   in Loop: Header=BB33_9 Depth=1
	s_waitcnt vmcnt(1)
	v_lshrrev_b32_e32 v1, 24, v32
	s_waitcnt vmcnt(0)
	v_lshrrev_b32_e32 v2, 24, v31
	s_delay_alu instid0(VALU_DEP_1)
	v_mad_u16 v3, s8, v2, v1
	v_add_co_u32 v1, vcc_lo, v13, s6
	v_add_co_ci_u32_e32 v2, vcc_lo, s7, v14, vcc_lo
	global_store_b8 v[1:2], v3, off
	s_branch .LBB33_8
.LBB33_25:
	s_nop 0
	s_sendmsg sendmsg(MSG_DEALLOC_VGPRS)
	s_endpgm
	.section	.rodata,"a",@progbits
	.p2align	6, 0x0
	.amdhsa_kernel _ZN2at6native12_GLOBAL__N_125multi_tensor_apply_kernelINS1_18TensorListMetadataILi3EEENS1_32PointwiseOpScalar0dTensorFunctorIhLi3ELi2ELi0EEEJSt10multipliesIhEhEEEvT_T0_DpT1_
		.amdhsa_group_segment_fixed_size 0
		.amdhsa_private_segment_fixed_size 0
		.amdhsa_kernarg_size 3408
		.amdhsa_user_sgpr_count 15
		.amdhsa_user_sgpr_dispatch_ptr 0
		.amdhsa_user_sgpr_queue_ptr 0
		.amdhsa_user_sgpr_kernarg_segment_ptr 1
		.amdhsa_user_sgpr_dispatch_id 0
		.amdhsa_user_sgpr_private_segment_size 0
		.amdhsa_wavefront_size32 1
		.amdhsa_uses_dynamic_stack 0
		.amdhsa_enable_private_segment 0
		.amdhsa_system_sgpr_workgroup_id_x 1
		.amdhsa_system_sgpr_workgroup_id_y 0
		.amdhsa_system_sgpr_workgroup_id_z 0
		.amdhsa_system_sgpr_workgroup_info 0
		.amdhsa_system_vgpr_workitem_id 0
		.amdhsa_next_free_vgpr 37
		.amdhsa_next_free_sgpr 21
		.amdhsa_reserve_vcc 1
		.amdhsa_float_round_mode_32 0
		.amdhsa_float_round_mode_16_64 0
		.amdhsa_float_denorm_mode_32 3
		.amdhsa_float_denorm_mode_16_64 3
		.amdhsa_dx10_clamp 1
		.amdhsa_ieee_mode 1
		.amdhsa_fp16_overflow 0
		.amdhsa_workgroup_processor_mode 1
		.amdhsa_memory_ordered 1
		.amdhsa_forward_progress 0
		.amdhsa_shared_vgpr_count 0
		.amdhsa_exception_fp_ieee_invalid_op 0
		.amdhsa_exception_fp_denorm_src 0
		.amdhsa_exception_fp_ieee_div_zero 0
		.amdhsa_exception_fp_ieee_overflow 0
		.amdhsa_exception_fp_ieee_underflow 0
		.amdhsa_exception_fp_ieee_inexact 0
		.amdhsa_exception_int_div_zero 0
	.end_amdhsa_kernel
	.section	.text._ZN2at6native12_GLOBAL__N_125multi_tensor_apply_kernelINS1_18TensorListMetadataILi3EEENS1_32PointwiseOpScalar0dTensorFunctorIhLi3ELi2ELi0EEEJSt10multipliesIhEhEEEvT_T0_DpT1_,"axG",@progbits,_ZN2at6native12_GLOBAL__N_125multi_tensor_apply_kernelINS1_18TensorListMetadataILi3EEENS1_32PointwiseOpScalar0dTensorFunctorIhLi3ELi2ELi0EEEJSt10multipliesIhEhEEEvT_T0_DpT1_,comdat
.Lfunc_end33:
	.size	_ZN2at6native12_GLOBAL__N_125multi_tensor_apply_kernelINS1_18TensorListMetadataILi3EEENS1_32PointwiseOpScalar0dTensorFunctorIhLi3ELi2ELi0EEEJSt10multipliesIhEhEEEvT_T0_DpT1_, .Lfunc_end33-_ZN2at6native12_GLOBAL__N_125multi_tensor_apply_kernelINS1_18TensorListMetadataILi3EEENS1_32PointwiseOpScalar0dTensorFunctorIhLi3ELi2ELi0EEEJSt10multipliesIhEhEEEvT_T0_DpT1_
                                        ; -- End function
	.section	.AMDGPU.csdata,"",@progbits
; Kernel info:
; codeLenInByte = 1804
; NumSgprs: 23
; NumVgprs: 37
; ScratchSize: 0
; MemoryBound: 0
; FloatMode: 240
; IeeeMode: 1
; LDSByteSize: 0 bytes/workgroup (compile time only)
; SGPRBlocks: 2
; VGPRBlocks: 4
; NumSGPRsForWavesPerEU: 23
; NumVGPRsForWavesPerEU: 37
; Occupancy: 16
; WaveLimiterHint : 0
; COMPUTE_PGM_RSRC2:SCRATCH_EN: 0
; COMPUTE_PGM_RSRC2:USER_SGPR: 15
; COMPUTE_PGM_RSRC2:TRAP_HANDLER: 0
; COMPUTE_PGM_RSRC2:TGID_X_EN: 1
; COMPUTE_PGM_RSRC2:TGID_Y_EN: 0
; COMPUTE_PGM_RSRC2:TGID_Z_EN: 0
; COMPUTE_PGM_RSRC2:TIDIG_COMP_CNT: 0
	.section	.text._ZN2at6native12_GLOBAL__N_125multi_tensor_apply_kernelINS1_18TensorListMetadataILi3EEENS1_32PointwiseOpScalar0dTensorFunctorIaLi3ELi2ELi0EEEJSt10multipliesIaEaEEEvT_T0_DpT1_,"axG",@progbits,_ZN2at6native12_GLOBAL__N_125multi_tensor_apply_kernelINS1_18TensorListMetadataILi3EEENS1_32PointwiseOpScalar0dTensorFunctorIaLi3ELi2ELi0EEEJSt10multipliesIaEaEEEvT_T0_DpT1_,comdat
	.globl	_ZN2at6native12_GLOBAL__N_125multi_tensor_apply_kernelINS1_18TensorListMetadataILi3EEENS1_32PointwiseOpScalar0dTensorFunctorIaLi3ELi2ELi0EEEJSt10multipliesIaEaEEEvT_T0_DpT1_ ; -- Begin function _ZN2at6native12_GLOBAL__N_125multi_tensor_apply_kernelINS1_18TensorListMetadataILi3EEENS1_32PointwiseOpScalar0dTensorFunctorIaLi3ELi2ELi0EEEJSt10multipliesIaEaEEEvT_T0_DpT1_
	.p2align	8
	.type	_ZN2at6native12_GLOBAL__N_125multi_tensor_apply_kernelINS1_18TensorListMetadataILi3EEENS1_32PointwiseOpScalar0dTensorFunctorIaLi3ELi2ELi0EEEJSt10multipliesIaEaEEEvT_T0_DpT1_,@function
_ZN2at6native12_GLOBAL__N_125multi_tensor_apply_kernelINS1_18TensorListMetadataILi3EEENS1_32PointwiseOpScalar0dTensorFunctorIaLi3ELi2ELi0EEEJSt10multipliesIaEaEEEvT_T0_DpT1_: ; @_ZN2at6native12_GLOBAL__N_125multi_tensor_apply_kernelINS1_18TensorListMetadataILi3EEENS1_32PointwiseOpScalar0dTensorFunctorIaLi3ELi2ELi0EEEJSt10multipliesIaEaEEEvT_T0_DpT1_
; %bb.0:
	v_dual_mov_b32 v1, s15 :: v_dual_mov_b32 v2, 0
	s_mul_i32 s4, s15, 3
	s_mul_hi_u32 s7, s15, 3
	s_load_b32 s2, s[0:1], 0xc48
	global_load_u8 v1, v1, s[0:1] offset:1536
	s_waitcnt lgkmcnt(0)
	s_lshr_b32 s3, s2, 16
	s_add_u32 s2, s0, s15
	s_addc_u32 s5, s1, 0
	s_add_u32 s4, s2, s4
	s_addc_u32 s5, s5, s7
	s_waitcnt vmcnt(0)
	v_readfirstlane_b32 s6, v1
	s_delay_alu instid0(VALU_DEP_1)
	s_lshl_b32 s2, s6, 3
	s_clause 0x1
	s_load_b64 s[14:15], s[0:1], s2 offset:0x180
	s_load_b64 s[6:7], s[0:1], s2 offset:0x300
	s_waitcnt lgkmcnt(0)
	global_load_u8 v1, v2, s[14:15]
	s_clause 0x2
	s_load_b32 s4, s[4:5], 0x740
	s_load_b64 s[8:9], s[0:1], s2 offset:0x0
	s_load_b64 s[18:19], s[0:1], s2 offset:0x480
	s_waitcnt lgkmcnt(0)
	s_ashr_i32 s5, s4, 31
	s_delay_alu instid0(SALU_CYCLE_1) | instskip(NEXT) | instid1(SALU_CYCLE_1)
	s_lshl_b64 s[10:11], s[4:5], 16
	s_add_u32 s12, s8, s10
	s_addc_u32 s13, s9, s11
	s_add_u32 s2, s14, s10
	s_add_u32 s15, s6, s10
	s_addc_u32 s16, s7, s11
	s_or_b32 s2, s15, s2
	s_delay_alu instid0(SALU_CYCLE_1) | instskip(NEXT) | instid1(SALU_CYCLE_1)
	s_and_b32 s2, s2, 3
	s_cmp_lg_u32 s2, 0
	s_cselect_b32 s2, -1, 0
	s_sub_u32 s4, s18, s10
	s_subb_u32 s5, s19, s11
	s_or_b64 s[18:19], s[18:19], s[12:13]
	s_mov_b32 s19, 0
	s_and_b32 s18, s18, 3
	s_delay_alu instid0(SALU_CYCLE_1) | instskip(SKIP_1) | instid1(SALU_CYCLE_1)
	s_cmp_lg_u64 s[18:19], 0
	s_cselect_b32 s14, -1, 0
	s_or_b32 s2, s2, s14
	s_delay_alu instid0(SALU_CYCLE_1)
	s_and_not1_b32 vcc_lo, exec_lo, s2
	s_mov_b32 s2, -1
	s_waitcnt vmcnt(0)
	v_readfirstlane_b32 s14, v1
	s_cbranch_vccz .LBB34_5
; %bb.1:
	v_lshlrev_b32_e32 v1, 2, v0
	s_mov_b32 s17, exec_lo
	s_delay_alu instid0(VALU_DEP_1)
	v_cmpx_gt_i64_e64 s[4:5], v[1:2]
	s_cbranch_execz .LBB34_4
; %bb.2:
	s_load_b32 s2, s[0:1], 0xc5c
	s_and_b32 s18, s14, 0xff
	s_and_b32 s19, s3, 0xff
	s_mov_b32 s20, 0
	s_mul_i32 s18, s18, s19
	s_waitcnt lgkmcnt(0)
	s_and_b32 s2, s2, 0xffff
	s_delay_alu instid0(SALU_CYCLE_1)
	s_lshl_b32 s19, s2, 2
.LBB34_3:                               ; =>This Inner Loop Header: Depth=1
	v_add_co_u32 v3, vcc_lo, s12, v1
	v_add_co_ci_u32_e32 v4, vcc_lo, s13, v2, vcc_lo
	v_add_co_u32 v5, vcc_lo, s15, v1
	v_add_co_ci_u32_e32 v6, vcc_lo, s16, v2, vcc_lo
	v_add_co_u32 v1, vcc_lo, s19, v1
	global_load_b32 v7, v[3:4], off
	global_load_b32 v5, v[5:6], off
	v_add_co_ci_u32_e32 v2, vcc_lo, 0, v2, vcc_lo
	s_delay_alu instid0(VALU_DEP_1) | instskip(SKIP_1) | instid1(VALU_DEP_1)
	v_cmp_le_i64_e32 vcc_lo, s[4:5], v[1:2]
	v_cmp_lt_u64_e64 s2, 0xffff, v[1:2]
	s_or_b32 s2, vcc_lo, s2
	s_delay_alu instid0(SALU_CYCLE_1) | instskip(NEXT) | instid1(SALU_CYCLE_1)
	s_and_b32 s2, exec_lo, s2
	s_or_b32 s20, s2, s20
	s_waitcnt vmcnt(1)
	v_lshrrev_b32_e32 v6, 8, v7
	s_waitcnt vmcnt(0)
	v_lshrrev_b32_e32 v8, 8, v5
	v_lshrrev_b32_e32 v9, 16, v7
	;; [unrolled: 1-line block ×5, first 2 shown]
	v_mad_u16 v6, s18, v8, v6
	v_mad_u16 v5, s18, v5, v7
	;; [unrolled: 1-line block ×3, first 2 shown]
	s_delay_alu instid0(VALU_DEP_4) | instskip(NEXT) | instid1(VALU_DEP_4)
	v_mad_u16 v7, s18, v12, v11
	v_and_b32_e32 v6, 0xff, v6
	s_delay_alu instid0(VALU_DEP_3) | instskip(NEXT) | instid1(VALU_DEP_3)
	v_and_b32_e32 v8, 0xff, v8
	v_lshlrev_b32_e32 v7, 24, v7
	s_delay_alu instid0(VALU_DEP_3) | instskip(NEXT) | instid1(VALU_DEP_3)
	v_perm_b32 v5, v6, v5, 0x6050400
	v_lshlrev_b32_e32 v6, 16, v8
	s_delay_alu instid0(VALU_DEP_1)
	v_or3_b32 v5, v5, v6, v7
	global_store_b32 v[3:4], v5, off
	s_and_not1_b32 exec_lo, exec_lo, s20
	s_cbranch_execnz .LBB34_3
.LBB34_4:
	s_or_b32 exec_lo, exec_lo, s17
	s_mov_b32 s2, 0
.LBB34_5:
	s_delay_alu instid0(SALU_CYCLE_1)
	s_and_not1_b32 vcc_lo, exec_lo, s2
	s_cbranch_vccnz .LBB34_25
; %bb.6:
	v_cmp_lt_i64_e64 s2, s[4:5], 1
	s_delay_alu instid0(VALU_DEP_1)
	s_and_b32 vcc_lo, exec_lo, s2
	s_cbranch_vccnz .LBB34_25
; %bb.7:
	s_load_b32 s0, s[0:1], 0xc5c
	v_add_co_u32 v1, s1, s10, v0
	s_delay_alu instid0(VALU_DEP_1)
	v_add_co_ci_u32_e64 v2, null, s11, 0, s1
	v_cmp_gt_u64_e64 s1, 0x10000, s[4:5]
	s_and_b32 s12, s14, 0xff
	s_and_b32 s13, s3, 0xff
	v_add_co_u32 v9, vcc_lo, s8, v1
	v_add_co_ci_u32_e32 v10, vcc_lo, s9, v2, vcc_lo
	v_add_co_u32 v11, vcc_lo, s6, v1
	v_add_co_ci_u32_e32 v12, vcc_lo, s7, v2, vcc_lo
	s_waitcnt lgkmcnt(0)
	s_and_b32 s0, s0, 0xffff
	s_and_b32 s1, s1, exec_lo
	s_mul_i32 s15, s0, 3
	s_cselect_b32 s3, s5, 0
	s_cselect_b32 s2, s4, 0x10000
	s_lshl_b32 s14, s0, 1
	s_lshl_b32 s1, s0, 2
	s_add_u32 s16, s10, s15
	s_addc_u32 s17, s11, 0
	v_add_co_u32 v3, s16, s16, v0
	s_delay_alu instid0(VALU_DEP_1) | instskip(SKIP_1) | instid1(VALU_DEP_2)
	v_add_co_ci_u32_e64 v4, null, s17, 0, s16
	s_add_u32 s10, s10, s14
	v_add_co_u32 v13, vcc_lo, s8, v3
	s_delay_alu instid0(VALU_DEP_2)
	v_add_co_ci_u32_e32 v14, vcc_lo, s9, v4, vcc_lo
	v_add_co_u32 v15, vcc_lo, s6, v3
	s_addc_u32 s11, s11, 0
	v_add_co_u32 v3, s10, s10, v0
	v_add_co_ci_u32_e32 v16, vcc_lo, s7, v4, vcc_lo
	v_add_co_ci_u32_e64 v4, null, s11, 0, s10
	s_delay_alu instid0(VALU_DEP_3) | instskip(SKIP_1) | instid1(VALU_DEP_3)
	v_add_co_u32 v19, vcc_lo, s8, v3
	v_add_co_u32 v17, s10, s15, v0
	v_add_co_ci_u32_e32 v20, vcc_lo, s9, v4, vcc_lo
	v_add_co_u32 v21, vcc_lo, s6, v3
	v_add_co_ci_u32_e32 v22, vcc_lo, s7, v4, vcc_lo
	v_add_co_u32 v1, vcc_lo, v1, s0
	v_add_co_ci_u32_e32 v2, vcc_lo, 0, v2, vcc_lo
	v_add_co_ci_u32_e64 v18, null, 0, 0, s10
	s_delay_alu instid0(VALU_DEP_3) | instskip(NEXT) | instid1(VALU_DEP_3)
	v_add_co_u32 v25, vcc_lo, s8, v1
	v_add_co_ci_u32_e32 v26, vcc_lo, s9, v2, vcc_lo
	v_add_co_u32 v23, s10, s14, v0
	v_add_co_u32 v27, vcc_lo, s6, v1
	v_add_co_u32 v29, s0, v0, s0
	v_add_co_ci_u32_e64 v24, null, 0, 0, s10
	v_add_co_ci_u32_e32 v28, vcc_lo, s7, v2, vcc_lo
	v_add_co_ci_u32_e64 v30, null, 0, 0, s0
	s_mul_i32 s8, s12, s13
	s_mov_b64 s[6:7], 0
	s_branch .LBB34_9
.LBB34_8:                               ;   in Loop: Header=BB34_9 Depth=1
	s_or_b32 exec_lo, exec_lo, s0
	s_add_u32 s6, s6, s1
	s_addc_u32 s7, s7, 0
	s_delay_alu instid0(SALU_CYCLE_1) | instskip(SKIP_1) | instid1(VALU_DEP_1)
	v_cmp_ge_i64_e64 s0, s[6:7], s[4:5]
	v_cmp_lt_u64_e64 s9, 0xffff, s[6:7]
	s_or_b32 s0, s0, s9
	s_delay_alu instid0(SALU_CYCLE_1)
	s_and_b32 vcc_lo, exec_lo, s0
	s_cbranch_vccnz .LBB34_25
.LBB34_9:                               ; =>This Inner Loop Header: Depth=1
	v_add_co_u32 v1, s0, v0, s6
	s_delay_alu instid0(VALU_DEP_1) | instskip(SKIP_2) | instid1(VALU_DEP_2)
	v_add_co_ci_u32_e64 v2, null, 0, s7, s0
	s_waitcnt vmcnt(0)
	v_dual_mov_b32 v31, 0 :: v_dual_mov_b32 v32, 0
	v_cmp_gt_i64_e32 vcc_lo, s[4:5], v[1:2]
	v_cmp_gt_u64_e64 s0, 0x10000, v[1:2]
	s_delay_alu instid0(VALU_DEP_1) | instskip(NEXT) | instid1(SALU_CYCLE_1)
	s_and_b32 s9, vcc_lo, s0
	s_and_saveexec_b32 s0, s9
	s_cbranch_execz .LBB34_11
; %bb.10:                               ;   in Loop: Header=BB34_9 Depth=1
	v_add_co_u32 v3, vcc_lo, v9, s6
	v_add_co_ci_u32_e32 v4, vcc_lo, s7, v10, vcc_lo
	v_add_co_u32 v5, vcc_lo, v11, s6
	v_add_co_ci_u32_e32 v6, vcc_lo, s7, v12, vcc_lo
	global_load_u8 v32, v[3:4], off
	global_load_u8 v31, v[5:6], off
.LBB34_11:                              ;   in Loop: Header=BB34_9 Depth=1
	s_or_b32 exec_lo, exec_lo, s0
	v_add_co_u32 v3, vcc_lo, v29, s6
	v_add_co_ci_u32_e32 v4, vcc_lo, s7, v30, vcc_lo
	s_delay_alu instid0(VALU_DEP_1) | instskip(SKIP_1) | instid1(VALU_DEP_1)
	v_cmp_gt_i64_e32 vcc_lo, s[4:5], v[3:4]
	v_cmp_gt_u64_e64 s0, 0x10000, v[3:4]
	s_and_b32 s9, vcc_lo, s0
	s_delay_alu instid0(SALU_CYCLE_1)
	s_and_saveexec_b32 s0, s9
	s_cbranch_execz .LBB34_13
; %bb.12:                               ;   in Loop: Header=BB34_9 Depth=1
	v_add_co_u32 v5, vcc_lo, v25, s6
	v_add_co_ci_u32_e32 v6, vcc_lo, s7, v26, vcc_lo
	v_add_co_u32 v7, vcc_lo, v27, s6
	v_add_co_ci_u32_e32 v8, vcc_lo, s7, v28, vcc_lo
	global_load_u8 v5, v[5:6], off
	global_load_u8 v6, v[7:8], off
	s_waitcnt vmcnt(1)
	v_lshl_or_b32 v32, v5, 8, v32
	s_waitcnt vmcnt(0)
	v_lshl_or_b32 v31, v6, 8, v31
.LBB34_13:                              ;   in Loop: Header=BB34_9 Depth=1
	s_or_b32 exec_lo, exec_lo, s0
	v_add_co_u32 v5, vcc_lo, v23, s6
	v_add_co_ci_u32_e32 v6, vcc_lo, s7, v24, vcc_lo
	s_delay_alu instid0(VALU_DEP_1) | instskip(SKIP_1) | instid1(VALU_DEP_1)
	v_cmp_gt_i64_e32 vcc_lo, s[4:5], v[5:6]
	v_cmp_gt_u64_e64 s0, 0x10000, v[5:6]
	s_and_b32 s9, vcc_lo, s0
	s_delay_alu instid0(SALU_CYCLE_1)
	s_and_saveexec_b32 s0, s9
	s_cbranch_execz .LBB34_15
; %bb.14:                               ;   in Loop: Header=BB34_9 Depth=1
	v_add_co_u32 v7, vcc_lo, v19, s6
	v_add_co_ci_u32_e32 v8, vcc_lo, s7, v20, vcc_lo
	v_add_co_u32 v33, vcc_lo, v21, s6
	v_add_co_ci_u32_e32 v34, vcc_lo, s7, v22, vcc_lo
	global_load_u8 v7, v[7:8], off
	global_load_u8 v8, v[33:34], off
	s_waitcnt vmcnt(1)
	v_lshl_or_b32 v32, v7, 16, v32
	s_waitcnt vmcnt(0)
	v_lshl_or_b32 v31, v8, 16, v31
.LBB34_15:                              ;   in Loop: Header=BB34_9 Depth=1
	s_or_b32 exec_lo, exec_lo, s0
	v_add_co_u32 v7, vcc_lo, v17, s6
	v_add_co_ci_u32_e32 v8, vcc_lo, s7, v18, vcc_lo
	s_delay_alu instid0(VALU_DEP_1) | instskip(SKIP_1) | instid1(VALU_DEP_1)
	v_cmp_gt_i64_e32 vcc_lo, s[4:5], v[7:8]
	v_cmp_gt_u64_e64 s0, 0x10000, v[7:8]
	s_and_b32 s9, vcc_lo, s0
	s_delay_alu instid0(SALU_CYCLE_1)
	s_and_saveexec_b32 s0, s9
	s_cbranch_execnz .LBB34_20
; %bb.16:                               ;   in Loop: Header=BB34_9 Depth=1
	s_or_b32 exec_lo, exec_lo, s0
	s_delay_alu instid0(SALU_CYCLE_1)
	s_mov_b32 s0, exec_lo
	v_cmpx_gt_u64_e64 s[2:3], v[1:2]
	s_cbranch_execnz .LBB34_21
.LBB34_17:                              ;   in Loop: Header=BB34_9 Depth=1
	s_or_b32 exec_lo, exec_lo, s0
	s_delay_alu instid0(SALU_CYCLE_1)
	s_mov_b32 s0, exec_lo
	v_cmpx_gt_u64_e64 s[2:3], v[3:4]
	s_cbranch_execnz .LBB34_22
.LBB34_18:                              ;   in Loop: Header=BB34_9 Depth=1
	s_or_b32 exec_lo, exec_lo, s0
	s_delay_alu instid0(SALU_CYCLE_1)
	s_mov_b32 s0, exec_lo
	v_cmpx_gt_u64_e64 s[2:3], v[5:6]
	s_cbranch_execnz .LBB34_23
.LBB34_19:                              ;   in Loop: Header=BB34_9 Depth=1
	s_or_b32 exec_lo, exec_lo, s0
	s_delay_alu instid0(SALU_CYCLE_1)
	s_mov_b32 s0, exec_lo
	v_cmpx_gt_u64_e64 s[2:3], v[7:8]
	s_cbranch_execz .LBB34_8
	s_branch .LBB34_24
.LBB34_20:                              ;   in Loop: Header=BB34_9 Depth=1
	v_add_co_u32 v33, vcc_lo, v13, s6
	v_add_co_ci_u32_e32 v34, vcc_lo, s7, v14, vcc_lo
	v_add_co_u32 v35, vcc_lo, v15, s6
	v_add_co_ci_u32_e32 v36, vcc_lo, s7, v16, vcc_lo
	global_load_u8 v33, v[33:34], off
	global_load_u8 v34, v[35:36], off
	s_waitcnt vmcnt(1)
	v_lshl_or_b32 v32, v33, 24, v32
	s_waitcnt vmcnt(0)
	v_lshl_or_b32 v31, v34, 24, v31
	s_or_b32 exec_lo, exec_lo, s0
	s_delay_alu instid0(SALU_CYCLE_1)
	s_mov_b32 s0, exec_lo
	v_cmpx_gt_u64_e64 s[2:3], v[1:2]
	s_cbranch_execz .LBB34_17
.LBB34_21:                              ;   in Loop: Header=BB34_9 Depth=1
	v_add_co_u32 v1, vcc_lo, v9, s6
	s_waitcnt vmcnt(0)
	v_mad_u16 v33, s8, v31, v32
	v_add_co_ci_u32_e32 v2, vcc_lo, s7, v10, vcc_lo
	global_store_b8 v[1:2], v33, off
	s_or_b32 exec_lo, exec_lo, s0
	s_delay_alu instid0(SALU_CYCLE_1)
	s_mov_b32 s0, exec_lo
	v_cmpx_gt_u64_e64 s[2:3], v[3:4]
	s_cbranch_execz .LBB34_18
.LBB34_22:                              ;   in Loop: Header=BB34_9 Depth=1
	s_waitcnt vmcnt(1)
	v_lshrrev_b32_e32 v1, 8, v32
	s_waitcnt vmcnt(0)
	v_lshrrev_b32_e32 v2, 8, v31
	s_delay_alu instid0(VALU_DEP_1) | instskip(SKIP_4) | instid1(SALU_CYCLE_1)
	v_mad_u16 v3, s8, v2, v1
	v_add_co_u32 v1, vcc_lo, v25, s6
	v_add_co_ci_u32_e32 v2, vcc_lo, s7, v26, vcc_lo
	global_store_b8 v[1:2], v3, off
	s_or_b32 exec_lo, exec_lo, s0
	s_mov_b32 s0, exec_lo
	v_cmpx_gt_u64_e64 s[2:3], v[5:6]
	s_cbranch_execz .LBB34_19
.LBB34_23:                              ;   in Loop: Header=BB34_9 Depth=1
	s_waitcnt vmcnt(1)
	v_lshrrev_b32_e32 v1, 16, v32
	s_waitcnt vmcnt(0)
	v_lshrrev_b32_e32 v2, 16, v31
	s_delay_alu instid0(VALU_DEP_1) | instskip(SKIP_4) | instid1(SALU_CYCLE_1)
	v_mad_u16 v3, s8, v2, v1
	v_add_co_u32 v1, vcc_lo, v19, s6
	v_add_co_ci_u32_e32 v2, vcc_lo, s7, v20, vcc_lo
	global_store_b8 v[1:2], v3, off
	s_or_b32 exec_lo, exec_lo, s0
	s_mov_b32 s0, exec_lo
	v_cmpx_gt_u64_e64 s[2:3], v[7:8]
	s_cbranch_execz .LBB34_8
.LBB34_24:                              ;   in Loop: Header=BB34_9 Depth=1
	s_waitcnt vmcnt(1)
	v_lshrrev_b32_e32 v1, 24, v32
	s_waitcnt vmcnt(0)
	v_lshrrev_b32_e32 v2, 24, v31
	s_delay_alu instid0(VALU_DEP_1)
	v_mad_u16 v3, s8, v2, v1
	v_add_co_u32 v1, vcc_lo, v13, s6
	v_add_co_ci_u32_e32 v2, vcc_lo, s7, v14, vcc_lo
	global_store_b8 v[1:2], v3, off
	s_branch .LBB34_8
.LBB34_25:
	s_nop 0
	s_sendmsg sendmsg(MSG_DEALLOC_VGPRS)
	s_endpgm
	.section	.rodata,"a",@progbits
	.p2align	6, 0x0
	.amdhsa_kernel _ZN2at6native12_GLOBAL__N_125multi_tensor_apply_kernelINS1_18TensorListMetadataILi3EEENS1_32PointwiseOpScalar0dTensorFunctorIaLi3ELi2ELi0EEEJSt10multipliesIaEaEEEvT_T0_DpT1_
		.amdhsa_group_segment_fixed_size 0
		.amdhsa_private_segment_fixed_size 0
		.amdhsa_kernarg_size 3408
		.amdhsa_user_sgpr_count 15
		.amdhsa_user_sgpr_dispatch_ptr 0
		.amdhsa_user_sgpr_queue_ptr 0
		.amdhsa_user_sgpr_kernarg_segment_ptr 1
		.amdhsa_user_sgpr_dispatch_id 0
		.amdhsa_user_sgpr_private_segment_size 0
		.amdhsa_wavefront_size32 1
		.amdhsa_uses_dynamic_stack 0
		.amdhsa_enable_private_segment 0
		.amdhsa_system_sgpr_workgroup_id_x 1
		.amdhsa_system_sgpr_workgroup_id_y 0
		.amdhsa_system_sgpr_workgroup_id_z 0
		.amdhsa_system_sgpr_workgroup_info 0
		.amdhsa_system_vgpr_workitem_id 0
		.amdhsa_next_free_vgpr 37
		.amdhsa_next_free_sgpr 21
		.amdhsa_reserve_vcc 1
		.amdhsa_float_round_mode_32 0
		.amdhsa_float_round_mode_16_64 0
		.amdhsa_float_denorm_mode_32 3
		.amdhsa_float_denorm_mode_16_64 3
		.amdhsa_dx10_clamp 1
		.amdhsa_ieee_mode 1
		.amdhsa_fp16_overflow 0
		.amdhsa_workgroup_processor_mode 1
		.amdhsa_memory_ordered 1
		.amdhsa_forward_progress 0
		.amdhsa_shared_vgpr_count 0
		.amdhsa_exception_fp_ieee_invalid_op 0
		.amdhsa_exception_fp_denorm_src 0
		.amdhsa_exception_fp_ieee_div_zero 0
		.amdhsa_exception_fp_ieee_overflow 0
		.amdhsa_exception_fp_ieee_underflow 0
		.amdhsa_exception_fp_ieee_inexact 0
		.amdhsa_exception_int_div_zero 0
	.end_amdhsa_kernel
	.section	.text._ZN2at6native12_GLOBAL__N_125multi_tensor_apply_kernelINS1_18TensorListMetadataILi3EEENS1_32PointwiseOpScalar0dTensorFunctorIaLi3ELi2ELi0EEEJSt10multipliesIaEaEEEvT_T0_DpT1_,"axG",@progbits,_ZN2at6native12_GLOBAL__N_125multi_tensor_apply_kernelINS1_18TensorListMetadataILi3EEENS1_32PointwiseOpScalar0dTensorFunctorIaLi3ELi2ELi0EEEJSt10multipliesIaEaEEEvT_T0_DpT1_,comdat
.Lfunc_end34:
	.size	_ZN2at6native12_GLOBAL__N_125multi_tensor_apply_kernelINS1_18TensorListMetadataILi3EEENS1_32PointwiseOpScalar0dTensorFunctorIaLi3ELi2ELi0EEEJSt10multipliesIaEaEEEvT_T0_DpT1_, .Lfunc_end34-_ZN2at6native12_GLOBAL__N_125multi_tensor_apply_kernelINS1_18TensorListMetadataILi3EEENS1_32PointwiseOpScalar0dTensorFunctorIaLi3ELi2ELi0EEEJSt10multipliesIaEaEEEvT_T0_DpT1_
                                        ; -- End function
	.section	.AMDGPU.csdata,"",@progbits
; Kernel info:
; codeLenInByte = 1804
; NumSgprs: 23
; NumVgprs: 37
; ScratchSize: 0
; MemoryBound: 0
; FloatMode: 240
; IeeeMode: 1
; LDSByteSize: 0 bytes/workgroup (compile time only)
; SGPRBlocks: 2
; VGPRBlocks: 4
; NumSGPRsForWavesPerEU: 23
; NumVGPRsForWavesPerEU: 37
; Occupancy: 16
; WaveLimiterHint : 0
; COMPUTE_PGM_RSRC2:SCRATCH_EN: 0
; COMPUTE_PGM_RSRC2:USER_SGPR: 15
; COMPUTE_PGM_RSRC2:TRAP_HANDLER: 0
; COMPUTE_PGM_RSRC2:TGID_X_EN: 1
; COMPUTE_PGM_RSRC2:TGID_Y_EN: 0
; COMPUTE_PGM_RSRC2:TGID_Z_EN: 0
; COMPUTE_PGM_RSRC2:TIDIG_COMP_CNT: 0
	.section	.text._ZN2at6native12_GLOBAL__N_125multi_tensor_apply_kernelINS1_18TensorListMetadataILi3EEENS1_32PointwiseOpScalar0dTensorFunctorIiLi3ELi2ELi0EEEJSt10multipliesIiEiEEEvT_T0_DpT1_,"axG",@progbits,_ZN2at6native12_GLOBAL__N_125multi_tensor_apply_kernelINS1_18TensorListMetadataILi3EEENS1_32PointwiseOpScalar0dTensorFunctorIiLi3ELi2ELi0EEEJSt10multipliesIiEiEEEvT_T0_DpT1_,comdat
	.globl	_ZN2at6native12_GLOBAL__N_125multi_tensor_apply_kernelINS1_18TensorListMetadataILi3EEENS1_32PointwiseOpScalar0dTensorFunctorIiLi3ELi2ELi0EEEJSt10multipliesIiEiEEEvT_T0_DpT1_ ; -- Begin function _ZN2at6native12_GLOBAL__N_125multi_tensor_apply_kernelINS1_18TensorListMetadataILi3EEENS1_32PointwiseOpScalar0dTensorFunctorIiLi3ELi2ELi0EEEJSt10multipliesIiEiEEEvT_T0_DpT1_
	.p2align	8
	.type	_ZN2at6native12_GLOBAL__N_125multi_tensor_apply_kernelINS1_18TensorListMetadataILi3EEENS1_32PointwiseOpScalar0dTensorFunctorIiLi3ELi2ELi0EEEJSt10multipliesIiEiEEEvT_T0_DpT1_,@function
_ZN2at6native12_GLOBAL__N_125multi_tensor_apply_kernelINS1_18TensorListMetadataILi3EEENS1_32PointwiseOpScalar0dTensorFunctorIiLi3ELi2ELi0EEEJSt10multipliesIiEiEEEvT_T0_DpT1_: ; @_ZN2at6native12_GLOBAL__N_125multi_tensor_apply_kernelINS1_18TensorListMetadataILi3EEENS1_32PointwiseOpScalar0dTensorFunctorIiLi3ELi2ELi0EEEJSt10multipliesIiEiEEEvT_T0_DpT1_
; %bb.0:
	v_mov_b32_e32 v1, s15
	s_add_u32 s2, s0, s15
	s_mul_hi_u32 s3, s15, 3
	s_mul_i32 s15, s15, 3
	s_addc_u32 s4, s1, 0
	global_load_u8 v1, v1, s[0:1] offset:1536
	s_load_b32 s8, s[0:1], 0xc4c
	s_add_u32 s2, s2, s15
	s_addc_u32 s3, s4, s3
	s_mov_b32 s23, 0
	s_load_b32 s2, s[2:3], 0x740
	s_mov_b32 s25, s23
	s_waitcnt vmcnt(0)
	v_readfirstlane_b32 s3, v1
	s_delay_alu instid0(VALU_DEP_1)
	s_lshl_b32 s3, s3, 3
	s_clause 0x3
	s_load_b64 s[10:11], s[0:1], s3 offset:0x0
	s_load_b64 s[18:19], s[0:1], s3 offset:0x180
	;; [unrolled: 1-line block ×4, first 2 shown]
	s_waitcnt lgkmcnt(0)
	s_ashr_i32 s3, s2, 31
	s_delay_alu instid0(SALU_CYCLE_1) | instskip(NEXT) | instid1(SALU_CYCLE_1)
	s_lshl_b64 s[4:5], s[2:3], 18
	s_add_u32 s14, s10, s4
	s_addc_u32 s15, s11, s5
	s_add_u32 s6, s18, s4
	s_and_b32 s22, s14, 15
	s_add_u32 s16, s12, s4
	s_addc_u32 s17, s13, s5
	s_or_b32 s6, s16, s6
	s_load_b32 s9, s[18:19], 0x0
	s_and_b32 s6, s6, 15
	s_delay_alu instid0(SALU_CYCLE_1) | instskip(SKIP_2) | instid1(SALU_CYCLE_1)
	s_cmp_lg_u32 s6, 0
	s_cselect_b32 s26, -1, 0
	s_lshl_b64 s[2:3], s[2:3], 16
	s_sub_u32 s6, s20, s2
	s_subb_u32 s7, s21, s3
	s_and_b32 s24, s20, 3
	s_delay_alu instid0(SALU_CYCLE_1) | instskip(NEXT) | instid1(SALU_CYCLE_1)
	s_or_b64 s[2:3], s[22:23], s[24:25]
	s_cmp_lg_u64 s[2:3], 0
	s_cselect_b32 s2, -1, 0
	s_delay_alu instid0(SALU_CYCLE_1) | instskip(NEXT) | instid1(SALU_CYCLE_1)
	s_or_b32 s2, s26, s2
	s_and_not1_b32 vcc_lo, exec_lo, s2
	s_mov_b32 s2, -1
	s_cbranch_vccz .LBB35_5
; %bb.1:
	v_dual_mov_b32 v2, 0 :: v_dual_lshlrev_b32 v1, 2, v0
	s_mov_b32 s18, exec_lo
	s_delay_alu instid0(VALU_DEP_1)
	v_cmpx_gt_i64_e64 s[6:7], v[1:2]
	s_cbranch_execz .LBB35_4
; %bb.2:
	s_load_b32 s2, s[0:1], 0xc5c
	v_lshlrev_b32_e32 v3, 4, v0
	s_waitcnt lgkmcnt(0)
	s_mul_i32 s19, s9, s8
	s_mov_b32 s20, 0
	s_and_b32 s2, s2, 0xffff
	s_delay_alu instid0(SALU_CYCLE_1)
	v_add_lshl_u32 v1, v0, s2, 2
	s_lshl_b32 s21, s2, 2
	s_lshl_b32 s22, s2, 4
	s_set_inst_prefetch_distance 0x1
	.p2align	6
.LBB35_3:                               ; =>This Inner Loop Header: Depth=1
	v_add_co_u32 v15, s2, s14, v3
	s_delay_alu instid0(VALU_DEP_1) | instskip(SKIP_1) | instid1(VALU_DEP_1)
	v_add_co_ci_u32_e64 v16, null, s15, 0, s2
	v_add_co_u32 v8, s2, s16, v3
	v_add_co_ci_u32_e64 v9, null, s17, 0, s2
	global_load_b128 v[4:7], v[15:16], off
	global_load_b128 v[8:11], v[8:9], off
	v_cmp_le_i64_e32 vcc_lo, s[6:7], v[1:2]
	v_cmp_lt_u64_e64 s2, 0xffff, v[1:2]
	v_add_co_u32 v1, s3, v1, s21
	s_delay_alu instid0(VALU_DEP_1) | instskip(NEXT) | instid1(VALU_DEP_3)
	v_add_co_ci_u32_e64 v2, s3, 0, v2, s3
	s_or_b32 s2, vcc_lo, s2
	s_add_u32 s14, s14, s22
	s_addc_u32 s15, s15, 0
	s_add_u32 s16, s16, s22
	s_addc_u32 s17, s17, 0
	s_and_b32 s2, exec_lo, s2
	s_delay_alu instid0(SALU_CYCLE_1) | instskip(SKIP_3) | instid1(VALU_DEP_1)
	s_or_b32 s20, s2, s20
	s_waitcnt vmcnt(1)
	v_mov_b32_e32 v12, v7
	s_waitcnt vmcnt(0)
	v_mad_u64_u32 v[17:18], null, v11, s19, v[12:13]
	v_mad_u64_u32 v[11:12], null, v8, s19, v[4:5]
	;; [unrolled: 1-line block ×4, first 2 shown]
	s_delay_alu instid0(VALU_DEP_4)
	v_mov_b32_e32 v14, v17
	global_store_b128 v[15:16], v[11:14], off
	s_and_not1_b32 exec_lo, exec_lo, s20
	s_cbranch_execnz .LBB35_3
.LBB35_4:
	s_set_inst_prefetch_distance 0x2
	s_or_b32 exec_lo, exec_lo, s18
	s_mov_b32 s2, 0
.LBB35_5:
	s_delay_alu instid0(SALU_CYCLE_1)
	s_and_not1_b32 vcc_lo, exec_lo, s2
	s_cbranch_vccnz .LBB35_25
; %bb.6:
	v_cmp_lt_i64_e64 s2, s[6:7], 1
	s_delay_alu instid0(VALU_DEP_1)
	s_and_b32 vcc_lo, exec_lo, s2
	s_cbranch_vccnz .LBB35_25
; %bb.7:
	s_load_b32 s0, s[0:1], 0xc5c
	v_dual_mov_b32 v1, 0 :: v_dual_lshlrev_b32 v2, 2, v0
	v_cmp_gt_u64_e64 s2, 0x10000, s[6:7]
	s_waitcnt lgkmcnt(0)
	s_mul_i32 s1, s9, s8
	s_mov_b32 s3, 0
	v_mov_b32_e32 v3, v1
	v_add_co_u32 v12, s8, s10, v2
	s_delay_alu instid0(VALU_DEP_1) | instskip(SKIP_1) | instid1(VALU_DEP_1)
	v_add_co_ci_u32_e64 v13, null, s11, 0, s8
	v_add_co_u32 v14, s8, s12, v2
	v_add_co_ci_u32_e64 v15, null, s13, 0, s8
	s_and_b32 s14, s0, 0xffff
	s_and_b32 s0, s2, exec_lo
	v_mad_u64_u32 v[4:5], null, s14, 12, v[2:3]
	s_cselect_b32 s9, s7, 0
	s_cselect_b32 s8, s6, 0x10000
	s_lshl_b32 s0, s14, 3
	s_lshl_b32 s2, s14, 2
	v_add_co_u32 v2, s0, s0, v2
	s_delay_alu instid0(VALU_DEP_2) | instskip(NEXT) | instid1(VALU_DEP_3)
	v_add_co_u32 v16, vcc_lo, s10, v4
	v_add_co_ci_u32_e32 v17, vcc_lo, s11, v5, vcc_lo
	v_add_co_u32 v18, vcc_lo, s12, v4
	v_add_lshl_u32 v4, v0, s14, 2
	v_add_co_ci_u32_e64 v3, null, 0, 0, s0
	v_add_co_ci_u32_e32 v19, vcc_lo, s13, v5, vcc_lo
	v_add_co_u32 v20, vcc_lo, s10, v2
	s_delay_alu instid0(VALU_DEP_4) | instskip(NEXT) | instid1(VALU_DEP_4)
	v_add_co_u32 v24, s0, s10, v4
	v_add_co_ci_u32_e32 v21, vcc_lo, s11, v3, vcc_lo
	v_add_co_u32 v22, vcc_lo, s12, v2
	v_add_co_ci_u32_e64 v25, null, s11, 0, s0
	v_add_co_u32 v26, s0, s12, v4
	v_add_co_ci_u32_e32 v23, vcc_lo, s13, v3, vcc_lo
	v_add_co_ci_u32_e64 v27, null, s13, 0, s0
	s_lshl_b32 s15, s14, 1
	s_mul_i32 s16, s14, 3
	s_lshl_b32 s12, s14, 4
	s_mov_b64 s[10:11], s[2:3]
	s_branch .LBB35_9
.LBB35_8:                               ;   in Loop: Header=BB35_9 Depth=1
	s_or_b32 exec_lo, exec_lo, s0
	v_add_co_u32 v12, vcc_lo, v12, s12
	v_add_co_ci_u32_e32 v13, vcc_lo, 0, v13, vcc_lo
	v_add_co_u32 v14, vcc_lo, v14, s12
	v_add_co_ci_u32_e32 v15, vcc_lo, 0, v15, vcc_lo
	;; [unrolled: 2-line block ×7, first 2 shown]
	v_cmp_ge_i64_e64 s0, s[10:11], s[6:7]
	v_cmp_lt_u64_e64 s3, 0xffff, s[10:11]
	v_add_co_u32 v24, vcc_lo, v24, s12
	v_add_co_ci_u32_e32 v25, vcc_lo, 0, v25, vcc_lo
	v_add_co_u32 v26, vcc_lo, v26, s12
	v_add_co_ci_u32_e32 v27, vcc_lo, 0, v27, vcc_lo
	s_or_b32 s0, s0, s3
	s_add_u32 s10, s10, s2
	s_addc_u32 s11, s11, 0
	s_and_b32 vcc_lo, exec_lo, s0
	s_cbranch_vccnz .LBB35_25
.LBB35_9:                               ; =>This Inner Loop Header: Depth=1
	v_cmp_gt_i64_e32 vcc_lo, s[6:7], v[0:1]
	v_cmp_gt_u64_e64 s0, 0x10000, v[0:1]
	s_waitcnt vmcnt(0)
	v_mov_b32_e32 v28, 0
	v_mov_b32_e32 v2, 0
	s_delay_alu instid0(VALU_DEP_3) | instskip(NEXT) | instid1(SALU_CYCLE_1)
	s_and_b32 s3, vcc_lo, s0
	s_and_saveexec_b32 s0, s3
	s_cbranch_execz .LBB35_11
; %bb.10:                               ;   in Loop: Header=BB35_9 Depth=1
	v_add_co_u32 v2, vcc_lo, v12, s4
	v_add_co_ci_u32_e32 v3, vcc_lo, s5, v13, vcc_lo
	v_add_co_u32 v4, vcc_lo, v14, s4
	v_add_co_ci_u32_e32 v5, vcc_lo, s5, v15, vcc_lo
	global_load_b32 v2, v[2:3], off
	global_load_b32 v28, v[4:5], off
.LBB35_11:                              ;   in Loop: Header=BB35_9 Depth=1
	s_or_b32 exec_lo, exec_lo, s0
	v_add_co_u32 v3, vcc_lo, s14, v0
	v_add_co_ci_u32_e32 v4, vcc_lo, 0, v1, vcc_lo
	v_dual_mov_b32 v29, 0 :: v_dual_mov_b32 v30, 0
	v_mov_b32_e32 v5, 0
	s_delay_alu instid0(VALU_DEP_3) | instskip(SKIP_1) | instid1(VALU_DEP_1)
	v_cmp_gt_i64_e32 vcc_lo, s[6:7], v[3:4]
	v_cmp_gt_u64_e64 s0, 0x10000, v[3:4]
	s_and_b32 s3, vcc_lo, s0
	s_delay_alu instid0(SALU_CYCLE_1)
	s_and_saveexec_b32 s0, s3
	s_cbranch_execz .LBB35_13
; %bb.12:                               ;   in Loop: Header=BB35_9 Depth=1
	v_add_co_u32 v5, vcc_lo, v24, s4
	v_add_co_ci_u32_e32 v6, vcc_lo, s5, v25, vcc_lo
	v_add_co_u32 v7, vcc_lo, v26, s4
	v_add_co_ci_u32_e32 v8, vcc_lo, s5, v27, vcc_lo
	global_load_b32 v5, v[5:6], off
	global_load_b32 v30, v[7:8], off
.LBB35_13:                              ;   in Loop: Header=BB35_9 Depth=1
	s_or_b32 exec_lo, exec_lo, s0
	v_add_co_u32 v6, vcc_lo, s15, v0
	v_add_co_ci_u32_e32 v7, vcc_lo, 0, v1, vcc_lo
	v_mov_b32_e32 v8, 0
	s_delay_alu instid0(VALU_DEP_2) | instskip(SKIP_1) | instid1(VALU_DEP_1)
	v_cmp_gt_i64_e32 vcc_lo, s[6:7], v[6:7]
	v_cmp_gt_u64_e64 s0, 0x10000, v[6:7]
	s_and_b32 s3, vcc_lo, s0
	s_delay_alu instid0(SALU_CYCLE_1)
	s_and_saveexec_b32 s0, s3
	s_cbranch_execz .LBB35_15
; %bb.14:                               ;   in Loop: Header=BB35_9 Depth=1
	v_add_co_u32 v8, vcc_lo, v20, s4
	v_add_co_ci_u32_e32 v9, vcc_lo, s5, v21, vcc_lo
	v_add_co_u32 v10, vcc_lo, v22, s4
	v_add_co_ci_u32_e32 v11, vcc_lo, s5, v23, vcc_lo
	global_load_b32 v8, v[8:9], off
	global_load_b32 v29, v[10:11], off
.LBB35_15:                              ;   in Loop: Header=BB35_9 Depth=1
	s_or_b32 exec_lo, exec_lo, s0
	v_add_co_u32 v9, vcc_lo, s16, v0
	v_add_co_ci_u32_e32 v10, vcc_lo, 0, v1, vcc_lo
	v_mov_b32_e32 v31, 0
	v_mov_b32_e32 v11, 0
	s_delay_alu instid0(VALU_DEP_3) | instskip(SKIP_1) | instid1(VALU_DEP_1)
	v_cmp_gt_i64_e32 vcc_lo, s[6:7], v[9:10]
	v_cmp_gt_u64_e64 s0, 0x10000, v[9:10]
	s_and_b32 s3, vcc_lo, s0
	s_delay_alu instid0(SALU_CYCLE_1)
	s_and_saveexec_b32 s0, s3
	s_cbranch_execnz .LBB35_20
; %bb.16:                               ;   in Loop: Header=BB35_9 Depth=1
	s_or_b32 exec_lo, exec_lo, s0
	s_delay_alu instid0(SALU_CYCLE_1)
	s_mov_b32 s0, exec_lo
	v_cmpx_gt_u64_e64 s[8:9], v[0:1]
	s_cbranch_execnz .LBB35_21
.LBB35_17:                              ;   in Loop: Header=BB35_9 Depth=1
	s_or_b32 exec_lo, exec_lo, s0
	s_delay_alu instid0(SALU_CYCLE_1)
	s_mov_b32 s0, exec_lo
	v_cmpx_gt_u64_e64 s[8:9], v[3:4]
	s_cbranch_execnz .LBB35_22
.LBB35_18:                              ;   in Loop: Header=BB35_9 Depth=1
	s_or_b32 exec_lo, exec_lo, s0
	s_delay_alu instid0(SALU_CYCLE_1)
	s_mov_b32 s0, exec_lo
	v_cmpx_gt_u64_e64 s[8:9], v[6:7]
	s_cbranch_execnz .LBB35_23
.LBB35_19:                              ;   in Loop: Header=BB35_9 Depth=1
	s_or_b32 exec_lo, exec_lo, s0
	s_delay_alu instid0(SALU_CYCLE_1)
	s_mov_b32 s0, exec_lo
	v_cmpx_gt_u64_e64 s[8:9], v[9:10]
	s_cbranch_execz .LBB35_8
	s_branch .LBB35_24
.LBB35_20:                              ;   in Loop: Header=BB35_9 Depth=1
	v_add_co_u32 v31, vcc_lo, v16, s4
	v_add_co_ci_u32_e32 v32, vcc_lo, s5, v17, vcc_lo
	v_add_co_u32 v33, vcc_lo, v18, s4
	v_add_co_ci_u32_e32 v34, vcc_lo, s5, v19, vcc_lo
	global_load_b32 v11, v[31:32], off
	global_load_b32 v31, v[33:34], off
	s_or_b32 exec_lo, exec_lo, s0
	s_delay_alu instid0(SALU_CYCLE_1)
	s_mov_b32 s0, exec_lo
	v_cmpx_gt_u64_e64 s[8:9], v[0:1]
	s_cbranch_execz .LBB35_17
.LBB35_21:                              ;   in Loop: Header=BB35_9 Depth=1
	s_waitcnt vmcnt(0)
	v_mad_u64_u32 v[32:33], null, v28, s1, v[2:3]
	v_add_co_u32 v33, vcc_lo, v12, s4
	v_add_co_ci_u32_e32 v34, vcc_lo, s5, v13, vcc_lo
	global_store_b32 v[33:34], v32, off
	s_or_b32 exec_lo, exec_lo, s0
	s_delay_alu instid0(SALU_CYCLE_1)
	s_mov_b32 s0, exec_lo
	v_cmpx_gt_u64_e64 s[8:9], v[3:4]
	s_cbranch_execz .LBB35_18
.LBB35_22:                              ;   in Loop: Header=BB35_9 Depth=1
	s_waitcnt vmcnt(0)
	v_mad_u64_u32 v[2:3], null, v30, s1, v[5:6]
	v_add_co_u32 v3, vcc_lo, v24, s4
	v_add_co_ci_u32_e32 v4, vcc_lo, s5, v25, vcc_lo
	global_store_b32 v[3:4], v2, off
	s_or_b32 exec_lo, exec_lo, s0
	s_delay_alu instid0(SALU_CYCLE_1)
	s_mov_b32 s0, exec_lo
	v_cmpx_gt_u64_e64 s[8:9], v[6:7]
	s_cbranch_execz .LBB35_19
.LBB35_23:                              ;   in Loop: Header=BB35_9 Depth=1
	s_waitcnt vmcnt(0)
	v_mad_u64_u32 v[2:3], null, v29, s1, v[8:9]
	v_add_co_u32 v3, vcc_lo, v20, s4
	v_add_co_ci_u32_e32 v4, vcc_lo, s5, v21, vcc_lo
	global_store_b32 v[3:4], v2, off
	s_or_b32 exec_lo, exec_lo, s0
	s_delay_alu instid0(SALU_CYCLE_1)
	s_mov_b32 s0, exec_lo
	v_cmpx_gt_u64_e64 s[8:9], v[9:10]
	s_cbranch_execz .LBB35_8
.LBB35_24:                              ;   in Loop: Header=BB35_9 Depth=1
	s_waitcnt vmcnt(0)
	v_mad_u64_u32 v[2:3], null, v31, s1, v[11:12]
	v_add_co_u32 v3, vcc_lo, v16, s4
	v_add_co_ci_u32_e32 v4, vcc_lo, s5, v17, vcc_lo
	global_store_b32 v[3:4], v2, off
	s_branch .LBB35_8
.LBB35_25:
	s_nop 0
	s_sendmsg sendmsg(MSG_DEALLOC_VGPRS)
	s_endpgm
	.section	.rodata,"a",@progbits
	.p2align	6, 0x0
	.amdhsa_kernel _ZN2at6native12_GLOBAL__N_125multi_tensor_apply_kernelINS1_18TensorListMetadataILi3EEENS1_32PointwiseOpScalar0dTensorFunctorIiLi3ELi2ELi0EEEJSt10multipliesIiEiEEEvT_T0_DpT1_
		.amdhsa_group_segment_fixed_size 0
		.amdhsa_private_segment_fixed_size 0
		.amdhsa_kernarg_size 3408
		.amdhsa_user_sgpr_count 15
		.amdhsa_user_sgpr_dispatch_ptr 0
		.amdhsa_user_sgpr_queue_ptr 0
		.amdhsa_user_sgpr_kernarg_segment_ptr 1
		.amdhsa_user_sgpr_dispatch_id 0
		.amdhsa_user_sgpr_private_segment_size 0
		.amdhsa_wavefront_size32 1
		.amdhsa_uses_dynamic_stack 0
		.amdhsa_enable_private_segment 0
		.amdhsa_system_sgpr_workgroup_id_x 1
		.amdhsa_system_sgpr_workgroup_id_y 0
		.amdhsa_system_sgpr_workgroup_id_z 0
		.amdhsa_system_sgpr_workgroup_info 0
		.amdhsa_system_vgpr_workitem_id 0
		.amdhsa_next_free_vgpr 35
		.amdhsa_next_free_sgpr 27
		.amdhsa_reserve_vcc 1
		.amdhsa_float_round_mode_32 0
		.amdhsa_float_round_mode_16_64 0
		.amdhsa_float_denorm_mode_32 3
		.amdhsa_float_denorm_mode_16_64 3
		.amdhsa_dx10_clamp 1
		.amdhsa_ieee_mode 1
		.amdhsa_fp16_overflow 0
		.amdhsa_workgroup_processor_mode 1
		.amdhsa_memory_ordered 1
		.amdhsa_forward_progress 0
		.amdhsa_shared_vgpr_count 0
		.amdhsa_exception_fp_ieee_invalid_op 0
		.amdhsa_exception_fp_denorm_src 0
		.amdhsa_exception_fp_ieee_div_zero 0
		.amdhsa_exception_fp_ieee_overflow 0
		.amdhsa_exception_fp_ieee_underflow 0
		.amdhsa_exception_fp_ieee_inexact 0
		.amdhsa_exception_int_div_zero 0
	.end_amdhsa_kernel
	.section	.text._ZN2at6native12_GLOBAL__N_125multi_tensor_apply_kernelINS1_18TensorListMetadataILi3EEENS1_32PointwiseOpScalar0dTensorFunctorIiLi3ELi2ELi0EEEJSt10multipliesIiEiEEEvT_T0_DpT1_,"axG",@progbits,_ZN2at6native12_GLOBAL__N_125multi_tensor_apply_kernelINS1_18TensorListMetadataILi3EEENS1_32PointwiseOpScalar0dTensorFunctorIiLi3ELi2ELi0EEEJSt10multipliesIiEiEEEvT_T0_DpT1_,comdat
.Lfunc_end35:
	.size	_ZN2at6native12_GLOBAL__N_125multi_tensor_apply_kernelINS1_18TensorListMetadataILi3EEENS1_32PointwiseOpScalar0dTensorFunctorIiLi3ELi2ELi0EEEJSt10multipliesIiEiEEEvT_T0_DpT1_, .Lfunc_end35-_ZN2at6native12_GLOBAL__N_125multi_tensor_apply_kernelINS1_18TensorListMetadataILi3EEENS1_32PointwiseOpScalar0dTensorFunctorIiLi3ELi2ELi0EEEJSt10multipliesIiEiEEEvT_T0_DpT1_
                                        ; -- End function
	.section	.AMDGPU.csdata,"",@progbits
; Kernel info:
; codeLenInByte = 1676
; NumSgprs: 29
; NumVgprs: 35
; ScratchSize: 0
; MemoryBound: 0
; FloatMode: 240
; IeeeMode: 1
; LDSByteSize: 0 bytes/workgroup (compile time only)
; SGPRBlocks: 3
; VGPRBlocks: 4
; NumSGPRsForWavesPerEU: 29
; NumVGPRsForWavesPerEU: 35
; Occupancy: 16
; WaveLimiterHint : 0
; COMPUTE_PGM_RSRC2:SCRATCH_EN: 0
; COMPUTE_PGM_RSRC2:USER_SGPR: 15
; COMPUTE_PGM_RSRC2:TRAP_HANDLER: 0
; COMPUTE_PGM_RSRC2:TGID_X_EN: 1
; COMPUTE_PGM_RSRC2:TGID_Y_EN: 0
; COMPUTE_PGM_RSRC2:TGID_Z_EN: 0
; COMPUTE_PGM_RSRC2:TIDIG_COMP_CNT: 0
	.section	.text._ZN2at6native12_GLOBAL__N_125multi_tensor_apply_kernelINS1_18TensorListMetadataILi3EEENS1_32PointwiseOpScalar0dTensorFunctorIlLi3ELi2ELi0EEEJSt10multipliesIlElEEEvT_T0_DpT1_,"axG",@progbits,_ZN2at6native12_GLOBAL__N_125multi_tensor_apply_kernelINS1_18TensorListMetadataILi3EEENS1_32PointwiseOpScalar0dTensorFunctorIlLi3ELi2ELi0EEEJSt10multipliesIlElEEEvT_T0_DpT1_,comdat
	.globl	_ZN2at6native12_GLOBAL__N_125multi_tensor_apply_kernelINS1_18TensorListMetadataILi3EEENS1_32PointwiseOpScalar0dTensorFunctorIlLi3ELi2ELi0EEEJSt10multipliesIlElEEEvT_T0_DpT1_ ; -- Begin function _ZN2at6native12_GLOBAL__N_125multi_tensor_apply_kernelINS1_18TensorListMetadataILi3EEENS1_32PointwiseOpScalar0dTensorFunctorIlLi3ELi2ELi0EEEJSt10multipliesIlElEEEvT_T0_DpT1_
	.p2align	8
	.type	_ZN2at6native12_GLOBAL__N_125multi_tensor_apply_kernelINS1_18TensorListMetadataILi3EEENS1_32PointwiseOpScalar0dTensorFunctorIlLi3ELi2ELi0EEEJSt10multipliesIlElEEEvT_T0_DpT1_,@function
_ZN2at6native12_GLOBAL__N_125multi_tensor_apply_kernelINS1_18TensorListMetadataILi3EEENS1_32PointwiseOpScalar0dTensorFunctorIlLi3ELi2ELi0EEEJSt10multipliesIlElEEEvT_T0_DpT1_: ; @_ZN2at6native12_GLOBAL__N_125multi_tensor_apply_kernelINS1_18TensorListMetadataILi3EEENS1_32PointwiseOpScalar0dTensorFunctorIlLi3ELi2ELi0EEEJSt10multipliesIlElEEEvT_T0_DpT1_
; %bb.0:
	v_mov_b32_e32 v1, s15
	s_add_u32 s2, s0, s15
	s_mul_hi_u32 s3, s15, 3
	s_mul_i32 s15, s15, 3
	s_addc_u32 s4, s1, 0
	global_load_u8 v1, v1, s[0:1] offset:1536
	s_load_b64 s[8:9], s[0:1], 0xc50
	s_add_u32 s2, s2, s15
	s_addc_u32 s3, s4, s3
	s_mov_b32 s23, 0
	s_load_b32 s2, s[2:3], 0x740
	s_mov_b32 s25, s23
	s_waitcnt vmcnt(0)
	v_readfirstlane_b32 s3, v1
	s_delay_alu instid0(VALU_DEP_1)
	s_lshl_b32 s3, s3, 3
	s_clause 0x3
	s_load_b64 s[10:11], s[0:1], s3 offset:0x0
	s_load_b64 s[14:15], s[0:1], s3 offset:0x180
	;; [unrolled: 1-line block ×4, first 2 shown]
	s_waitcnt lgkmcnt(0)
	s_ashr_i32 s3, s2, 31
	s_delay_alu instid0(SALU_CYCLE_1) | instskip(NEXT) | instid1(SALU_CYCLE_1)
	s_lshl_b64 s[4:5], s[2:3], 19
	s_add_u32 s16, s10, s4
	s_addc_u32 s17, s11, s5
	s_add_u32 s6, s14, s4
	s_and_b32 s22, s16, 31
	s_add_u32 s18, s12, s4
	s_addc_u32 s19, s13, s5
	s_or_b32 s6, s18, s6
	s_load_b64 s[14:15], s[14:15], 0x0
	s_and_b32 s6, s6, 31
	s_delay_alu instid0(SALU_CYCLE_1) | instskip(SKIP_2) | instid1(SALU_CYCLE_1)
	s_cmp_lg_u32 s6, 0
	s_cselect_b32 s26, -1, 0
	s_lshl_b64 s[2:3], s[2:3], 16
	s_sub_u32 s6, s20, s2
	s_subb_u32 s7, s21, s3
	s_and_b32 s24, s20, 3
	s_delay_alu instid0(SALU_CYCLE_1) | instskip(NEXT) | instid1(SALU_CYCLE_1)
	s_or_b64 s[2:3], s[22:23], s[24:25]
	s_cmp_lg_u64 s[2:3], 0
	s_cselect_b32 s2, -1, 0
	s_delay_alu instid0(SALU_CYCLE_1) | instskip(NEXT) | instid1(SALU_CYCLE_1)
	s_or_b32 s2, s26, s2
	s_and_not1_b32 vcc_lo, exec_lo, s2
	s_mov_b32 s2, -1
	s_cbranch_vccz .LBB36_5
; %bb.1:
	v_dual_mov_b32 v2, 0 :: v_dual_lshlrev_b32 v1, 2, v0
	s_mov_b32 s20, exec_lo
	s_delay_alu instid0(VALU_DEP_1)
	v_cmpx_gt_i64_e64 s[6:7], v[1:2]
	s_cbranch_execz .LBB36_4
; %bb.2:
	s_load_b32 s2, s[0:1], 0xc64
	s_waitcnt lgkmcnt(0)
	s_mul_i32 s3, s14, s9
	s_mul_hi_u32 s22, s14, s8
	v_lshlrev_b32_e32 v3, 5, v0
	s_mul_i32 s23, s15, s8
	s_add_i32 s3, s22, s3
	s_mul_i32 s21, s14, s8
	s_add_i32 s22, s3, s23
	s_mov_b32 s23, 0
	s_and_b32 s2, s2, 0xffff
	s_delay_alu instid0(SALU_CYCLE_1)
	v_add_lshl_u32 v1, v0, s2, 2
	s_lshl_b32 s24, s2, 2
	s_lshl_b32 s25, s2, 5
.LBB36_3:                               ; =>This Inner Loop Header: Depth=1
	v_add_co_u32 v24, s2, s16, v3
	s_delay_alu instid0(VALU_DEP_1) | instskip(SKIP_1) | instid1(VALU_DEP_1)
	v_add_co_ci_u32_e64 v25, null, s17, 0, s2
	v_add_co_u32 v16, s2, s18, v3
	v_add_co_ci_u32_e64 v17, null, s19, 0, s2
	global_load_b128 v[4:7], v[24:25], off
	global_load_b128 v[8:11], v[16:17], off
	global_load_b128 v[12:15], v[24:25], off offset:16
	global_load_b128 v[16:19], v[16:17], off offset:16
	v_cmp_le_i64_e32 vcc_lo, s[6:7], v[1:2]
	v_cmp_lt_u64_e64 s2, 0xffff, v[1:2]
	v_add_co_u32 v1, s3, v1, s24
	s_delay_alu instid0(VALU_DEP_1) | instskip(NEXT) | instid1(VALU_DEP_3)
	v_add_co_ci_u32_e64 v2, s3, 0, v2, s3
	s_or_b32 s2, vcc_lo, s2
	s_add_u32 s16, s16, s25
	s_addc_u32 s17, s17, 0
	s_add_u32 s18, s18, s25
	s_addc_u32 s19, s19, 0
	s_and_b32 s2, exec_lo, s2
	s_delay_alu instid0(SALU_CYCLE_1)
	s_or_b32 s23, s2, s23
	s_waitcnt vmcnt(2)
	v_mad_u64_u32 v[20:21], null, v8, s21, v[4:5]
	v_mul_lo_u32 v8, v8, s22
	v_mul_lo_u32 v9, v9, s21
	v_mad_u64_u32 v[22:23], null, v10, s21, v[6:7]
	v_mul_lo_u32 v10, v10, s22
	v_mul_lo_u32 v11, v11, s21
	s_waitcnt vmcnt(0)
	v_mad_u64_u32 v[4:5], null, v16, s21, v[12:13]
	v_mul_lo_u32 v12, v16, s22
	v_mul_lo_u32 v13, v17, s21
	v_mad_u64_u32 v[6:7], null, v18, s21, v[14:15]
	v_mul_lo_u32 v14, v18, s22
	v_mul_lo_u32 v15, v19, s21
	v_add3_u32 v21, v9, v21, v8
	v_add3_u32 v23, v11, v23, v10
	;; [unrolled: 1-line block ×3, first 2 shown]
	s_delay_alu instid0(VALU_DEP_4)
	v_add3_u32 v7, v15, v7, v14
	s_clause 0x1
	global_store_b128 v[24:25], v[20:23], off
	global_store_b128 v[24:25], v[4:7], off offset:16
	s_and_not1_b32 exec_lo, exec_lo, s23
	s_cbranch_execnz .LBB36_3
.LBB36_4:
	s_or_b32 exec_lo, exec_lo, s20
	s_mov_b32 s2, 0
.LBB36_5:
	s_delay_alu instid0(SALU_CYCLE_1)
	s_and_not1_b32 vcc_lo, exec_lo, s2
	s_cbranch_vccnz .LBB36_25
; %bb.6:
	v_cmp_lt_i64_e64 s2, s[6:7], 1
	s_delay_alu instid0(VALU_DEP_1)
	s_and_b32 vcc_lo, exec_lo, s2
	s_cbranch_vccnz .LBB36_25
; %bb.7:
	s_load_b32 s0, s[0:1], 0xc64
	v_dual_mov_b32 v1, 0 :: v_dual_lshlrev_b32 v2, 3, v0
	s_waitcnt lgkmcnt(0)
	s_mul_i32 s2, s14, s9
	s_mul_hi_u32 s9, s14, s8
	s_mul_i32 s15, s15, s8
	v_mov_b32_e32 v3, v1
	s_add_i32 s2, s9, s2
	s_mul_i32 s1, s14, s8
	s_add_i32 s14, s2, s15
	v_cmp_gt_u64_e64 s8, 0x10000, s[6:7]
	v_add_co_u32 v24, s2, s10, v2
	s_delay_alu instid0(VALU_DEP_1)
	v_add_co_ci_u32_e64 v25, null, s11, 0, s2
	s_mov_b32 s3, 0
	s_and_b32 s15, s0, 0xffff
	v_add_co_u32 v26, s0, s12, v2
	v_mad_u64_u32 v[4:5], null, s15, 24, v[2:3]
	v_add_co_ci_u32_e64 v27, null, s13, 0, s0
	s_and_b32 s0, s8, exec_lo
	s_cselect_b32 s9, s7, 0
	s_cselect_b32 s8, s6, 0x10000
	s_lshl_b32 s0, s15, 4
	s_delay_alu instid0(VALU_DEP_2) | instskip(NEXT) | instid1(VALU_DEP_3)
	v_add_co_u32 v28, vcc_lo, s10, v4
	v_add_co_ci_u32_e32 v29, vcc_lo, s11, v5, vcc_lo
	v_add_co_u32 v2, s0, s0, v2
	v_add_co_u32 v30, vcc_lo, s12, v4
	v_add_lshl_u32 v4, v0, s15, 3
	v_add_co_ci_u32_e64 v3, null, 0, 0, s0
	v_add_co_ci_u32_e32 v31, vcc_lo, s13, v5, vcc_lo
	v_add_co_u32 v32, vcc_lo, s10, v2
	s_delay_alu instid0(VALU_DEP_4) | instskip(NEXT) | instid1(VALU_DEP_4)
	v_add_co_u32 v36, s0, s10, v4
	v_add_co_ci_u32_e32 v33, vcc_lo, s11, v3, vcc_lo
	v_add_co_u32 v34, vcc_lo, s12, v2
	v_add_co_ci_u32_e64 v37, null, s11, 0, s0
	v_add_co_u32 v38, s0, s12, v4
	v_add_co_ci_u32_e32 v35, vcc_lo, s13, v3, vcc_lo
	v_add_co_ci_u32_e64 v39, null, s13, 0, s0
	s_lshl_b32 s2, s15, 2
	s_lshl_b32 s16, s15, 1
	s_mul_i32 s17, s15, 3
	s_lshl_b32 s12, s15, 5
	s_mov_b64 s[10:11], s[2:3]
	s_branch .LBB36_9
.LBB36_8:                               ;   in Loop: Header=BB36_9 Depth=1
	s_or_b32 exec_lo, exec_lo, s0
	v_add_co_u32 v24, vcc_lo, v24, s12
	v_add_co_ci_u32_e32 v25, vcc_lo, 0, v25, vcc_lo
	v_add_co_u32 v26, vcc_lo, v26, s12
	v_add_co_ci_u32_e32 v27, vcc_lo, 0, v27, vcc_lo
	;; [unrolled: 2-line block ×7, first 2 shown]
	v_cmp_ge_i64_e64 s0, s[10:11], s[6:7]
	v_cmp_lt_u64_e64 s3, 0xffff, s[10:11]
	v_add_co_u32 v36, vcc_lo, v36, s12
	v_add_co_ci_u32_e32 v37, vcc_lo, 0, v37, vcc_lo
	v_add_co_u32 v38, vcc_lo, v38, s12
	v_add_co_ci_u32_e32 v39, vcc_lo, 0, v39, vcc_lo
	s_or_b32 s0, s0, s3
	s_add_u32 s10, s10, s2
	s_addc_u32 s11, s11, 0
	s_and_b32 vcc_lo, exec_lo, s0
	s_cbranch_vccnz .LBB36_25
.LBB36_9:                               ; =>This Inner Loop Header: Depth=1
	s_waitcnt vmcnt(0)
	v_mov_b32_e32 v2, 0
	v_mov_b32_e32 v3, 0
	v_cmp_gt_i64_e32 vcc_lo, s[6:7], v[0:1]
	v_cmp_gt_u64_e64 s0, 0x10000, v[0:1]
	s_delay_alu instid0(VALU_DEP_3) | instskip(SKIP_1) | instid1(VALU_DEP_3)
	v_dual_mov_b32 v5, v3 :: v_dual_mov_b32 v4, v2
	v_dual_mov_b32 v7, v3 :: v_dual_mov_b32 v6, v2
	s_and_b32 s3, vcc_lo, s0
	s_delay_alu instid0(SALU_CYCLE_1)
	s_and_saveexec_b32 s0, s3
	s_cbranch_execz .LBB36_11
; %bb.10:                               ;   in Loop: Header=BB36_9 Depth=1
	v_add_co_u32 v4, vcc_lo, v24, s4
	v_add_co_ci_u32_e32 v5, vcc_lo, s5, v25, vcc_lo
	v_add_co_u32 v8, vcc_lo, v26, s4
	v_add_co_ci_u32_e32 v9, vcc_lo, s5, v27, vcc_lo
	global_load_b64 v[6:7], v[4:5], off
	global_load_b64 v[4:5], v[8:9], off
.LBB36_11:                              ;   in Loop: Header=BB36_9 Depth=1
	s_or_b32 exec_lo, exec_lo, s0
	v_add_co_u32 v8, vcc_lo, s15, v0
	v_add_co_ci_u32_e32 v9, vcc_lo, 0, v1, vcc_lo
	v_dual_mov_b32 v13, v3 :: v_dual_mov_b32 v12, v2
	s_delay_alu instid0(VALU_DEP_2) | instskip(SKIP_1) | instid1(VALU_DEP_1)
	v_cmp_gt_i64_e32 vcc_lo, s[6:7], v[8:9]
	v_cmp_gt_u64_e64 s0, 0x10000, v[8:9]
	s_and_b32 s3, vcc_lo, s0
	s_delay_alu instid0(SALU_CYCLE_1)
	s_and_saveexec_b32 s0, s3
	s_cbranch_execz .LBB36_13
; %bb.12:                               ;   in Loop: Header=BB36_9 Depth=1
	v_add_co_u32 v2, vcc_lo, v36, s4
	v_add_co_ci_u32_e32 v3, vcc_lo, s5, v37, vcc_lo
	v_add_co_u32 v10, vcc_lo, v38, s4
	v_add_co_ci_u32_e32 v11, vcc_lo, s5, v39, vcc_lo
	global_load_b64 v[12:13], v[2:3], off
	global_load_b64 v[2:3], v[10:11], off
.LBB36_13:                              ;   in Loop: Header=BB36_9 Depth=1
	s_or_b32 exec_lo, exec_lo, s0
	v_add_co_u32 v14, vcc_lo, s16, v0
	v_add_co_ci_u32_e32 v15, vcc_lo, 0, v1, vcc_lo
	v_mov_b32_e32 v10, 0
	v_mov_b32_e32 v11, 0
	s_delay_alu instid0(VALU_DEP_3) | instskip(SKIP_1) | instid1(VALU_DEP_3)
	v_cmp_gt_i64_e32 vcc_lo, s[6:7], v[14:15]
	v_cmp_gt_u64_e64 s0, 0x10000, v[14:15]
	v_dual_mov_b32 v17, v11 :: v_dual_mov_b32 v16, v10
	v_dual_mov_b32 v19, v11 :: v_dual_mov_b32 v18, v10
	s_delay_alu instid0(VALU_DEP_3) | instskip(NEXT) | instid1(SALU_CYCLE_1)
	s_and_b32 s3, vcc_lo, s0
	s_and_saveexec_b32 s0, s3
	s_cbranch_execz .LBB36_15
; %bb.14:                               ;   in Loop: Header=BB36_9 Depth=1
	v_add_co_u32 v16, vcc_lo, v32, s4
	v_add_co_ci_u32_e32 v17, vcc_lo, s5, v33, vcc_lo
	v_add_co_u32 v20, vcc_lo, v34, s4
	v_add_co_ci_u32_e32 v21, vcc_lo, s5, v35, vcc_lo
	global_load_b64 v[18:19], v[16:17], off
	global_load_b64 v[16:17], v[20:21], off
.LBB36_15:                              ;   in Loop: Header=BB36_9 Depth=1
	s_or_b32 exec_lo, exec_lo, s0
	v_add_co_u32 v20, vcc_lo, s17, v0
	v_add_co_ci_u32_e32 v21, vcc_lo, 0, v1, vcc_lo
	v_dual_mov_b32 v23, v11 :: v_dual_mov_b32 v22, v10
	s_delay_alu instid0(VALU_DEP_2) | instskip(SKIP_1) | instid1(VALU_DEP_1)
	v_cmp_gt_i64_e32 vcc_lo, s[6:7], v[20:21]
	v_cmp_gt_u64_e64 s0, 0x10000, v[20:21]
	s_and_b32 s3, vcc_lo, s0
	s_delay_alu instid0(SALU_CYCLE_1)
	s_and_saveexec_b32 s0, s3
	s_cbranch_execnz .LBB36_20
; %bb.16:                               ;   in Loop: Header=BB36_9 Depth=1
	s_or_b32 exec_lo, exec_lo, s0
	s_delay_alu instid0(SALU_CYCLE_1)
	s_mov_b32 s0, exec_lo
	v_cmpx_gt_u64_e64 s[8:9], v[0:1]
	s_cbranch_execnz .LBB36_21
.LBB36_17:                              ;   in Loop: Header=BB36_9 Depth=1
	s_or_b32 exec_lo, exec_lo, s0
	s_delay_alu instid0(SALU_CYCLE_1)
	s_mov_b32 s0, exec_lo
	v_cmpx_gt_u64_e64 s[8:9], v[8:9]
	s_cbranch_execnz .LBB36_22
.LBB36_18:                              ;   in Loop: Header=BB36_9 Depth=1
	s_or_b32 exec_lo, exec_lo, s0
	s_delay_alu instid0(SALU_CYCLE_1)
	s_mov_b32 s0, exec_lo
	v_cmpx_gt_u64_e64 s[8:9], v[14:15]
	s_cbranch_execnz .LBB36_23
.LBB36_19:                              ;   in Loop: Header=BB36_9 Depth=1
	s_or_b32 exec_lo, exec_lo, s0
	s_delay_alu instid0(SALU_CYCLE_1)
	s_mov_b32 s0, exec_lo
	v_cmpx_gt_u64_e64 s[8:9], v[20:21]
	s_cbranch_execz .LBB36_8
	s_branch .LBB36_24
.LBB36_20:                              ;   in Loop: Header=BB36_9 Depth=1
	v_add_co_u32 v10, vcc_lo, v28, s4
	v_add_co_ci_u32_e32 v11, vcc_lo, s5, v29, vcc_lo
	v_add_co_u32 v40, vcc_lo, v30, s4
	v_add_co_ci_u32_e32 v41, vcc_lo, s5, v31, vcc_lo
	global_load_b64 v[22:23], v[10:11], off
	global_load_b64 v[10:11], v[40:41], off
	s_or_b32 exec_lo, exec_lo, s0
	s_delay_alu instid0(SALU_CYCLE_1)
	s_mov_b32 s0, exec_lo
	v_cmpx_gt_u64_e64 s[8:9], v[0:1]
	s_cbranch_execz .LBB36_17
.LBB36_21:                              ;   in Loop: Header=BB36_9 Depth=1
	s_waitcnt vmcnt(0)
	v_mad_u64_u32 v[40:41], null, v4, s1, v[6:7]
	v_mul_lo_u32 v4, v4, s14
	v_mul_lo_u32 v5, v5, s1
	s_delay_alu instid0(VALU_DEP_1) | instskip(SKIP_4) | instid1(SALU_CYCLE_1)
	v_add3_u32 v41, v5, v41, v4
	v_add_co_u32 v4, vcc_lo, v24, s4
	v_add_co_ci_u32_e32 v5, vcc_lo, s5, v25, vcc_lo
	global_store_b64 v[4:5], v[40:41], off
	s_or_b32 exec_lo, exec_lo, s0
	s_mov_b32 s0, exec_lo
	v_cmpx_gt_u64_e64 s[8:9], v[8:9]
	s_cbranch_execz .LBB36_18
.LBB36_22:                              ;   in Loop: Header=BB36_9 Depth=1
	s_waitcnt vmcnt(0)
	v_mad_u64_u32 v[4:5], null, v2, s1, v[12:13]
	v_mul_lo_u32 v2, v2, s14
	v_mul_lo_u32 v3, v3, s1
	s_delay_alu instid0(VALU_DEP_1) | instskip(SKIP_4) | instid1(SALU_CYCLE_1)
	v_add3_u32 v5, v3, v5, v2
	v_add_co_u32 v2, vcc_lo, v36, s4
	v_add_co_ci_u32_e32 v3, vcc_lo, s5, v37, vcc_lo
	global_store_b64 v[2:3], v[4:5], off
	s_or_b32 exec_lo, exec_lo, s0
	s_mov_b32 s0, exec_lo
	v_cmpx_gt_u64_e64 s[8:9], v[14:15]
	s_cbranch_execz .LBB36_19
.LBB36_23:                              ;   in Loop: Header=BB36_9 Depth=1
	s_waitcnt vmcnt(0)
	v_mad_u64_u32 v[2:3], null, v16, s1, v[18:19]
	v_mul_lo_u32 v4, v16, s14
	v_mul_lo_u32 v5, v17, s1
	s_delay_alu instid0(VALU_DEP_1) | instskip(SKIP_4) | instid1(SALU_CYCLE_1)
	v_add3_u32 v3, v5, v3, v4
	v_add_co_u32 v4, vcc_lo, v32, s4
	v_add_co_ci_u32_e32 v5, vcc_lo, s5, v33, vcc_lo
	global_store_b64 v[4:5], v[2:3], off
	s_or_b32 exec_lo, exec_lo, s0
	s_mov_b32 s0, exec_lo
	v_cmpx_gt_u64_e64 s[8:9], v[20:21]
	s_cbranch_execz .LBB36_8
.LBB36_24:                              ;   in Loop: Header=BB36_9 Depth=1
	s_waitcnt vmcnt(0)
	v_mad_u64_u32 v[2:3], null, v10, s1, v[22:23]
	v_mul_lo_u32 v4, v10, s14
	v_mul_lo_u32 v5, v11, s1
	s_delay_alu instid0(VALU_DEP_1)
	v_add3_u32 v3, v5, v3, v4
	v_add_co_u32 v4, vcc_lo, v28, s4
	v_add_co_ci_u32_e32 v5, vcc_lo, s5, v29, vcc_lo
	global_store_b64 v[4:5], v[2:3], off
	s_branch .LBB36_8
.LBB36_25:
	s_nop 0
	s_sendmsg sendmsg(MSG_DEALLOC_VGPRS)
	s_endpgm
	.section	.rodata,"a",@progbits
	.p2align	6, 0x0
	.amdhsa_kernel _ZN2at6native12_GLOBAL__N_125multi_tensor_apply_kernelINS1_18TensorListMetadataILi3EEENS1_32PointwiseOpScalar0dTensorFunctorIlLi3ELi2ELi0EEEJSt10multipliesIlElEEEvT_T0_DpT1_
		.amdhsa_group_segment_fixed_size 0
		.amdhsa_private_segment_fixed_size 0
		.amdhsa_kernarg_size 3416
		.amdhsa_user_sgpr_count 15
		.amdhsa_user_sgpr_dispatch_ptr 0
		.amdhsa_user_sgpr_queue_ptr 0
		.amdhsa_user_sgpr_kernarg_segment_ptr 1
		.amdhsa_user_sgpr_dispatch_id 0
		.amdhsa_user_sgpr_private_segment_size 0
		.amdhsa_wavefront_size32 1
		.amdhsa_uses_dynamic_stack 0
		.amdhsa_enable_private_segment 0
		.amdhsa_system_sgpr_workgroup_id_x 1
		.amdhsa_system_sgpr_workgroup_id_y 0
		.amdhsa_system_sgpr_workgroup_id_z 0
		.amdhsa_system_sgpr_workgroup_info 0
		.amdhsa_system_vgpr_workitem_id 0
		.amdhsa_next_free_vgpr 42
		.amdhsa_next_free_sgpr 27
		.amdhsa_reserve_vcc 1
		.amdhsa_float_round_mode_32 0
		.amdhsa_float_round_mode_16_64 0
		.amdhsa_float_denorm_mode_32 3
		.amdhsa_float_denorm_mode_16_64 3
		.amdhsa_dx10_clamp 1
		.amdhsa_ieee_mode 1
		.amdhsa_fp16_overflow 0
		.amdhsa_workgroup_processor_mode 1
		.amdhsa_memory_ordered 1
		.amdhsa_forward_progress 0
		.amdhsa_shared_vgpr_count 0
		.amdhsa_exception_fp_ieee_invalid_op 0
		.amdhsa_exception_fp_denorm_src 0
		.amdhsa_exception_fp_ieee_div_zero 0
		.amdhsa_exception_fp_ieee_overflow 0
		.amdhsa_exception_fp_ieee_underflow 0
		.amdhsa_exception_fp_ieee_inexact 0
		.amdhsa_exception_int_div_zero 0
	.end_amdhsa_kernel
	.section	.text._ZN2at6native12_GLOBAL__N_125multi_tensor_apply_kernelINS1_18TensorListMetadataILi3EEENS1_32PointwiseOpScalar0dTensorFunctorIlLi3ELi2ELi0EEEJSt10multipliesIlElEEEvT_T0_DpT1_,"axG",@progbits,_ZN2at6native12_GLOBAL__N_125multi_tensor_apply_kernelINS1_18TensorListMetadataILi3EEENS1_32PointwiseOpScalar0dTensorFunctorIlLi3ELi2ELi0EEEJSt10multipliesIlElEEEvT_T0_DpT1_,comdat
.Lfunc_end36:
	.size	_ZN2at6native12_GLOBAL__N_125multi_tensor_apply_kernelINS1_18TensorListMetadataILi3EEENS1_32PointwiseOpScalar0dTensorFunctorIlLi3ELi2ELi0EEEJSt10multipliesIlElEEEvT_T0_DpT1_, .Lfunc_end36-_ZN2at6native12_GLOBAL__N_125multi_tensor_apply_kernelINS1_18TensorListMetadataILi3EEENS1_32PointwiseOpScalar0dTensorFunctorIlLi3ELi2ELi0EEEJSt10multipliesIlElEEEvT_T0_DpT1_
                                        ; -- End function
	.section	.AMDGPU.csdata,"",@progbits
; Kernel info:
; codeLenInByte = 1960
; NumSgprs: 29
; NumVgprs: 42
; ScratchSize: 0
; MemoryBound: 0
; FloatMode: 240
; IeeeMode: 1
; LDSByteSize: 0 bytes/workgroup (compile time only)
; SGPRBlocks: 3
; VGPRBlocks: 5
; NumSGPRsForWavesPerEU: 29
; NumVGPRsForWavesPerEU: 42
; Occupancy: 16
; WaveLimiterHint : 0
; COMPUTE_PGM_RSRC2:SCRATCH_EN: 0
; COMPUTE_PGM_RSRC2:USER_SGPR: 15
; COMPUTE_PGM_RSRC2:TRAP_HANDLER: 0
; COMPUTE_PGM_RSRC2:TGID_X_EN: 1
; COMPUTE_PGM_RSRC2:TGID_Y_EN: 0
; COMPUTE_PGM_RSRC2:TGID_Z_EN: 0
; COMPUTE_PGM_RSRC2:TIDIG_COMP_CNT: 0
	.section	.text._ZN2at6native12_GLOBAL__N_125multi_tensor_apply_kernelINS1_18TensorListMetadataILi3EEENS1_32PointwiseOpScalar0dTensorFunctorIsLi3ELi2ELi0EEEJSt10multipliesIsEsEEEvT_T0_DpT1_,"axG",@progbits,_ZN2at6native12_GLOBAL__N_125multi_tensor_apply_kernelINS1_18TensorListMetadataILi3EEENS1_32PointwiseOpScalar0dTensorFunctorIsLi3ELi2ELi0EEEJSt10multipliesIsEsEEEvT_T0_DpT1_,comdat
	.globl	_ZN2at6native12_GLOBAL__N_125multi_tensor_apply_kernelINS1_18TensorListMetadataILi3EEENS1_32PointwiseOpScalar0dTensorFunctorIsLi3ELi2ELi0EEEJSt10multipliesIsEsEEEvT_T0_DpT1_ ; -- Begin function _ZN2at6native12_GLOBAL__N_125multi_tensor_apply_kernelINS1_18TensorListMetadataILi3EEENS1_32PointwiseOpScalar0dTensorFunctorIsLi3ELi2ELi0EEEJSt10multipliesIsEsEEEvT_T0_DpT1_
	.p2align	8
	.type	_ZN2at6native12_GLOBAL__N_125multi_tensor_apply_kernelINS1_18TensorListMetadataILi3EEENS1_32PointwiseOpScalar0dTensorFunctorIsLi3ELi2ELi0EEEJSt10multipliesIsEsEEEvT_T0_DpT1_,@function
_ZN2at6native12_GLOBAL__N_125multi_tensor_apply_kernelINS1_18TensorListMetadataILi3EEENS1_32PointwiseOpScalar0dTensorFunctorIsLi3ELi2ELi0EEEJSt10multipliesIsEsEEEvT_T0_DpT1_: ; @_ZN2at6native12_GLOBAL__N_125multi_tensor_apply_kernelINS1_18TensorListMetadataILi3EEENS1_32PointwiseOpScalar0dTensorFunctorIsLi3ELi2ELi0EEEJSt10multipliesIsEsEEEvT_T0_DpT1_
; %bb.0:
	v_dual_mov_b32 v1, s15 :: v_dual_mov_b32 v2, 0
	s_mul_i32 s5, s15, 3
	s_mul_hi_u32 s6, s15, 3
	s_mov_b32 s17, 0
	global_load_u8 v1, v1, s[0:1] offset:1536
	s_load_b32 s2, s[0:1], 0xc48
	s_waitcnt lgkmcnt(0)
	s_lshr_b32 s8, s2, 16
	s_add_u32 s2, s0, s15
	s_addc_u32 s3, s1, 0
	s_add_u32 s2, s2, s5
	s_addc_u32 s3, s3, s6
	s_waitcnt vmcnt(0)
	v_readfirstlane_b32 s4, v1
	s_delay_alu instid0(VALU_DEP_1)
	s_lshl_b32 s4, s4, 3
	s_clause 0x1
	s_load_b64 s[6:7], s[0:1], s4 offset:0x180
	s_load_b64 s[10:11], s[0:1], s4 offset:0x300
	s_waitcnt lgkmcnt(0)
	global_load_u16 v3, v2, s[6:7]
	s_clause 0x2
	s_load_b32 s2, s[2:3], 0x740
	s_load_b64 s[12:13], s[0:1], s4 offset:0x0
	s_load_b64 s[14:15], s[0:1], s4 offset:0x480
	s_waitcnt lgkmcnt(0)
	s_ashr_i32 s3, s2, 31
	s_and_b32 s16, s12, 7
	s_lshl_b64 s[4:5], s[2:3], 17
	s_delay_alu instid0(SALU_CYCLE_1) | instskip(NEXT) | instid1(SALU_CYCLE_1)
	s_add_u32 s6, s6, s4
	s_or_b32 s6, s10, s6
	s_delay_alu instid0(SALU_CYCLE_1) | instskip(NEXT) | instid1(SALU_CYCLE_1)
	s_and_b32 s6, s6, 7
	s_cmp_lg_u32 s6, 0
	s_cselect_b32 s9, -1, 0
	s_lshl_b64 s[2:3], s[2:3], 16
	s_delay_alu instid0(SALU_CYCLE_1) | instskip(SKIP_3) | instid1(SALU_CYCLE_1)
	s_sub_u32 s6, s14, s2
	s_subb_u32 s7, s15, s3
	s_and_b32 s2, s14, 3
	s_mov_b32 s3, s17
	s_or_b64 s[2:3], s[16:17], s[2:3]
	s_delay_alu instid0(SALU_CYCLE_1) | instskip(SKIP_1) | instid1(SALU_CYCLE_1)
	s_cmp_lg_u64 s[2:3], 0
	s_cselect_b32 s2, -1, 0
	s_or_b32 s2, s9, s2
	s_delay_alu instid0(SALU_CYCLE_1)
	s_and_not1_b32 vcc_lo, exec_lo, s2
	s_mov_b32 s2, -1
	s_cbranch_vccz .LBB37_5
; %bb.1:
	v_lshlrev_b32_e32 v1, 2, v0
	s_mov_b32 s9, exec_lo
	s_delay_alu instid0(VALU_DEP_1)
	v_cmpx_gt_i64_e64 s[6:7], v[1:2]
	s_cbranch_execz .LBB37_4
; %bb.2:
	s_load_b32 s2, s[0:1], 0xc5c
	v_dual_mov_b32 v2, 0 :: v_dual_lshlrev_b32 v1, 3, v0
	s_waitcnt vmcnt(0)
	v_mul_lo_u32 v4, v3, s8
	s_mov_b32 s14, 0
	s_delay_alu instid0(VALU_DEP_2) | instskip(NEXT) | instid1(VALU_DEP_1)
	v_add_co_u32 v5, s3, s4, v1
	v_add_co_ci_u32_e64 v6, null, s5, 0, s3
	s_waitcnt lgkmcnt(0)
	s_and_b32 s2, s2, 0xffff
	s_delay_alu instid0(SALU_CYCLE_1)
	v_add_lshl_u32 v1, v0, s2, 2
	s_lshl_b32 s15, s2, 3
	s_lshl_b32 s16, s2, 2
.LBB37_3:                               ; =>This Inner Loop Header: Depth=1
	v_add_co_u32 v7, vcc_lo, s12, v5
	v_add_co_ci_u32_e32 v8, vcc_lo, s13, v6, vcc_lo
	v_add_co_u32 v9, vcc_lo, s10, v5
	v_add_co_ci_u32_e32 v10, vcc_lo, s11, v6, vcc_lo
	v_cmp_le_i64_e32 vcc_lo, s[6:7], v[1:2]
	global_load_b64 v[11:12], v[7:8], off
	global_load_b64 v[9:10], v[9:10], off
	v_cmp_lt_u64_e64 s2, 0xffff, v[1:2]
	v_add_co_u32 v5, s3, v5, s15
	s_delay_alu instid0(VALU_DEP_1) | instskip(SKIP_1) | instid1(VALU_DEP_4)
	v_add_co_ci_u32_e64 v6, s3, 0, v6, s3
	v_add_co_u32 v1, s3, v1, s16
	s_or_b32 s2, vcc_lo, s2
	v_add_co_ci_u32_e64 v2, s3, 0, v2, s3
	s_and_b32 s2, exec_lo, s2
	s_delay_alu instid0(SALU_CYCLE_1)
	s_or_b32 s14, s2, s14
	s_waitcnt vmcnt(1)
	v_lshrrev_b32_e32 v13, 16, v11
	s_waitcnt vmcnt(0)
	v_lshrrev_b32_e32 v14, 16, v9
	v_mad_u16 v9, v4, v9, v11
	v_lshrrev_b32_e32 v11, 16, v12
	v_lshrrev_b32_e32 v15, 16, v10
	v_mad_u16 v10, v4, v10, v12
	v_mad_u16 v13, v4, v14, v13
	v_and_b32_e32 v9, 0xffff, v9
	s_delay_alu instid0(VALU_DEP_4) | instskip(NEXT) | instid1(VALU_DEP_4)
	v_mad_u16 v11, v4, v15, v11
	v_and_b32_e32 v10, 0xffff, v10
	s_delay_alu instid0(VALU_DEP_4) | instskip(NEXT) | instid1(VALU_DEP_3)
	v_lshlrev_b32_e32 v12, 16, v13
	v_lshlrev_b32_e32 v11, 16, v11
	s_delay_alu instid0(VALU_DEP_2) | instskip(NEXT) | instid1(VALU_DEP_2)
	v_or_b32_e32 v9, v12, v9
	v_or3_b32 v10, 0, v10, v11
	s_delay_alu instid0(VALU_DEP_2)
	v_or3_b32 v9, v9, 0, 0
	global_store_b64 v[7:8], v[9:10], off
	s_and_not1_b32 exec_lo, exec_lo, s14
	s_cbranch_execnz .LBB37_3
.LBB37_4:
	s_or_b32 exec_lo, exec_lo, s9
	s_mov_b32 s2, 0
.LBB37_5:
	s_delay_alu instid0(SALU_CYCLE_1)
	s_and_not1_b32 vcc_lo, exec_lo, s2
	s_cbranch_vccnz .LBB37_25
; %bb.6:
	v_cmp_lt_i64_e64 s2, s[6:7], 1
	s_delay_alu instid0(VALU_DEP_1)
	s_and_b32 vcc_lo, exec_lo, s2
	s_cbranch_vccnz .LBB37_25
; %bb.7:
	s_load_b32 s0, s[0:1], 0xc5c
	v_dual_mov_b32 v1, 0 :: v_dual_lshlrev_b32 v2, 1, v0
	s_waitcnt vmcnt(0)
	v_mul_lo_u32 v12, v3, s8
	v_cmp_gt_u64_e64 s2, 0x10000, s[6:7]
	s_mov_b32 s3, 0
	v_mov_b32_e32 v3, v1
	v_add_co_u32 v13, s1, s12, v2
	s_delay_alu instid0(VALU_DEP_1) | instskip(SKIP_1) | instid1(VALU_DEP_1)
	v_add_co_ci_u32_e64 v14, null, s13, 0, s1
	v_add_co_u32 v15, s1, s10, v2
	v_add_co_ci_u32_e64 v16, null, s11, 0, s1
	s_waitcnt lgkmcnt(0)
	s_and_b32 s1, s0, 0xffff
	s_and_b32 s0, s2, exec_lo
	v_mad_u64_u32 v[4:5], null, s1, 6, v[2:3]
	s_cselect_b32 s9, s7, 0
	s_cselect_b32 s8, s6, 0x10000
	s_lshl_b32 s2, s1, 2
	s_lshl_b32 s14, s1, 1
	v_add_co_u32 v2, s0, s2, v2
	s_delay_alu instid0(VALU_DEP_2) | instskip(NEXT) | instid1(VALU_DEP_3)
	v_add_co_u32 v17, vcc_lo, s12, v4
	v_add_co_ci_u32_e32 v18, vcc_lo, s13, v5, vcc_lo
	v_add_co_u32 v19, vcc_lo, s10, v4
	v_add_lshl_u32 v4, v0, s1, 1
	v_add_co_ci_u32_e64 v3, null, 0, 0, s0
	v_add_co_ci_u32_e32 v20, vcc_lo, s11, v5, vcc_lo
	v_add_co_u32 v21, vcc_lo, s12, v2
	s_delay_alu instid0(VALU_DEP_4) | instskip(NEXT) | instid1(VALU_DEP_4)
	v_add_co_u32 v25, s0, s12, v4
	v_add_co_ci_u32_e32 v22, vcc_lo, s13, v3, vcc_lo
	v_add_co_u32 v23, vcc_lo, s10, v2
	v_add_co_ci_u32_e64 v26, null, s13, 0, s0
	v_add_co_u32 v27, s0, s10, v4
	v_add_co_ci_u32_e32 v24, vcc_lo, s11, v3, vcc_lo
	v_add_co_ci_u32_e64 v28, null, s11, 0, s0
	s_mul_i32 s12, s1, 3
	s_lshl_b32 s13, s1, 3
	s_mov_b64 s[10:11], s[2:3]
	s_branch .LBB37_9
.LBB37_8:                               ;   in Loop: Header=BB37_9 Depth=1
	s_or_b32 exec_lo, exec_lo, s0
	v_add_co_u32 v13, vcc_lo, v13, s13
	v_add_co_ci_u32_e32 v14, vcc_lo, 0, v14, vcc_lo
	v_add_co_u32 v15, vcc_lo, v15, s13
	v_add_co_ci_u32_e32 v16, vcc_lo, 0, v16, vcc_lo
	;; [unrolled: 2-line block ×7, first 2 shown]
	v_cmp_ge_i64_e64 s0, s[10:11], s[6:7]
	v_cmp_lt_u64_e64 s15, 0xffff, s[10:11]
	v_add_co_u32 v25, vcc_lo, v25, s13
	v_add_co_ci_u32_e32 v26, vcc_lo, 0, v26, vcc_lo
	v_add_co_u32 v27, vcc_lo, v27, s13
	v_add_co_ci_u32_e32 v28, vcc_lo, 0, v28, vcc_lo
	s_or_b32 s0, s0, s15
	s_add_u32 s10, s10, s2
	s_addc_u32 s11, s11, 0
	s_and_b32 vcc_lo, exec_lo, s0
	s_cbranch_vccnz .LBB37_25
.LBB37_9:                               ; =>This Inner Loop Header: Depth=1
	v_mov_b32_e32 v2, 0
	v_mov_b32_e32 v3, 0
	v_cmp_gt_i64_e32 vcc_lo, s[6:7], v[0:1]
	v_cmp_gt_u64_e64 s0, 0x10000, v[0:1]
	s_delay_alu instid0(VALU_DEP_3) | instskip(NEXT) | instid1(VALU_DEP_2)
	v_dual_mov_b32 v5, v3 :: v_dual_mov_b32 v4, v2
	s_and_b32 s15, vcc_lo, s0
	s_delay_alu instid0(SALU_CYCLE_1)
	s_and_saveexec_b32 s0, s15
	s_cbranch_execz .LBB37_11
; %bb.10:                               ;   in Loop: Header=BB37_9 Depth=1
	v_add_co_u32 v2, vcc_lo, v13, s4
	v_add_co_ci_u32_e32 v3, vcc_lo, s5, v14, vcc_lo
	v_add_co_u32 v4, vcc_lo, v15, s4
	v_add_co_ci_u32_e32 v5, vcc_lo, s5, v16, vcc_lo
	global_load_u16 v2, v[2:3], off
	global_load_u16 v3, v[4:5], off
	s_waitcnt vmcnt(1)
	v_dual_mov_b32 v5, s3 :: v_dual_and_b32 v4, 0xffff, v2
	s_waitcnt vmcnt(0)
	v_dual_mov_b32 v3, s3 :: v_dual_and_b32 v2, 0xffff, v3
.LBB37_11:                              ;   in Loop: Header=BB37_9 Depth=1
	s_or_b32 exec_lo, exec_lo, s0
	v_add_co_u32 v6, vcc_lo, s1, v0
	v_add_co_ci_u32_e32 v7, vcc_lo, 0, v1, vcc_lo
	s_delay_alu instid0(VALU_DEP_1) | instskip(SKIP_1) | instid1(VALU_DEP_1)
	v_cmp_gt_i64_e32 vcc_lo, s[6:7], v[6:7]
	v_cmp_gt_u64_e64 s0, 0x10000, v[6:7]
	s_and_b32 s15, vcc_lo, s0
	s_delay_alu instid0(SALU_CYCLE_1)
	s_and_saveexec_b32 s0, s15
	s_cbranch_execz .LBB37_13
; %bb.12:                               ;   in Loop: Header=BB37_9 Depth=1
	v_add_co_u32 v8, vcc_lo, v25, s4
	v_add_co_ci_u32_e32 v9, vcc_lo, s5, v26, vcc_lo
	v_add_co_u32 v10, vcc_lo, v27, s4
	v_add_co_ci_u32_e32 v11, vcc_lo, s5, v28, vcc_lo
	global_load_u16 v8, v[8:9], off
	global_load_u16 v9, v[10:11], off
	s_waitcnt vmcnt(1)
	v_lshl_or_b32 v4, v8, 16, v4
	s_waitcnt vmcnt(0)
	v_lshl_or_b32 v2, v9, 16, v2
.LBB37_13:                              ;   in Loop: Header=BB37_9 Depth=1
	s_or_b32 exec_lo, exec_lo, s0
	v_add_co_u32 v8, vcc_lo, s14, v0
	v_add_co_ci_u32_e32 v9, vcc_lo, 0, v1, vcc_lo
	s_delay_alu instid0(VALU_DEP_1) | instskip(SKIP_1) | instid1(VALU_DEP_1)
	v_cmp_gt_i64_e32 vcc_lo, s[6:7], v[8:9]
	v_cmp_gt_u64_e64 s0, 0x10000, v[8:9]
	s_and_b32 s15, vcc_lo, s0
	s_delay_alu instid0(SALU_CYCLE_1)
	s_and_saveexec_b32 s0, s15
	s_cbranch_execz .LBB37_15
; %bb.14:                               ;   in Loop: Header=BB37_9 Depth=1
	v_add_co_u32 v10, vcc_lo, v21, s4
	v_add_co_ci_u32_e32 v11, vcc_lo, s5, v22, vcc_lo
	v_add_co_u32 v29, vcc_lo, v23, s4
	v_add_co_ci_u32_e32 v30, vcc_lo, s5, v24, vcc_lo
	global_load_u16 v10, v[10:11], off
	global_load_u16 v11, v[29:30], off
	s_waitcnt vmcnt(1)
	v_or_b32_e32 v5, v10, v5
	s_waitcnt vmcnt(0)
	v_or_b32_e32 v3, v11, v3
.LBB37_15:                              ;   in Loop: Header=BB37_9 Depth=1
	s_or_b32 exec_lo, exec_lo, s0
	v_add_co_u32 v10, vcc_lo, s12, v0
	v_add_co_ci_u32_e32 v11, vcc_lo, 0, v1, vcc_lo
	s_delay_alu instid0(VALU_DEP_1) | instskip(SKIP_1) | instid1(VALU_DEP_1)
	v_cmp_gt_i64_e32 vcc_lo, s[6:7], v[10:11]
	v_cmp_gt_u64_e64 s0, 0x10000, v[10:11]
	s_and_b32 s15, vcc_lo, s0
	s_delay_alu instid0(SALU_CYCLE_1)
	s_and_saveexec_b32 s0, s15
	s_cbranch_execnz .LBB37_20
; %bb.16:                               ;   in Loop: Header=BB37_9 Depth=1
	s_or_b32 exec_lo, exec_lo, s0
	s_delay_alu instid0(SALU_CYCLE_1)
	s_mov_b32 s0, exec_lo
	v_cmpx_gt_u64_e64 s[8:9], v[0:1]
	s_cbranch_execnz .LBB37_21
.LBB37_17:                              ;   in Loop: Header=BB37_9 Depth=1
	s_or_b32 exec_lo, exec_lo, s0
	s_delay_alu instid0(SALU_CYCLE_1)
	s_mov_b32 s0, exec_lo
	v_cmpx_gt_u64_e64 s[8:9], v[6:7]
	s_cbranch_execnz .LBB37_22
.LBB37_18:                              ;   in Loop: Header=BB37_9 Depth=1
	s_or_b32 exec_lo, exec_lo, s0
	s_delay_alu instid0(SALU_CYCLE_1)
	s_mov_b32 s0, exec_lo
	v_cmpx_gt_u64_e64 s[8:9], v[8:9]
	s_cbranch_execnz .LBB37_23
.LBB37_19:                              ;   in Loop: Header=BB37_9 Depth=1
	s_or_b32 exec_lo, exec_lo, s0
	s_delay_alu instid0(SALU_CYCLE_1)
	s_mov_b32 s0, exec_lo
	v_cmpx_gt_u64_e64 s[8:9], v[10:11]
	s_cbranch_execz .LBB37_8
	s_branch .LBB37_24
.LBB37_20:                              ;   in Loop: Header=BB37_9 Depth=1
	v_add_co_u32 v29, vcc_lo, v19, s4
	v_add_co_ci_u32_e32 v30, vcc_lo, s5, v20, vcc_lo
	v_add_co_u32 v31, vcc_lo, v17, s4
	v_add_co_ci_u32_e32 v32, vcc_lo, s5, v18, vcc_lo
	v_dual_mov_b32 v33, 0 :: v_dual_mov_b32 v34, 0
	global_load_d16_hi_b16 v33, v[31:32], off
	global_load_d16_hi_b16 v34, v[29:30], off
	s_waitcnt vmcnt(1)
	v_or_b32_e32 v5, v33, v5
	s_waitcnt vmcnt(0)
	v_or_b32_e32 v3, v34, v3
	s_or_b32 exec_lo, exec_lo, s0
	s_delay_alu instid0(SALU_CYCLE_1)
	s_mov_b32 s0, exec_lo
	v_cmpx_gt_u64_e64 s[8:9], v[0:1]
	s_cbranch_execz .LBB37_17
.LBB37_21:                              ;   in Loop: Header=BB37_9 Depth=1
	v_add_co_u32 v29, vcc_lo, v13, s4
	v_mad_u16 v31, v12, v2, v4
	v_add_co_ci_u32_e32 v30, vcc_lo, s5, v14, vcc_lo
	global_store_b16 v[29:30], v31, off
	s_or_b32 exec_lo, exec_lo, s0
	s_delay_alu instid0(SALU_CYCLE_1)
	s_mov_b32 s0, exec_lo
	v_cmpx_gt_u64_e64 s[8:9], v[6:7]
	s_cbranch_execz .LBB37_18
.LBB37_22:                              ;   in Loop: Header=BB37_9 Depth=1
	v_lshrrev_b32_e32 v4, 16, v4
	v_lshrrev_b32_e32 v2, 16, v2
	v_add_co_u32 v6, vcc_lo, v25, s4
	v_add_co_ci_u32_e32 v7, vcc_lo, s5, v26, vcc_lo
	s_delay_alu instid0(VALU_DEP_3) | instskip(SKIP_2) | instid1(SALU_CYCLE_1)
	v_mad_u16 v2, v12, v2, v4
	global_store_b16 v[6:7], v2, off
	s_or_b32 exec_lo, exec_lo, s0
	s_mov_b32 s0, exec_lo
	v_cmpx_gt_u64_e64 s[8:9], v[8:9]
	s_cbranch_execz .LBB37_19
.LBB37_23:                              ;   in Loop: Header=BB37_9 Depth=1
	v_add_co_u32 v6, vcc_lo, v21, s4
	v_mad_u16 v2, v12, v3, v5
	v_add_co_ci_u32_e32 v7, vcc_lo, s5, v22, vcc_lo
	global_store_b16 v[6:7], v2, off
	s_or_b32 exec_lo, exec_lo, s0
	s_delay_alu instid0(SALU_CYCLE_1)
	s_mov_b32 s0, exec_lo
	v_cmpx_gt_u64_e64 s[8:9], v[10:11]
	s_cbranch_execz .LBB37_8
.LBB37_24:                              ;   in Loop: Header=BB37_9 Depth=1
	v_lshrrev_b32_e32 v2, 16, v5
	v_lshrrev_b32_e32 v3, 16, v3
	s_delay_alu instid0(VALU_DEP_1)
	v_mad_u16 v4, v12, v3, v2
	v_add_co_u32 v2, vcc_lo, v17, s4
	v_add_co_ci_u32_e32 v3, vcc_lo, s5, v18, vcc_lo
	global_store_b16 v[2:3], v4, off
	s_branch .LBB37_8
.LBB37_25:
	s_nop 0
	s_sendmsg sendmsg(MSG_DEALLOC_VGPRS)
	s_endpgm
	.section	.rodata,"a",@progbits
	.p2align	6, 0x0
	.amdhsa_kernel _ZN2at6native12_GLOBAL__N_125multi_tensor_apply_kernelINS1_18TensorListMetadataILi3EEENS1_32PointwiseOpScalar0dTensorFunctorIsLi3ELi2ELi0EEEJSt10multipliesIsEsEEEvT_T0_DpT1_
		.amdhsa_group_segment_fixed_size 0
		.amdhsa_private_segment_fixed_size 0
		.amdhsa_kernarg_size 3408
		.amdhsa_user_sgpr_count 15
		.amdhsa_user_sgpr_dispatch_ptr 0
		.amdhsa_user_sgpr_queue_ptr 0
		.amdhsa_user_sgpr_kernarg_segment_ptr 1
		.amdhsa_user_sgpr_dispatch_id 0
		.amdhsa_user_sgpr_private_segment_size 0
		.amdhsa_wavefront_size32 1
		.amdhsa_uses_dynamic_stack 0
		.amdhsa_enable_private_segment 0
		.amdhsa_system_sgpr_workgroup_id_x 1
		.amdhsa_system_sgpr_workgroup_id_y 0
		.amdhsa_system_sgpr_workgroup_id_z 0
		.amdhsa_system_sgpr_workgroup_info 0
		.amdhsa_system_vgpr_workitem_id 0
		.amdhsa_next_free_vgpr 35
		.amdhsa_next_free_sgpr 18
		.amdhsa_reserve_vcc 1
		.amdhsa_float_round_mode_32 0
		.amdhsa_float_round_mode_16_64 0
		.amdhsa_float_denorm_mode_32 3
		.amdhsa_float_denorm_mode_16_64 3
		.amdhsa_dx10_clamp 1
		.amdhsa_ieee_mode 1
		.amdhsa_fp16_overflow 0
		.amdhsa_workgroup_processor_mode 1
		.amdhsa_memory_ordered 1
		.amdhsa_forward_progress 0
		.amdhsa_shared_vgpr_count 0
		.amdhsa_exception_fp_ieee_invalid_op 0
		.amdhsa_exception_fp_denorm_src 0
		.amdhsa_exception_fp_ieee_div_zero 0
		.amdhsa_exception_fp_ieee_overflow 0
		.amdhsa_exception_fp_ieee_underflow 0
		.amdhsa_exception_fp_ieee_inexact 0
		.amdhsa_exception_int_div_zero 0
	.end_amdhsa_kernel
	.section	.text._ZN2at6native12_GLOBAL__N_125multi_tensor_apply_kernelINS1_18TensorListMetadataILi3EEENS1_32PointwiseOpScalar0dTensorFunctorIsLi3ELi2ELi0EEEJSt10multipliesIsEsEEEvT_T0_DpT1_,"axG",@progbits,_ZN2at6native12_GLOBAL__N_125multi_tensor_apply_kernelINS1_18TensorListMetadataILi3EEENS1_32PointwiseOpScalar0dTensorFunctorIsLi3ELi2ELi0EEEJSt10multipliesIsEsEEEvT_T0_DpT1_,comdat
.Lfunc_end37:
	.size	_ZN2at6native12_GLOBAL__N_125multi_tensor_apply_kernelINS1_18TensorListMetadataILi3EEENS1_32PointwiseOpScalar0dTensorFunctorIsLi3ELi2ELi0EEEJSt10multipliesIsEsEEEvT_T0_DpT1_, .Lfunc_end37-_ZN2at6native12_GLOBAL__N_125multi_tensor_apply_kernelINS1_18TensorListMetadataILi3EEENS1_32PointwiseOpScalar0dTensorFunctorIsLi3ELi2ELi0EEEJSt10multipliesIsEsEEEvT_T0_DpT1_
                                        ; -- End function
	.section	.AMDGPU.csdata,"",@progbits
; Kernel info:
; codeLenInByte = 1844
; NumSgprs: 20
; NumVgprs: 35
; ScratchSize: 0
; MemoryBound: 0
; FloatMode: 240
; IeeeMode: 1
; LDSByteSize: 0 bytes/workgroup (compile time only)
; SGPRBlocks: 2
; VGPRBlocks: 4
; NumSGPRsForWavesPerEU: 20
; NumVGPRsForWavesPerEU: 35
; Occupancy: 16
; WaveLimiterHint : 0
; COMPUTE_PGM_RSRC2:SCRATCH_EN: 0
; COMPUTE_PGM_RSRC2:USER_SGPR: 15
; COMPUTE_PGM_RSRC2:TRAP_HANDLER: 0
; COMPUTE_PGM_RSRC2:TGID_X_EN: 1
; COMPUTE_PGM_RSRC2:TGID_Y_EN: 0
; COMPUTE_PGM_RSRC2:TGID_Z_EN: 0
; COMPUTE_PGM_RSRC2:TIDIG_COMP_CNT: 0
	.section	.text._ZN2at6native12_GLOBAL__N_125multi_tensor_apply_kernelINS1_18TensorListMetadataILi3EEENS1_32PointwiseOpScalar0dTensorFunctorIdLi3ELi2ELi0EEEJSt10multipliesIdEdEEEvT_T0_DpT1_,"axG",@progbits,_ZN2at6native12_GLOBAL__N_125multi_tensor_apply_kernelINS1_18TensorListMetadataILi3EEENS1_32PointwiseOpScalar0dTensorFunctorIdLi3ELi2ELi0EEEJSt10multipliesIdEdEEEvT_T0_DpT1_,comdat
	.globl	_ZN2at6native12_GLOBAL__N_125multi_tensor_apply_kernelINS1_18TensorListMetadataILi3EEENS1_32PointwiseOpScalar0dTensorFunctorIdLi3ELi2ELi0EEEJSt10multipliesIdEdEEEvT_T0_DpT1_ ; -- Begin function _ZN2at6native12_GLOBAL__N_125multi_tensor_apply_kernelINS1_18TensorListMetadataILi3EEENS1_32PointwiseOpScalar0dTensorFunctorIdLi3ELi2ELi0EEEJSt10multipliesIdEdEEEvT_T0_DpT1_
	.p2align	8
	.type	_ZN2at6native12_GLOBAL__N_125multi_tensor_apply_kernelINS1_18TensorListMetadataILi3EEENS1_32PointwiseOpScalar0dTensorFunctorIdLi3ELi2ELi0EEEJSt10multipliesIdEdEEEvT_T0_DpT1_,@function
_ZN2at6native12_GLOBAL__N_125multi_tensor_apply_kernelINS1_18TensorListMetadataILi3EEENS1_32PointwiseOpScalar0dTensorFunctorIdLi3ELi2ELi0EEEJSt10multipliesIdEdEEEvT_T0_DpT1_: ; @_ZN2at6native12_GLOBAL__N_125multi_tensor_apply_kernelINS1_18TensorListMetadataILi3EEENS1_32PointwiseOpScalar0dTensorFunctorIdLi3ELi2ELi0EEEJSt10multipliesIdEdEEEvT_T0_DpT1_
; %bb.0:
	v_mov_b32_e32 v1, s15
	s_add_u32 s2, s0, s15
	s_mul_hi_u32 s3, s15, 3
	s_mul_i32 s15, s15, 3
	s_addc_u32 s4, s1, 0
	global_load_u8 v1, v1, s[0:1] offset:1536
	s_load_b64 s[6:7], s[0:1], 0xc50
	s_add_u32 s2, s2, s15
	s_addc_u32 s3, s4, s3
	s_mov_b32 s23, 0
	s_load_b32 s8, s[2:3], 0x740
	s_mov_b32 s25, s23
	s_waitcnt lgkmcnt(0)
	s_ashr_i32 s9, s8, 31
	s_delay_alu instid0(SALU_CYCLE_1) | instskip(SKIP_2) | instid1(VALU_DEP_1)
	s_lshl_b64 s[4:5], s[8:9], 19
	s_waitcnt vmcnt(0)
	v_readfirstlane_b32 s2, v1
	s_lshl_b32 s2, s2, 3
	s_clause 0x3
	s_load_b64 s[14:15], s[0:1], s2 offset:0x0
	s_load_b64 s[10:11], s[0:1], s2 offset:0x180
	;; [unrolled: 1-line block ×4, first 2 shown]
	s_waitcnt lgkmcnt(0)
	s_add_u32 s3, s14, s4
	s_addc_u32 s12, s15, s5
	s_add_u32 s2, s10, s4
	s_and_b32 s22, s3, 31
	s_add_u32 s13, s16, s4
	s_addc_u32 s18, s17, s5
	s_or_b32 s2, s13, s2
	s_load_b64 s[10:11], s[10:11], 0x0
	s_and_b32 s2, s2, 31
	s_delay_alu instid0(SALU_CYCLE_1) | instskip(SKIP_2) | instid1(SALU_CYCLE_1)
	s_cmp_lg_u32 s2, 0
	s_cselect_b32 s2, -1, 0
	s_lshl_b64 s[8:9], s[8:9], 16
	s_sub_u32 s8, s20, s8
	s_subb_u32 s9, s21, s9
	s_and_b32 s24, s20, 3
	s_delay_alu instid0(SALU_CYCLE_1) | instskip(NEXT) | instid1(SALU_CYCLE_1)
	s_or_b64 s[20:21], s[22:23], s[24:25]
	s_cmp_lg_u64 s[20:21], 0
	s_cselect_b32 s19, -1, 0
	s_delay_alu instid0(SALU_CYCLE_1) | instskip(NEXT) | instid1(SALU_CYCLE_1)
	s_or_b32 s2, s2, s19
	s_and_not1_b32 vcc_lo, exec_lo, s2
	s_mov_b32 s2, -1
	s_cbranch_vccz .LBB38_21
; %bb.1:
	v_dual_mov_b32 v22, 0 :: v_dual_lshlrev_b32 v21, 2, v0
	s_mov_b32 s19, exec_lo
	s_delay_alu instid0(VALU_DEP_1)
	v_cmpx_gt_i64_e64 s[8:9], v[21:22]
	s_cbranch_execz .LBB38_20
; %bb.2:
	v_cmp_neq_f64_e64 s20, s[6:7], 1.0
	s_load_b32 s2, s[0:1], 0xc64
	v_lshlrev_b32_e32 v25, 5, v0
	s_mov_b32 s21, 0
	s_waitcnt lgkmcnt(0)
	s_and_b32 s2, s2, 0xffff
	s_delay_alu instid0(SALU_CYCLE_1)
	v_add_lshl_u32 v21, v0, s2, 2
	s_lshl_b32 s22, s2, 2
	s_lshl_b32 s23, s2, 5
	s_branch .LBB38_4
.LBB38_3:                               ;   in Loop: Header=BB38_4 Depth=1
	v_cmp_le_i64_e32 vcc_lo, s[8:9], v[21:22]
	v_cmp_lt_u64_e64 s2, 0xffff, v[21:22]
	global_store_b128 v[23:24], v[1:4], off
	s_waitcnt vmcnt(2)
	global_store_b128 v[23:24], v[13:16], off offset:16
	s_or_b32 s2, vcc_lo, s2
	s_add_u32 s3, s3, s23
	v_add_co_u32 v21, vcc_lo, v21, s22
	s_addc_u32 s12, s12, 0
	s_add_u32 s13, s13, s23
	v_add_co_ci_u32_e32 v22, vcc_lo, 0, v22, vcc_lo
	s_addc_u32 s18, s18, 0
	s_and_b32 s2, exec_lo, s2
	s_delay_alu instid0(SALU_CYCLE_1) | instskip(NEXT) | instid1(SALU_CYCLE_1)
	s_or_b32 s21, s2, s21
	s_and_not1_b32 exec_lo, exec_lo, s21
	s_cbranch_execz .LBB38_20
.LBB38_4:                               ; =>This Inner Loop Header: Depth=1
	v_add_co_u32 v23, s2, s3, v25
	s_delay_alu instid0(VALU_DEP_1) | instskip(SKIP_1) | instid1(VALU_DEP_1)
	v_add_co_ci_u32_e64 v24, null, s12, 0, s2
	v_add_co_u32 v1, s2, s13, v25
	v_add_co_ci_u32_e64 v2, null, s18, 0, s2
	s_clause 0x1
	global_load_b128 v[5:8], v[23:24], off offset:16
	global_load_b128 v[13:16], v[23:24], off
	s_clause 0x1
	global_load_b128 v[9:12], v[1:2], off offset:16
	global_load_b128 v[17:20], v[1:2], off
	s_and_b32 vcc_lo, exec_lo, s20
	s_cbranch_vccz .LBB38_15
; %bb.5:                                ;   in Loop: Header=BB38_4 Depth=1
	s_waitcnt vmcnt(0)
	v_mul_f64 v[1:2], s[10:11], v[17:18]
	s_delay_alu instid0(VALU_DEP_1)
	v_fma_f64 v[1:2], s[6:7], v[1:2], v[13:14]
	s_cbranch_execnz .LBB38_7
.LBB38_6:                               ;   in Loop: Header=BB38_4 Depth=1
	s_waitcnt vmcnt(0)
	v_fma_f64 v[1:2], s[10:11], v[17:18], v[13:14]
.LBB38_7:                               ;   in Loop: Header=BB38_4 Depth=1
	s_and_not1_b32 vcc_lo, exec_lo, s20
	s_cbranch_vccnz .LBB38_16
; %bb.8:                                ;   in Loop: Header=BB38_4 Depth=1
	s_waitcnt vmcnt(0)
	v_mul_f64 v[3:4], s[10:11], v[19:20]
	s_delay_alu instid0(VALU_DEP_1)
	v_fma_f64 v[3:4], s[6:7], v[3:4], v[15:16]
	s_cbranch_execnz .LBB38_10
.LBB38_9:                               ;   in Loop: Header=BB38_4 Depth=1
	s_waitcnt vmcnt(0)
	v_fma_f64 v[3:4], s[10:11], v[19:20], v[15:16]
.LBB38_10:                              ;   in Loop: Header=BB38_4 Depth=1
	s_and_not1_b32 vcc_lo, exec_lo, s20
	s_cbranch_vccnz .LBB38_17
; %bb.11:                               ;   in Loop: Header=BB38_4 Depth=1
	s_waitcnt vmcnt(1)
	v_mul_f64 v[13:14], s[10:11], v[9:10]
	s_delay_alu instid0(VALU_DEP_1)
	v_fma_f64 v[13:14], s[6:7], v[13:14], v[5:6]
	s_cbranch_execnz .LBB38_13
.LBB38_12:                              ;   in Loop: Header=BB38_4 Depth=1
	s_waitcnt vmcnt(1)
	v_fma_f64 v[13:14], s[10:11], v[9:10], v[5:6]
.LBB38_13:                              ;   in Loop: Header=BB38_4 Depth=1
	s_and_not1_b32 vcc_lo, exec_lo, s20
	s_cbranch_vccnz .LBB38_18
; %bb.14:                               ;   in Loop: Header=BB38_4 Depth=1
	s_waitcnt vmcnt(1)
	v_mul_f64 v[5:6], s[10:11], v[11:12]
	s_delay_alu instid0(VALU_DEP_1)
	v_fma_f64 v[15:16], s[6:7], v[5:6], v[7:8]
	s_cbranch_execnz .LBB38_3
	s_branch .LBB38_19
.LBB38_15:                              ;   in Loop: Header=BB38_4 Depth=1
                                        ; implicit-def: $vgpr1_vgpr2
	s_branch .LBB38_6
.LBB38_16:                              ;   in Loop: Header=BB38_4 Depth=1
	s_branch .LBB38_9
.LBB38_17:                              ;   in Loop: Header=BB38_4 Depth=1
                                        ; implicit-def: $vgpr13_vgpr14
	s_branch .LBB38_12
.LBB38_18:                              ;   in Loop: Header=BB38_4 Depth=1
.LBB38_19:                              ;   in Loop: Header=BB38_4 Depth=1
	s_waitcnt vmcnt(1)
	v_fma_f64 v[15:16], s[10:11], v[11:12], v[7:8]
	s_branch .LBB38_3
.LBB38_20:
	s_or_b32 exec_lo, exec_lo, s19
	s_mov_b32 s2, 0
.LBB38_21:
	s_delay_alu instid0(SALU_CYCLE_1)
	s_and_not1_b32 vcc_lo, exec_lo, s2
	s_cbranch_vccnz .LBB38_57
; %bb.22:
	v_cmp_lt_i64_e64 s2, s[8:9], 1
	s_delay_alu instid0(VALU_DEP_1)
	s_and_b32 vcc_lo, exec_lo, s2
	s_cbranch_vccnz .LBB38_57
; %bb.23:
	s_load_b32 s0, s[0:1], 0xc64
	v_cmp_neq_f64_e64 s1, s[6:7], 1.0
	v_dual_mov_b32 v1, 0 :: v_dual_lshlrev_b32 v2, 3, v0
	v_cmp_gt_u64_e64 s2, 0x10000, s[8:9]
	s_mov_b32 s3, 0
	s_delay_alu instid0(VALU_DEP_2) | instskip(NEXT) | instid1(VALU_DEP_3)
	v_mov_b32_e32 v3, v1
	v_add_co_u32 v26, s12, s14, v2
	s_delay_alu instid0(VALU_DEP_1) | instskip(SKIP_1) | instid1(VALU_DEP_1)
	v_add_co_ci_u32_e64 v27, null, s15, 0, s12
	v_add_co_u32 v28, s12, s16, v2
	v_add_co_ci_u32_e64 v29, null, s17, 0, s12
	s_waitcnt lgkmcnt(0)
	s_and_b32 s18, s0, 0xffff
	s_and_b32 s0, s2, exec_lo
	v_mad_u64_u32 v[4:5], null, s18, 24, v[2:3]
	s_cselect_b32 s13, s9, 0
	s_cselect_b32 s12, s8, 0x10000
	s_lshl_b32 s0, s18, 4
	s_lshl_b32 s2, s18, 2
	v_add_co_u32 v2, s0, s0, v2
	s_delay_alu instid0(VALU_DEP_2) | instskip(NEXT) | instid1(VALU_DEP_3)
	v_add_co_u32 v30, vcc_lo, s14, v4
	v_add_co_ci_u32_e32 v31, vcc_lo, s15, v5, vcc_lo
	v_add_co_u32 v32, vcc_lo, s16, v4
	v_add_lshl_u32 v4, v0, s18, 3
	v_add_co_ci_u32_e64 v3, null, 0, 0, s0
	v_add_co_ci_u32_e32 v33, vcc_lo, s17, v5, vcc_lo
	v_add_co_u32 v34, vcc_lo, s14, v2
	s_delay_alu instid0(VALU_DEP_4) | instskip(NEXT) | instid1(VALU_DEP_4)
	v_add_co_u32 v38, s0, s14, v4
	v_add_co_ci_u32_e32 v35, vcc_lo, s15, v3, vcc_lo
	v_add_co_u32 v36, vcc_lo, s16, v2
	v_add_co_ci_u32_e64 v39, null, s15, 0, s0
	v_add_co_u32 v40, s0, s16, v4
	v_add_co_ci_u32_e32 v37, vcc_lo, s17, v3, vcc_lo
	v_add_co_ci_u32_e64 v41, null, s17, 0, s0
	s_lshl_b32 s19, s18, 1
	s_mul_i32 s20, s18, 3
	s_lshl_b32 s16, s18, 5
	s_mov_b64 s[14:15], s[2:3]
	s_branch .LBB38_25
.LBB38_24:                              ;   in Loop: Header=BB38_25 Depth=1
	s_or_b32 exec_lo, exec_lo, s0
	v_add_co_u32 v26, vcc_lo, v26, s16
	v_add_co_ci_u32_e32 v27, vcc_lo, 0, v27, vcc_lo
	v_add_co_u32 v28, vcc_lo, v28, s16
	v_add_co_ci_u32_e32 v29, vcc_lo, 0, v29, vcc_lo
	;; [unrolled: 2-line block ×7, first 2 shown]
	v_cmp_ge_i64_e64 s0, s[14:15], s[8:9]
	v_cmp_lt_u64_e64 s3, 0xffff, s[14:15]
	v_add_co_u32 v38, vcc_lo, v38, s16
	v_add_co_ci_u32_e32 v39, vcc_lo, 0, v39, vcc_lo
	v_add_co_u32 v40, vcc_lo, v40, s16
	v_add_co_ci_u32_e32 v41, vcc_lo, 0, v41, vcc_lo
	s_or_b32 s0, s0, s3
	s_add_u32 s14, s14, s2
	s_addc_u32 s15, s15, 0
	s_and_b32 vcc_lo, exec_lo, s0
	s_cbranch_vccnz .LBB38_57
.LBB38_25:                              ; =>This Inner Loop Header: Depth=1
	s_waitcnt vmcnt(0)
	v_mov_b32_e32 v8, 0
	v_mov_b32_e32 v9, 0
	v_cmp_gt_i64_e32 vcc_lo, s[8:9], v[0:1]
	v_cmp_gt_u64_e64 s0, 0x10000, v[0:1]
	s_delay_alu instid0(VALU_DEP_3) | instskip(SKIP_1) | instid1(VALU_DEP_3)
	v_dual_mov_b32 v13, v9 :: v_dual_mov_b32 v12, v8
	v_dual_mov_b32 v15, v9 :: v_dual_mov_b32 v14, v8
	s_and_b32 s3, vcc_lo, s0
	s_delay_alu instid0(SALU_CYCLE_1)
	s_and_saveexec_b32 s0, s3
	s_cbranch_execz .LBB38_27
; %bb.26:                               ;   in Loop: Header=BB38_25 Depth=1
	v_add_co_u32 v2, vcc_lo, v26, s4
	v_add_co_ci_u32_e32 v3, vcc_lo, s5, v27, vcc_lo
	v_add_co_u32 v4, vcc_lo, v28, s4
	v_add_co_ci_u32_e32 v5, vcc_lo, s5, v29, vcc_lo
	global_load_b64 v[14:15], v[2:3], off
	global_load_b64 v[12:13], v[4:5], off
.LBB38_27:                              ;   in Loop: Header=BB38_25 Depth=1
	s_or_b32 exec_lo, exec_lo, s0
	v_add_co_u32 v2, vcc_lo, s18, v0
	v_add_co_ci_u32_e32 v3, vcc_lo, 0, v1, vcc_lo
	s_waitcnt vmcnt(0)
	v_dual_mov_b32 v17, v9 :: v_dual_mov_b32 v16, v8
	s_delay_alu instid0(VALU_DEP_2) | instskip(SKIP_1) | instid1(VALU_DEP_1)
	v_cmp_gt_i64_e32 vcc_lo, s[8:9], v[2:3]
	v_cmp_gt_u64_e64 s0, 0x10000, v[2:3]
	s_and_b32 s3, vcc_lo, s0
	s_delay_alu instid0(SALU_CYCLE_1)
	s_and_saveexec_b32 s0, s3
	s_cbranch_execz .LBB38_29
; %bb.28:                               ;   in Loop: Header=BB38_25 Depth=1
	v_add_co_u32 v4, vcc_lo, v38, s4
	v_add_co_ci_u32_e32 v5, vcc_lo, s5, v39, vcc_lo
	v_add_co_u32 v6, vcc_lo, v40, s4
	v_add_co_ci_u32_e32 v7, vcc_lo, s5, v41, vcc_lo
	global_load_b64 v[16:17], v[4:5], off
	global_load_b64 v[8:9], v[6:7], off
.LBB38_29:                              ;   in Loop: Header=BB38_25 Depth=1
	s_or_b32 exec_lo, exec_lo, s0
	v_add_co_u32 v4, vcc_lo, s19, v0
	v_add_co_ci_u32_e32 v5, vcc_lo, 0, v1, vcc_lo
	v_mov_b32_e32 v10, 0
	v_mov_b32_e32 v11, 0
	s_delay_alu instid0(VALU_DEP_3) | instskip(SKIP_1) | instid1(VALU_DEP_3)
	v_cmp_gt_i64_e32 vcc_lo, s[8:9], v[4:5]
	v_cmp_gt_u64_e64 s0, 0x10000, v[4:5]
	v_dual_mov_b32 v19, v11 :: v_dual_mov_b32 v18, v10
	v_dual_mov_b32 v21, v11 :: v_dual_mov_b32 v20, v10
	s_delay_alu instid0(VALU_DEP_3) | instskip(NEXT) | instid1(SALU_CYCLE_1)
	s_and_b32 s3, vcc_lo, s0
	s_and_saveexec_b32 s0, s3
	s_cbranch_execz .LBB38_31
; %bb.30:                               ;   in Loop: Header=BB38_25 Depth=1
	v_add_co_u32 v6, vcc_lo, v34, s4
	v_add_co_ci_u32_e32 v7, vcc_lo, s5, v35, vcc_lo
	v_add_co_u32 v18, vcc_lo, v36, s4
	v_add_co_ci_u32_e32 v19, vcc_lo, s5, v37, vcc_lo
	global_load_b64 v[20:21], v[6:7], off
	global_load_b64 v[18:19], v[18:19], off
.LBB38_31:                              ;   in Loop: Header=BB38_25 Depth=1
	s_or_b32 exec_lo, exec_lo, s0
	v_add_co_u32 v6, vcc_lo, s20, v0
	v_add_co_ci_u32_e32 v7, vcc_lo, 0, v1, vcc_lo
	v_dual_mov_b32 v23, v11 :: v_dual_mov_b32 v22, v10
	s_delay_alu instid0(VALU_DEP_2) | instskip(SKIP_1) | instid1(VALU_DEP_1)
	v_cmp_gt_i64_e32 vcc_lo, s[8:9], v[6:7]
	v_cmp_gt_u64_e64 s0, 0x10000, v[6:7]
	s_and_b32 s3, vcc_lo, s0
	s_delay_alu instid0(SALU_CYCLE_1)
	s_and_saveexec_b32 s0, s3
	s_cbranch_execz .LBB38_33
; %bb.32:                               ;   in Loop: Header=BB38_25 Depth=1
	v_add_co_u32 v10, vcc_lo, v30, s4
	v_add_co_ci_u32_e32 v11, vcc_lo, s5, v31, vcc_lo
	v_add_co_u32 v24, vcc_lo, v32, s4
	v_add_co_ci_u32_e32 v25, vcc_lo, s5, v33, vcc_lo
	global_load_b64 v[22:23], v[10:11], off
	global_load_b64 v[10:11], v[24:25], off
.LBB38_33:                              ;   in Loop: Header=BB38_25 Depth=1
	s_or_b32 exec_lo, exec_lo, s0
	s_delay_alu instid0(SALU_CYCLE_1)
	s_and_b32 vcc_lo, exec_lo, s1
	s_cbranch_vccz .LBB38_53
; %bb.34:                               ;   in Loop: Header=BB38_25 Depth=1
	v_mul_f64 v[24:25], s[10:11], v[12:13]
	s_delay_alu instid0(VALU_DEP_1)
	v_fma_f64 v[24:25], s[6:7], v[24:25], v[14:15]
	s_cbranch_execnz .LBB38_36
.LBB38_35:                              ;   in Loop: Header=BB38_25 Depth=1
	v_fma_f64 v[24:25], s[10:11], v[12:13], v[14:15]
.LBB38_36:                              ;   in Loop: Header=BB38_25 Depth=1
	s_and_not1_b32 vcc_lo, exec_lo, s1
	s_cbranch_vccnz .LBB38_54
; %bb.37:                               ;   in Loop: Header=BB38_25 Depth=1
	s_waitcnt vmcnt(0)
	v_mul_f64 v[12:13], s[10:11], v[8:9]
	s_delay_alu instid0(VALU_DEP_1)
	v_fma_f64 v[12:13], s[6:7], v[12:13], v[16:17]
	s_cbranch_execnz .LBB38_39
.LBB38_38:                              ;   in Loop: Header=BB38_25 Depth=1
	s_waitcnt vmcnt(0)
	v_fma_f64 v[12:13], s[10:11], v[8:9], v[16:17]
.LBB38_39:                              ;   in Loop: Header=BB38_25 Depth=1
	s_and_not1_b32 vcc_lo, exec_lo, s1
	s_cbranch_vccnz .LBB38_55
; %bb.40:                               ;   in Loop: Header=BB38_25 Depth=1
	s_waitcnt vmcnt(0)
	v_mul_f64 v[8:9], s[10:11], v[18:19]
	s_delay_alu instid0(VALU_DEP_1)
	v_fma_f64 v[8:9], s[6:7], v[8:9], v[20:21]
	s_cbranch_execnz .LBB38_42
.LBB38_41:                              ;   in Loop: Header=BB38_25 Depth=1
	s_waitcnt vmcnt(0)
	v_fma_f64 v[8:9], s[10:11], v[18:19], v[20:21]
.LBB38_42:                              ;   in Loop: Header=BB38_25 Depth=1
	s_and_not1_b32 vcc_lo, exec_lo, s1
	s_cbranch_vccnz .LBB38_56
; %bb.43:                               ;   in Loop: Header=BB38_25 Depth=1
	s_waitcnt vmcnt(0)
	v_mul_f64 v[14:15], s[10:11], v[10:11]
	s_delay_alu instid0(VALU_DEP_1)
	v_fma_f64 v[14:15], s[6:7], v[14:15], v[22:23]
	s_cbranch_execnz .LBB38_45
.LBB38_44:                              ;   in Loop: Header=BB38_25 Depth=1
	s_waitcnt vmcnt(0)
	v_fma_f64 v[14:15], s[10:11], v[10:11], v[22:23]
.LBB38_45:                              ;   in Loop: Header=BB38_25 Depth=1
	s_mov_b32 s0, exec_lo
	v_cmpx_gt_u64_e64 s[12:13], v[0:1]
	s_xor_b32 s0, exec_lo, s0
	s_cbranch_execz .LBB38_47
; %bb.46:                               ;   in Loop: Header=BB38_25 Depth=1
	s_waitcnt vmcnt(0)
	v_add_co_u32 v10, vcc_lo, v26, s4
	v_add_co_ci_u32_e32 v11, vcc_lo, s5, v27, vcc_lo
	global_store_b64 v[10:11], v[24:25], off
.LBB38_47:                              ;   in Loop: Header=BB38_25 Depth=1
	s_or_b32 exec_lo, exec_lo, s0
	s_delay_alu instid0(SALU_CYCLE_1)
	s_mov_b32 s0, exec_lo
	v_cmpx_gt_u64_e64 s[12:13], v[2:3]
	s_cbranch_execnz .LBB38_50
; %bb.48:                               ;   in Loop: Header=BB38_25 Depth=1
	s_or_b32 exec_lo, exec_lo, s0
	s_delay_alu instid0(SALU_CYCLE_1)
	s_mov_b32 s0, exec_lo
	v_cmpx_gt_u64_e64 s[12:13], v[4:5]
	s_cbranch_execnz .LBB38_51
.LBB38_49:                              ;   in Loop: Header=BB38_25 Depth=1
	s_or_b32 exec_lo, exec_lo, s0
	s_delay_alu instid0(SALU_CYCLE_1)
	s_mov_b32 s0, exec_lo
	v_cmpx_gt_u64_e64 s[12:13], v[6:7]
	s_cbranch_execz .LBB38_24
	s_branch .LBB38_52
.LBB38_50:                              ;   in Loop: Header=BB38_25 Depth=1
	v_add_co_u32 v2, vcc_lo, v38, s4
	v_add_co_ci_u32_e32 v3, vcc_lo, s5, v39, vcc_lo
	global_store_b64 v[2:3], v[12:13], off
	s_or_b32 exec_lo, exec_lo, s0
	s_delay_alu instid0(SALU_CYCLE_1)
	s_mov_b32 s0, exec_lo
	v_cmpx_gt_u64_e64 s[12:13], v[4:5]
	s_cbranch_execz .LBB38_49
.LBB38_51:                              ;   in Loop: Header=BB38_25 Depth=1
	v_add_co_u32 v2, vcc_lo, v34, s4
	v_add_co_ci_u32_e32 v3, vcc_lo, s5, v35, vcc_lo
	s_waitcnt vmcnt(0)
	global_store_b64 v[2:3], v[8:9], off
	s_or_b32 exec_lo, exec_lo, s0
	s_delay_alu instid0(SALU_CYCLE_1)
	s_mov_b32 s0, exec_lo
	v_cmpx_gt_u64_e64 s[12:13], v[6:7]
	s_cbranch_execz .LBB38_24
.LBB38_52:                              ;   in Loop: Header=BB38_25 Depth=1
	v_add_co_u32 v2, vcc_lo, v30, s4
	v_add_co_ci_u32_e32 v3, vcc_lo, s5, v31, vcc_lo
	global_store_b64 v[2:3], v[14:15], off
	s_branch .LBB38_24
.LBB38_53:                              ;   in Loop: Header=BB38_25 Depth=1
                                        ; implicit-def: $vgpr24_vgpr25
	s_branch .LBB38_35
.LBB38_54:                              ;   in Loop: Header=BB38_25 Depth=1
                                        ; implicit-def: $vgpr12_vgpr13
	s_branch .LBB38_38
.LBB38_55:                              ;   in Loop: Header=BB38_25 Depth=1
                                        ; implicit-def: $vgpr8_vgpr9
	s_branch .LBB38_41
.LBB38_56:                              ;   in Loop: Header=BB38_25 Depth=1
                                        ; implicit-def: $vgpr14_vgpr15
	s_branch .LBB38_44
.LBB38_57:
	s_nop 0
	s_sendmsg sendmsg(MSG_DEALLOC_VGPRS)
	s_endpgm
	.section	.rodata,"a",@progbits
	.p2align	6, 0x0
	.amdhsa_kernel _ZN2at6native12_GLOBAL__N_125multi_tensor_apply_kernelINS1_18TensorListMetadataILi3EEENS1_32PointwiseOpScalar0dTensorFunctorIdLi3ELi2ELi0EEEJSt10multipliesIdEdEEEvT_T0_DpT1_
		.amdhsa_group_segment_fixed_size 0
		.amdhsa_private_segment_fixed_size 0
		.amdhsa_kernarg_size 3416
		.amdhsa_user_sgpr_count 15
		.amdhsa_user_sgpr_dispatch_ptr 0
		.amdhsa_user_sgpr_queue_ptr 0
		.amdhsa_user_sgpr_kernarg_segment_ptr 1
		.amdhsa_user_sgpr_dispatch_id 0
		.amdhsa_user_sgpr_private_segment_size 0
		.amdhsa_wavefront_size32 1
		.amdhsa_uses_dynamic_stack 0
		.amdhsa_enable_private_segment 0
		.amdhsa_system_sgpr_workgroup_id_x 1
		.amdhsa_system_sgpr_workgroup_id_y 0
		.amdhsa_system_sgpr_workgroup_id_z 0
		.amdhsa_system_sgpr_workgroup_info 0
		.amdhsa_system_vgpr_workitem_id 0
		.amdhsa_next_free_vgpr 42
		.amdhsa_next_free_sgpr 26
		.amdhsa_reserve_vcc 1
		.amdhsa_float_round_mode_32 0
		.amdhsa_float_round_mode_16_64 0
		.amdhsa_float_denorm_mode_32 3
		.amdhsa_float_denorm_mode_16_64 3
		.amdhsa_dx10_clamp 1
		.amdhsa_ieee_mode 1
		.amdhsa_fp16_overflow 0
		.amdhsa_workgroup_processor_mode 1
		.amdhsa_memory_ordered 1
		.amdhsa_forward_progress 0
		.amdhsa_shared_vgpr_count 0
		.amdhsa_exception_fp_ieee_invalid_op 0
		.amdhsa_exception_fp_denorm_src 0
		.amdhsa_exception_fp_ieee_div_zero 0
		.amdhsa_exception_fp_ieee_overflow 0
		.amdhsa_exception_fp_ieee_underflow 0
		.amdhsa_exception_fp_ieee_inexact 0
		.amdhsa_exception_int_div_zero 0
	.end_amdhsa_kernel
	.section	.text._ZN2at6native12_GLOBAL__N_125multi_tensor_apply_kernelINS1_18TensorListMetadataILi3EEENS1_32PointwiseOpScalar0dTensorFunctorIdLi3ELi2ELi0EEEJSt10multipliesIdEdEEEvT_T0_DpT1_,"axG",@progbits,_ZN2at6native12_GLOBAL__N_125multi_tensor_apply_kernelINS1_18TensorListMetadataILi3EEENS1_32PointwiseOpScalar0dTensorFunctorIdLi3ELi2ELi0EEEJSt10multipliesIdEdEEEvT_T0_DpT1_,comdat
.Lfunc_end38:
	.size	_ZN2at6native12_GLOBAL__N_125multi_tensor_apply_kernelINS1_18TensorListMetadataILi3EEENS1_32PointwiseOpScalar0dTensorFunctorIdLi3ELi2ELi0EEEJSt10multipliesIdEdEEEvT_T0_DpT1_, .Lfunc_end38-_ZN2at6native12_GLOBAL__N_125multi_tensor_apply_kernelINS1_18TensorListMetadataILi3EEENS1_32PointwiseOpScalar0dTensorFunctorIdLi3ELi2ELi0EEEJSt10multipliesIdEdEEEvT_T0_DpT1_
                                        ; -- End function
	.section	.AMDGPU.csdata,"",@progbits
; Kernel info:
; codeLenInByte = 2028
; NumSgprs: 28
; NumVgprs: 42
; ScratchSize: 0
; MemoryBound: 1
; FloatMode: 240
; IeeeMode: 1
; LDSByteSize: 0 bytes/workgroup (compile time only)
; SGPRBlocks: 3
; VGPRBlocks: 5
; NumSGPRsForWavesPerEU: 28
; NumVGPRsForWavesPerEU: 42
; Occupancy: 16
; WaveLimiterHint : 0
; COMPUTE_PGM_RSRC2:SCRATCH_EN: 0
; COMPUTE_PGM_RSRC2:USER_SGPR: 15
; COMPUTE_PGM_RSRC2:TRAP_HANDLER: 0
; COMPUTE_PGM_RSRC2:TGID_X_EN: 1
; COMPUTE_PGM_RSRC2:TGID_Y_EN: 0
; COMPUTE_PGM_RSRC2:TGID_Z_EN: 0
; COMPUTE_PGM_RSRC2:TIDIG_COMP_CNT: 0
	.section	.text._ZN2at6native12_GLOBAL__N_125multi_tensor_apply_kernelINS1_18TensorListMetadataILi3EEENS1_32PointwiseOpScalar0dTensorFunctorIfLi3ELi2ELi0EEEJSt10multipliesIfEfEEEvT_T0_DpT1_,"axG",@progbits,_ZN2at6native12_GLOBAL__N_125multi_tensor_apply_kernelINS1_18TensorListMetadataILi3EEENS1_32PointwiseOpScalar0dTensorFunctorIfLi3ELi2ELi0EEEJSt10multipliesIfEfEEEvT_T0_DpT1_,comdat
	.globl	_ZN2at6native12_GLOBAL__N_125multi_tensor_apply_kernelINS1_18TensorListMetadataILi3EEENS1_32PointwiseOpScalar0dTensorFunctorIfLi3ELi2ELi0EEEJSt10multipliesIfEfEEEvT_T0_DpT1_ ; -- Begin function _ZN2at6native12_GLOBAL__N_125multi_tensor_apply_kernelINS1_18TensorListMetadataILi3EEENS1_32PointwiseOpScalar0dTensorFunctorIfLi3ELi2ELi0EEEJSt10multipliesIfEfEEEvT_T0_DpT1_
	.p2align	8
	.type	_ZN2at6native12_GLOBAL__N_125multi_tensor_apply_kernelINS1_18TensorListMetadataILi3EEENS1_32PointwiseOpScalar0dTensorFunctorIfLi3ELi2ELi0EEEJSt10multipliesIfEfEEEvT_T0_DpT1_,@function
_ZN2at6native12_GLOBAL__N_125multi_tensor_apply_kernelINS1_18TensorListMetadataILi3EEENS1_32PointwiseOpScalar0dTensorFunctorIfLi3ELi2ELi0EEEJSt10multipliesIfEfEEEvT_T0_DpT1_: ; @_ZN2at6native12_GLOBAL__N_125multi_tensor_apply_kernelINS1_18TensorListMetadataILi3EEENS1_32PointwiseOpScalar0dTensorFunctorIfLi3ELi2ELi0EEEJSt10multipliesIfEfEEEvT_T0_DpT1_
; %bb.0:
	v_mov_b32_e32 v1, s15
	s_add_u32 s2, s0, s15
	s_mul_hi_u32 s3, s15, 3
	s_mul_i32 s15, s15, 3
	s_addc_u32 s4, s1, 0
	global_load_u8 v1, v1, s[0:1] offset:1536
	s_load_b32 s14, s[0:1], 0xc4c
	s_add_u32 s2, s2, s15
	s_addc_u32 s3, s4, s3
	s_mov_b32 s23, 0
	s_load_b32 s6, s[2:3], 0x740
	s_mov_b32 s25, s23
	s_waitcnt lgkmcnt(0)
	s_ashr_i32 s7, s6, 31
	s_delay_alu instid0(SALU_CYCLE_1) | instskip(SKIP_2) | instid1(VALU_DEP_1)
	s_lshl_b64 s[4:5], s[6:7], 18
	s_waitcnt vmcnt(0)
	v_readfirstlane_b32 s2, v1
	s_lshl_b32 s2, s2, 3
	s_clause 0x3
	s_load_b64 s[10:11], s[0:1], s2 offset:0x0
	s_load_b64 s[18:19], s[0:1], s2 offset:0x180
	;; [unrolled: 1-line block ×4, first 2 shown]
	s_waitcnt lgkmcnt(0)
	s_add_u32 s3, s10, s4
	s_addc_u32 s8, s11, s5
	s_add_u32 s2, s18, s4
	s_and_b32 s22, s3, 15
	s_add_u32 s9, s12, s4
	s_addc_u32 s16, s13, s5
	s_or_b32 s2, s9, s2
	s_load_b32 s15, s[18:19], 0x0
	s_and_b32 s2, s2, 15
	s_delay_alu instid0(SALU_CYCLE_1) | instskip(SKIP_2) | instid1(SALU_CYCLE_1)
	s_cmp_lg_u32 s2, 0
	s_cselect_b32 s2, -1, 0
	s_lshl_b64 s[6:7], s[6:7], 16
	s_sub_u32 s6, s20, s6
	s_subb_u32 s7, s21, s7
	s_and_b32 s24, s20, 3
	s_delay_alu instid0(SALU_CYCLE_1) | instskip(NEXT) | instid1(SALU_CYCLE_1)
	s_or_b64 s[18:19], s[22:23], s[24:25]
	s_cmp_lg_u64 s[18:19], 0
	s_cselect_b32 s17, -1, 0
	s_delay_alu instid0(SALU_CYCLE_1) | instskip(NEXT) | instid1(SALU_CYCLE_1)
	s_or_b32 s2, s2, s17
	s_and_not1_b32 vcc_lo, exec_lo, s2
	s_mov_b32 s2, -1
	s_cbranch_vccz .LBB39_21
; %bb.1:
	v_dual_mov_b32 v11, 0 :: v_dual_lshlrev_b32 v10, 2, v0
	s_mov_b32 s17, exec_lo
	s_delay_alu instid0(VALU_DEP_1)
	v_cmpx_gt_i64_e64 s[6:7], v[10:11]
	s_cbranch_execz .LBB39_20
; %bb.2:
	s_load_b32 s2, s[0:1], 0xc5c
	v_lshlrev_b32_e32 v14, 4, v0
	v_cmp_neq_f32_e64 s18, s14, 1.0
	s_mov_b32 s19, 0
	s_waitcnt lgkmcnt(0)
	s_and_b32 s2, s2, 0xffff
	s_delay_alu instid0(SALU_CYCLE_1)
	v_add_lshl_u32 v10, v0, s2, 2
	s_lshl_b32 s20, s2, 2
	s_lshl_b32 s21, s2, 4
	s_branch .LBB39_4
.LBB39_3:                               ;   in Loop: Header=BB39_4 Depth=1
	v_cmp_le_i64_e32 vcc_lo, s[6:7], v[10:11]
	v_cmp_lt_u64_e64 s2, 0xffff, v[10:11]
	s_waitcnt vmcnt(1)
	global_store_b128 v[12:13], v[1:4], off
	s_or_b32 s2, vcc_lo, s2
	s_add_u32 s3, s3, s21
	v_add_co_u32 v10, vcc_lo, v10, s20
	s_addc_u32 s8, s8, 0
	s_add_u32 s9, s9, s21
	v_add_co_ci_u32_e32 v11, vcc_lo, 0, v11, vcc_lo
	s_addc_u32 s16, s16, 0
	s_and_b32 s2, exec_lo, s2
	s_delay_alu instid0(SALU_CYCLE_1) | instskip(NEXT) | instid1(SALU_CYCLE_1)
	s_or_b32 s19, s2, s19
	s_and_not1_b32 exec_lo, exec_lo, s19
	s_cbranch_execz .LBB39_20
.LBB39_4:                               ; =>This Inner Loop Header: Depth=1
	v_add_co_u32 v12, s2, s3, v14
	s_delay_alu instid0(VALU_DEP_1) | instskip(SKIP_2) | instid1(VALU_DEP_1)
	v_add_co_ci_u32_e64 v13, null, s8, 0, s2
	s_waitcnt vmcnt(0)
	v_add_co_u32 v6, s2, s9, v14
	v_add_co_ci_u32_e64 v7, null, s16, 0, s2
	global_load_b128 v[2:5], v[12:13], off
	global_load_b128 v[6:9], v[6:7], off
	s_and_b32 vcc_lo, exec_lo, s18
	s_cbranch_vccz .LBB39_15
; %bb.5:                                ;   in Loop: Header=BB39_4 Depth=1
	s_waitcnt vmcnt(0)
	v_mul_f32_e32 v1, s15, v6
	s_delay_alu instid0(VALU_DEP_1)
	v_fma_f32 v1, s14, v1, v2
	s_cbranch_execnz .LBB39_7
.LBB39_6:                               ;   in Loop: Header=BB39_4 Depth=1
	s_waitcnt vmcnt(0)
	v_fma_f32 v1, s15, v6, v2
.LBB39_7:                               ;   in Loop: Header=BB39_4 Depth=1
	s_and_not1_b32 vcc_lo, exec_lo, s18
	s_cbranch_vccnz .LBB39_16
; %bb.8:                                ;   in Loop: Header=BB39_4 Depth=1
	s_waitcnt vmcnt(0)
	v_mul_f32_e32 v2, s15, v7
	s_delay_alu instid0(VALU_DEP_1)
	v_fma_f32 v2, s14, v2, v3
	s_cbranch_execnz .LBB39_10
.LBB39_9:                               ;   in Loop: Header=BB39_4 Depth=1
	s_waitcnt vmcnt(0)
	v_fma_f32 v2, s15, v7, v3
.LBB39_10:                              ;   in Loop: Header=BB39_4 Depth=1
	s_and_not1_b32 vcc_lo, exec_lo, s18
	s_cbranch_vccnz .LBB39_17
; %bb.11:                               ;   in Loop: Header=BB39_4 Depth=1
	s_waitcnt vmcnt(0)
	v_mul_f32_e32 v3, s15, v8
	s_delay_alu instid0(VALU_DEP_1)
	v_fma_f32 v3, s14, v3, v4
	s_cbranch_execnz .LBB39_13
.LBB39_12:                              ;   in Loop: Header=BB39_4 Depth=1
	s_waitcnt vmcnt(0)
	v_fma_f32 v3, s15, v8, v4
.LBB39_13:                              ;   in Loop: Header=BB39_4 Depth=1
	s_and_not1_b32 vcc_lo, exec_lo, s18
	s_cbranch_vccnz .LBB39_18
; %bb.14:                               ;   in Loop: Header=BB39_4 Depth=1
	s_waitcnt vmcnt(0)
	v_mul_f32_e32 v4, s15, v9
	s_delay_alu instid0(VALU_DEP_1)
	v_fma_f32 v4, s14, v4, v5
	s_cbranch_execnz .LBB39_3
	s_branch .LBB39_19
.LBB39_15:                              ;   in Loop: Header=BB39_4 Depth=1
                                        ; implicit-def: $vgpr1
	s_branch .LBB39_6
.LBB39_16:                              ;   in Loop: Header=BB39_4 Depth=1
	s_branch .LBB39_9
.LBB39_17:                              ;   in Loop: Header=BB39_4 Depth=1
	s_branch .LBB39_12
.LBB39_18:                              ;   in Loop: Header=BB39_4 Depth=1
.LBB39_19:                              ;   in Loop: Header=BB39_4 Depth=1
	s_waitcnt vmcnt(0)
	v_fmac_f32_e32 v5, s15, v9
	s_delay_alu instid0(VALU_DEP_1)
	v_mov_b32_e32 v4, v5
	s_branch .LBB39_3
.LBB39_20:
	s_or_b32 exec_lo, exec_lo, s17
	s_mov_b32 s2, 0
.LBB39_21:
	s_delay_alu instid0(SALU_CYCLE_1)
	s_and_not1_b32 vcc_lo, exec_lo, s2
	s_cbranch_vccnz .LBB39_57
; %bb.22:
	v_cmp_lt_i64_e64 s2, s[6:7], 1
	s_delay_alu instid0(VALU_DEP_1)
	s_and_b32 vcc_lo, exec_lo, s2
	s_cbranch_vccnz .LBB39_57
; %bb.23:
	s_load_b32 s0, s[0:1], 0xc5c
	v_dual_mov_b32 v1, 0 :: v_dual_lshlrev_b32 v2, 2, v0
	v_cmp_gt_u64_e64 s2, 0x10000, s[6:7]
	s_mov_b32 s3, 0
	s_delay_alu instid0(VALU_DEP_2) | instskip(SKIP_2) | instid1(VALU_DEP_1)
	v_mov_b32_e32 v3, v1
	s_waitcnt vmcnt(0)
	v_add_co_u32 v8, s1, s10, v2
	v_add_co_ci_u32_e64 v9, null, s11, 0, s1
	v_add_co_u32 v10, s1, s12, v2
	s_delay_alu instid0(VALU_DEP_1)
	v_add_co_ci_u32_e64 v11, null, s13, 0, s1
	s_waitcnt lgkmcnt(0)
	s_and_b32 s1, s0, 0xffff
	s_and_b32 s0, s2, exec_lo
	v_mad_u64_u32 v[4:5], null, s1, 12, v[2:3]
	s_cselect_b32 s9, s7, 0
	s_cselect_b32 s8, s6, 0x10000
	s_lshl_b32 s0, s1, 3
	s_lshl_b32 s2, s1, 2
	v_add_co_u32 v2, s0, s0, v2
	s_delay_alu instid0(VALU_DEP_2) | instskip(NEXT) | instid1(VALU_DEP_3)
	v_add_co_u32 v12, vcc_lo, s10, v4
	v_add_co_ci_u32_e32 v13, vcc_lo, s11, v5, vcc_lo
	v_add_co_u32 v14, vcc_lo, s12, v4
	v_add_lshl_u32 v4, v0, s1, 2
	v_add_co_ci_u32_e64 v3, null, 0, 0, s0
	v_add_co_ci_u32_e32 v15, vcc_lo, s13, v5, vcc_lo
	v_add_co_u32 v16, vcc_lo, s10, v2
	s_delay_alu instid0(VALU_DEP_4) | instskip(NEXT) | instid1(VALU_DEP_4)
	v_add_co_u32 v20, s0, s10, v4
	v_add_co_ci_u32_e32 v17, vcc_lo, s11, v3, vcc_lo
	v_add_co_u32 v18, vcc_lo, s12, v2
	v_add_co_ci_u32_e64 v21, null, s11, 0, s0
	v_add_co_u32 v22, s0, s12, v4
	v_add_co_ci_u32_e32 v19, vcc_lo, s13, v3, vcc_lo
	v_add_co_ci_u32_e64 v23, null, s13, 0, s0
	v_cmp_neq_f32_e64 s12, s14, 1.0
	s_lshl_b32 s16, s1, 1
	s_mul_i32 s17, s1, 3
	s_lshl_b32 s13, s1, 4
	s_mov_b64 s[10:11], s[2:3]
	s_branch .LBB39_25
.LBB39_24:                              ;   in Loop: Header=BB39_25 Depth=1
	s_or_b32 exec_lo, exec_lo, s0
	v_add_co_u32 v8, vcc_lo, v8, s13
	v_add_co_ci_u32_e32 v9, vcc_lo, 0, v9, vcc_lo
	v_add_co_u32 v10, vcc_lo, v10, s13
	v_add_co_ci_u32_e32 v11, vcc_lo, 0, v11, vcc_lo
	;; [unrolled: 2-line block ×7, first 2 shown]
	v_cmp_ge_i64_e64 s0, s[10:11], s[6:7]
	v_cmp_lt_u64_e64 s3, 0xffff, s[10:11]
	v_add_co_u32 v20, vcc_lo, v20, s13
	v_add_co_ci_u32_e32 v21, vcc_lo, 0, v21, vcc_lo
	v_add_co_u32 v22, vcc_lo, v22, s13
	v_add_co_ci_u32_e32 v23, vcc_lo, 0, v23, vcc_lo
	s_or_b32 s0, s0, s3
	s_add_u32 s10, s10, s2
	s_addc_u32 s11, s11, 0
	s_and_b32 vcc_lo, exec_lo, s0
	s_cbranch_vccnz .LBB39_57
.LBB39_25:                              ; =>This Inner Loop Header: Depth=1
	v_cmp_gt_i64_e32 vcc_lo, s[6:7], v[0:1]
	v_cmp_gt_u64_e64 s0, 0x10000, v[0:1]
	s_waitcnt vmcnt(0)
	v_dual_mov_b32 v26, 0 :: v_dual_mov_b32 v25, 0
	s_delay_alu instid0(VALU_DEP_2) | instskip(NEXT) | instid1(SALU_CYCLE_1)
	s_and_b32 s3, vcc_lo, s0
	s_and_saveexec_b32 s0, s3
	s_cbranch_execz .LBB39_27
; %bb.26:                               ;   in Loop: Header=BB39_25 Depth=1
	v_add_co_u32 v2, vcc_lo, v8, s4
	v_add_co_ci_u32_e32 v3, vcc_lo, s5, v9, vcc_lo
	v_add_co_u32 v4, vcc_lo, v10, s4
	v_add_co_ci_u32_e32 v5, vcc_lo, s5, v11, vcc_lo
	global_load_b32 v25, v[2:3], off
	global_load_b32 v26, v[4:5], off
.LBB39_27:                              ;   in Loop: Header=BB39_25 Depth=1
	s_or_b32 exec_lo, exec_lo, s0
	v_add_co_u32 v2, vcc_lo, s1, v0
	v_add_co_ci_u32_e32 v3, vcc_lo, 0, v1, vcc_lo
	v_dual_mov_b32 v24, 0 :: v_dual_mov_b32 v27, 0
	v_mov_b32_e32 v28, 0
	s_delay_alu instid0(VALU_DEP_3) | instskip(SKIP_1) | instid1(VALU_DEP_1)
	v_cmp_gt_i64_e32 vcc_lo, s[6:7], v[2:3]
	v_cmp_gt_u64_e64 s0, 0x10000, v[2:3]
	s_and_b32 s3, vcc_lo, s0
	s_delay_alu instid0(SALU_CYCLE_1)
	s_and_saveexec_b32 s0, s3
	s_cbranch_execz .LBB39_29
; %bb.28:                               ;   in Loop: Header=BB39_25 Depth=1
	v_add_co_u32 v4, vcc_lo, v20, s4
	v_add_co_ci_u32_e32 v5, vcc_lo, s5, v21, vcc_lo
	v_add_co_u32 v6, vcc_lo, v22, s4
	v_add_co_ci_u32_e32 v7, vcc_lo, s5, v23, vcc_lo
	global_load_b32 v27, v[4:5], off
	global_load_b32 v28, v[6:7], off
.LBB39_29:                              ;   in Loop: Header=BB39_25 Depth=1
	s_or_b32 exec_lo, exec_lo, s0
	v_add_co_u32 v4, vcc_lo, s16, v0
	v_add_co_ci_u32_e32 v5, vcc_lo, 0, v1, vcc_lo
	v_mov_b32_e32 v29, 0
	s_delay_alu instid0(VALU_DEP_2) | instskip(SKIP_1) | instid1(VALU_DEP_1)
	v_cmp_gt_i64_e32 vcc_lo, s[6:7], v[4:5]
	v_cmp_gt_u64_e64 s0, 0x10000, v[4:5]
	s_and_b32 s3, vcc_lo, s0
	s_delay_alu instid0(SALU_CYCLE_1)
	s_and_saveexec_b32 s0, s3
	s_cbranch_execz .LBB39_31
; %bb.30:                               ;   in Loop: Header=BB39_25 Depth=1
	v_add_co_u32 v6, vcc_lo, v16, s4
	v_add_co_ci_u32_e32 v7, vcc_lo, s5, v17, vcc_lo
	v_add_co_u32 v30, vcc_lo, v18, s4
	v_add_co_ci_u32_e32 v31, vcc_lo, s5, v19, vcc_lo
	global_load_b32 v29, v[6:7], off
	global_load_b32 v24, v[30:31], off
.LBB39_31:                              ;   in Loop: Header=BB39_25 Depth=1
	s_or_b32 exec_lo, exec_lo, s0
	v_add_co_u32 v6, vcc_lo, s17, v0
	v_add_co_ci_u32_e32 v7, vcc_lo, 0, v1, vcc_lo
	v_dual_mov_b32 v30, 0 :: v_dual_mov_b32 v31, 0
	s_delay_alu instid0(VALU_DEP_2) | instskip(SKIP_1) | instid1(VALU_DEP_1)
	v_cmp_gt_i64_e32 vcc_lo, s[6:7], v[6:7]
	v_cmp_gt_u64_e64 s0, 0x10000, v[6:7]
	s_and_b32 s3, vcc_lo, s0
	s_delay_alu instid0(SALU_CYCLE_1)
	s_and_saveexec_b32 s0, s3
	s_cbranch_execz .LBB39_33
; %bb.32:                               ;   in Loop: Header=BB39_25 Depth=1
	v_add_co_u32 v30, vcc_lo, v12, s4
	v_add_co_ci_u32_e32 v31, vcc_lo, s5, v13, vcc_lo
	v_add_co_u32 v32, vcc_lo, v14, s4
	v_add_co_ci_u32_e32 v33, vcc_lo, s5, v15, vcc_lo
	global_load_b32 v31, v[30:31], off
	global_load_b32 v30, v[32:33], off
.LBB39_33:                              ;   in Loop: Header=BB39_25 Depth=1
	s_or_b32 exec_lo, exec_lo, s0
	s_delay_alu instid0(SALU_CYCLE_1)
	s_and_b32 vcc_lo, exec_lo, s12
	s_cbranch_vccz .LBB39_53
; %bb.34:                               ;   in Loop: Header=BB39_25 Depth=1
	s_waitcnt vmcnt(0)
	v_mul_f32_e32 v32, s15, v26
	s_delay_alu instid0(VALU_DEP_1)
	v_fma_f32 v32, s14, v32, v25
	s_cbranch_execnz .LBB39_36
.LBB39_35:                              ;   in Loop: Header=BB39_25 Depth=1
	s_waitcnt vmcnt(0)
	v_fmac_f32_e32 v25, s15, v26
	s_delay_alu instid0(VALU_DEP_1)
	v_mov_b32_e32 v32, v25
.LBB39_36:                              ;   in Loop: Header=BB39_25 Depth=1
	s_and_not1_b32 vcc_lo, exec_lo, s12
	s_cbranch_vccnz .LBB39_54
; %bb.37:                               ;   in Loop: Header=BB39_25 Depth=1
	s_waitcnt vmcnt(0)
	v_mul_f32_e32 v25, s15, v28
	s_delay_alu instid0(VALU_DEP_1)
	v_fma_f32 v25, s14, v25, v27
	s_cbranch_execnz .LBB39_39
.LBB39_38:                              ;   in Loop: Header=BB39_25 Depth=1
	s_waitcnt vmcnt(0)
	v_fmac_f32_e32 v27, s15, v28
	s_delay_alu instid0(VALU_DEP_1)
	v_mov_b32_e32 v25, v27
.LBB39_39:                              ;   in Loop: Header=BB39_25 Depth=1
	s_and_not1_b32 vcc_lo, exec_lo, s12
	s_cbranch_vccnz .LBB39_55
; %bb.40:                               ;   in Loop: Header=BB39_25 Depth=1
	s_waitcnt vmcnt(0)
	v_mul_f32_e32 v26, s15, v24
	s_delay_alu instid0(VALU_DEP_1)
	v_fma_f32 v26, s14, v26, v29
	s_cbranch_execnz .LBB39_42
.LBB39_41:                              ;   in Loop: Header=BB39_25 Depth=1
	s_waitcnt vmcnt(0)
	v_fmac_f32_e32 v29, s15, v24
	s_delay_alu instid0(VALU_DEP_1)
	v_mov_b32_e32 v26, v29
.LBB39_42:                              ;   in Loop: Header=BB39_25 Depth=1
	s_and_not1_b32 vcc_lo, exec_lo, s12
	s_cbranch_vccnz .LBB39_56
; %bb.43:                               ;   in Loop: Header=BB39_25 Depth=1
	s_waitcnt vmcnt(0)
	v_mul_f32_e32 v24, s15, v30
	s_delay_alu instid0(VALU_DEP_1)
	v_fma_f32 v24, s14, v24, v31
	s_cbranch_execnz .LBB39_45
.LBB39_44:                              ;   in Loop: Header=BB39_25 Depth=1
	s_waitcnt vmcnt(0)
	v_fmac_f32_e32 v31, s15, v30
	s_delay_alu instid0(VALU_DEP_1)
	v_mov_b32_e32 v24, v31
.LBB39_45:                              ;   in Loop: Header=BB39_25 Depth=1
	s_mov_b32 s0, exec_lo
	v_cmpx_gt_u64_e64 s[8:9], v[0:1]
	s_xor_b32 s0, exec_lo, s0
	s_cbranch_execz .LBB39_47
; %bb.46:                               ;   in Loop: Header=BB39_25 Depth=1
	s_waitcnt vmcnt(1)
	v_add_co_u32 v27, vcc_lo, v8, s4
	s_waitcnt vmcnt(0)
	v_add_co_ci_u32_e32 v28, vcc_lo, s5, v9, vcc_lo
	global_store_b32 v[27:28], v32, off
.LBB39_47:                              ;   in Loop: Header=BB39_25 Depth=1
	s_or_b32 exec_lo, exec_lo, s0
	s_delay_alu instid0(SALU_CYCLE_1)
	s_mov_b32 s0, exec_lo
	v_cmpx_gt_u64_e64 s[8:9], v[2:3]
	s_cbranch_execnz .LBB39_50
; %bb.48:                               ;   in Loop: Header=BB39_25 Depth=1
	s_or_b32 exec_lo, exec_lo, s0
	s_delay_alu instid0(SALU_CYCLE_1)
	s_mov_b32 s0, exec_lo
	v_cmpx_gt_u64_e64 s[8:9], v[4:5]
	s_cbranch_execnz .LBB39_51
.LBB39_49:                              ;   in Loop: Header=BB39_25 Depth=1
	s_or_b32 exec_lo, exec_lo, s0
	s_delay_alu instid0(SALU_CYCLE_1)
	s_mov_b32 s0, exec_lo
	v_cmpx_gt_u64_e64 s[8:9], v[6:7]
	s_cbranch_execz .LBB39_24
	s_branch .LBB39_52
.LBB39_50:                              ;   in Loop: Header=BB39_25 Depth=1
	v_add_co_u32 v2, vcc_lo, v20, s4
	v_add_co_ci_u32_e32 v3, vcc_lo, s5, v21, vcc_lo
	s_waitcnt vmcnt(1)
	global_store_b32 v[2:3], v25, off
	s_or_b32 exec_lo, exec_lo, s0
	s_delay_alu instid0(SALU_CYCLE_1)
	s_mov_b32 s0, exec_lo
	v_cmpx_gt_u64_e64 s[8:9], v[4:5]
	s_cbranch_execz .LBB39_49
.LBB39_51:                              ;   in Loop: Header=BB39_25 Depth=1
	v_add_co_u32 v2, vcc_lo, v16, s4
	v_add_co_ci_u32_e32 v3, vcc_lo, s5, v17, vcc_lo
	s_waitcnt vmcnt(0)
	global_store_b32 v[2:3], v26, off
	s_or_b32 exec_lo, exec_lo, s0
	s_delay_alu instid0(SALU_CYCLE_1)
	s_mov_b32 s0, exec_lo
	v_cmpx_gt_u64_e64 s[8:9], v[6:7]
	s_cbranch_execz .LBB39_24
.LBB39_52:                              ;   in Loop: Header=BB39_25 Depth=1
	v_add_co_u32 v2, vcc_lo, v12, s4
	v_add_co_ci_u32_e32 v3, vcc_lo, s5, v13, vcc_lo
	s_waitcnt vmcnt(0)
	global_store_b32 v[2:3], v24, off
	s_branch .LBB39_24
.LBB39_53:                              ;   in Loop: Header=BB39_25 Depth=1
                                        ; implicit-def: $vgpr32
	s_branch .LBB39_35
.LBB39_54:                              ;   in Loop: Header=BB39_25 Depth=1
                                        ; implicit-def: $vgpr25
	s_branch .LBB39_38
.LBB39_55:                              ;   in Loop: Header=BB39_25 Depth=1
                                        ; implicit-def: $vgpr26
	s_branch .LBB39_41
.LBB39_56:                              ;   in Loop: Header=BB39_25 Depth=1
                                        ; implicit-def: $vgpr24
	s_branch .LBB39_44
.LBB39_57:
	s_nop 0
	s_sendmsg sendmsg(MSG_DEALLOC_VGPRS)
	s_endpgm
	.section	.rodata,"a",@progbits
	.p2align	6, 0x0
	.amdhsa_kernel _ZN2at6native12_GLOBAL__N_125multi_tensor_apply_kernelINS1_18TensorListMetadataILi3EEENS1_32PointwiseOpScalar0dTensorFunctorIfLi3ELi2ELi0EEEJSt10multipliesIfEfEEEvT_T0_DpT1_
		.amdhsa_group_segment_fixed_size 0
		.amdhsa_private_segment_fixed_size 0
		.amdhsa_kernarg_size 3408
		.amdhsa_user_sgpr_count 15
		.amdhsa_user_sgpr_dispatch_ptr 0
		.amdhsa_user_sgpr_queue_ptr 0
		.amdhsa_user_sgpr_kernarg_segment_ptr 1
		.amdhsa_user_sgpr_dispatch_id 0
		.amdhsa_user_sgpr_private_segment_size 0
		.amdhsa_wavefront_size32 1
		.amdhsa_uses_dynamic_stack 0
		.amdhsa_enable_private_segment 0
		.amdhsa_system_sgpr_workgroup_id_x 1
		.amdhsa_system_sgpr_workgroup_id_y 0
		.amdhsa_system_sgpr_workgroup_id_z 0
		.amdhsa_system_sgpr_workgroup_info 0
		.amdhsa_system_vgpr_workitem_id 0
		.amdhsa_next_free_vgpr 34
		.amdhsa_next_free_sgpr 26
		.amdhsa_reserve_vcc 1
		.amdhsa_float_round_mode_32 0
		.amdhsa_float_round_mode_16_64 0
		.amdhsa_float_denorm_mode_32 3
		.amdhsa_float_denorm_mode_16_64 3
		.amdhsa_dx10_clamp 1
		.amdhsa_ieee_mode 1
		.amdhsa_fp16_overflow 0
		.amdhsa_workgroup_processor_mode 1
		.amdhsa_memory_ordered 1
		.amdhsa_forward_progress 0
		.amdhsa_shared_vgpr_count 0
		.amdhsa_exception_fp_ieee_invalid_op 0
		.amdhsa_exception_fp_denorm_src 0
		.amdhsa_exception_fp_ieee_div_zero 0
		.amdhsa_exception_fp_ieee_overflow 0
		.amdhsa_exception_fp_ieee_underflow 0
		.amdhsa_exception_fp_ieee_inexact 0
		.amdhsa_exception_int_div_zero 0
	.end_amdhsa_kernel
	.section	.text._ZN2at6native12_GLOBAL__N_125multi_tensor_apply_kernelINS1_18TensorListMetadataILi3EEENS1_32PointwiseOpScalar0dTensorFunctorIfLi3ELi2ELi0EEEJSt10multipliesIfEfEEEvT_T0_DpT1_,"axG",@progbits,_ZN2at6native12_GLOBAL__N_125multi_tensor_apply_kernelINS1_18TensorListMetadataILi3EEENS1_32PointwiseOpScalar0dTensorFunctorIfLi3ELi2ELi0EEEJSt10multipliesIfEfEEEvT_T0_DpT1_,comdat
.Lfunc_end39:
	.size	_ZN2at6native12_GLOBAL__N_125multi_tensor_apply_kernelINS1_18TensorListMetadataILi3EEENS1_32PointwiseOpScalar0dTensorFunctorIfLi3ELi2ELi0EEEJSt10multipliesIfEfEEEvT_T0_DpT1_, .Lfunc_end39-_ZN2at6native12_GLOBAL__N_125multi_tensor_apply_kernelINS1_18TensorListMetadataILi3EEENS1_32PointwiseOpScalar0dTensorFunctorIfLi3ELi2ELi0EEEJSt10multipliesIfEfEEEvT_T0_DpT1_
                                        ; -- End function
	.section	.AMDGPU.csdata,"",@progbits
; Kernel info:
; codeLenInByte = 1972
; NumSgprs: 28
; NumVgprs: 34
; ScratchSize: 0
; MemoryBound: 1
; FloatMode: 240
; IeeeMode: 1
; LDSByteSize: 0 bytes/workgroup (compile time only)
; SGPRBlocks: 3
; VGPRBlocks: 4
; NumSGPRsForWavesPerEU: 28
; NumVGPRsForWavesPerEU: 34
; Occupancy: 16
; WaveLimiterHint : 0
; COMPUTE_PGM_RSRC2:SCRATCH_EN: 0
; COMPUTE_PGM_RSRC2:USER_SGPR: 15
; COMPUTE_PGM_RSRC2:TRAP_HANDLER: 0
; COMPUTE_PGM_RSRC2:TGID_X_EN: 1
; COMPUTE_PGM_RSRC2:TGID_Y_EN: 0
; COMPUTE_PGM_RSRC2:TGID_Z_EN: 0
; COMPUTE_PGM_RSRC2:TIDIG_COMP_CNT: 0
	.section	.text._ZN2at6native12_GLOBAL__N_125multi_tensor_apply_kernelINS1_18TensorListMetadataILi3EEENS1_32PointwiseOpScalar0dTensorFunctorIN3c107complexIdEELi3ELi2ELi0EEEJSt10multipliesIS8_ES8_EEEvT_T0_DpT1_,"axG",@progbits,_ZN2at6native12_GLOBAL__N_125multi_tensor_apply_kernelINS1_18TensorListMetadataILi3EEENS1_32PointwiseOpScalar0dTensorFunctorIN3c107complexIdEELi3ELi2ELi0EEEJSt10multipliesIS8_ES8_EEEvT_T0_DpT1_,comdat
	.globl	_ZN2at6native12_GLOBAL__N_125multi_tensor_apply_kernelINS1_18TensorListMetadataILi3EEENS1_32PointwiseOpScalar0dTensorFunctorIN3c107complexIdEELi3ELi2ELi0EEEJSt10multipliesIS8_ES8_EEEvT_T0_DpT1_ ; -- Begin function _ZN2at6native12_GLOBAL__N_125multi_tensor_apply_kernelINS1_18TensorListMetadataILi3EEENS1_32PointwiseOpScalar0dTensorFunctorIN3c107complexIdEELi3ELi2ELi0EEEJSt10multipliesIS8_ES8_EEEvT_T0_DpT1_
	.p2align	8
	.type	_ZN2at6native12_GLOBAL__N_125multi_tensor_apply_kernelINS1_18TensorListMetadataILi3EEENS1_32PointwiseOpScalar0dTensorFunctorIN3c107complexIdEELi3ELi2ELi0EEEJSt10multipliesIS8_ES8_EEEvT_T0_DpT1_,@function
_ZN2at6native12_GLOBAL__N_125multi_tensor_apply_kernelINS1_18TensorListMetadataILi3EEENS1_32PointwiseOpScalar0dTensorFunctorIN3c107complexIdEELi3ELi2ELi0EEEJSt10multipliesIS8_ES8_EEEvT_T0_DpT1_: ; @_ZN2at6native12_GLOBAL__N_125multi_tensor_apply_kernelINS1_18TensorListMetadataILi3EEENS1_32PointwiseOpScalar0dTensorFunctorIN3c107complexIdEELi3ELi2ELi0EEEJSt10multipliesIS8_ES8_EEEvT_T0_DpT1_
; %bb.0:
	v_mov_b32_e32 v1, s15
	s_add_u32 s2, s0, s15
	s_mul_hi_u32 s3, s15, 3
	s_mul_i32 s15, s15, 3
	s_addc_u32 s4, s1, 0
	global_load_u8 v1, v1, s[0:1] offset:1536
	s_add_u32 s2, s2, s15
	s_addc_u32 s3, s4, s3
	s_clause 0x1
	s_load_b128 s[4:7], s[0:1], 0xc50
	s_load_b32 s8, s[2:3], 0x740
	s_mov_b32 s27, 0
	s_delay_alu instid0(SALU_CYCLE_1) | instskip(SKIP_2) | instid1(SALU_CYCLE_1)
	s_mov_b32 s29, s27
	s_waitcnt lgkmcnt(0)
	s_ashr_i32 s9, s8, 31
	s_lshl_b64 s[12:13], s[8:9], 20
	s_waitcnt vmcnt(0)
	v_readfirstlane_b32 s2, v1
	s_delay_alu instid0(VALU_DEP_1)
	s_lshl_b32 s2, s2, 3
	s_clause 0x3
	s_load_b64 s[18:19], s[0:1], s2 offset:0x0
	s_load_b64 s[10:11], s[0:1], s2 offset:0x180
	;; [unrolled: 1-line block ×4, first 2 shown]
	s_waitcnt lgkmcnt(0)
	s_add_u32 s3, s18, s12
	s_addc_u32 s16, s19, s13
	s_add_u32 s2, s10, s12
	s_add_u32 s17, s20, s12
	s_addc_u32 s22, s21, s13
	s_or_b32 s2, s17, s2
	s_lshl_b64 s[8:9], s[8:9], 16
	s_and_b32 s2, s2, 63
	s_and_b32 s26, s3, 63
	s_cmp_lg_u32 s2, 0
	s_cselect_b32 s2, -1, 0
	s_sub_u32 s14, s24, s8
	s_subb_u32 s15, s25, s9
	s_load_b128 s[8:11], s[10:11], 0x0
	s_and_b32 s28, s24, 3
	s_delay_alu instid0(SALU_CYCLE_1) | instskip(NEXT) | instid1(SALU_CYCLE_1)
	s_or_b64 s[24:25], s[26:27], s[28:29]
	s_cmp_lg_u64 s[24:25], 0
	s_cselect_b32 s23, -1, 0
	s_delay_alu instid0(SALU_CYCLE_1) | instskip(NEXT) | instid1(SALU_CYCLE_1)
	s_or_b32 s2, s2, s23
	s_and_not1_b32 vcc_lo, exec_lo, s2
	s_mov_b32 s2, -1
	s_cbranch_vccz .LBB40_13
; %bb.1:
	v_dual_mov_b32 v30, 0 :: v_dual_lshlrev_b32 v29, 2, v0
	s_mov_b32 s23, exec_lo
	s_delay_alu instid0(VALU_DEP_1)
	v_cmpx_gt_i64_e64 s[14:15], v[29:30]
	s_cbranch_execz .LBB40_12
; %bb.2:
	v_cmp_neq_f64_e64 s2, s[4:5], 1.0
	v_cmp_neq_f64_e64 s24, s[6:7], 0
	s_load_b32 s25, s[0:1], 0xc6c
	v_lshlrev_b32_e32 v37, 6, v0
	s_waitcnt lgkmcnt(0)
	s_and_b32 s27, s25, 0xffff
	s_mov_b32 s25, 0
	v_add_lshl_u32 v29, v0, s27, 2
	s_lshl_b32 s26, s27, 2
	s_lshl_b32 s27, s27, 6
	s_delay_alu instid0(VALU_DEP_3)
	s_or_b32 s24, s2, s24
	s_branch .LBB40_4
.LBB40_3:                               ;   in Loop: Header=BB40_4 Depth=1
	v_add_f64 v[11:12], v[11:12], v[35:36]
	v_add_f64 v[9:10], v[9:10], v[33:34]
	;; [unrolled: 1-line block ×8, first 2 shown]
	v_cmp_le_i64_e32 vcc_lo, s[14:15], v[29:30]
	v_cmp_lt_u64_e64 s2, 0xffff, v[29:30]
	s_clause 0x3
	global_store_b128 v[31:32], v[9:12], off
	global_store_b128 v[31:32], v[5:8], off offset:16
	global_store_b128 v[31:32], v[13:16], off offset:32
	;; [unrolled: 1-line block ×3, first 2 shown]
	s_or_b32 s2, vcc_lo, s2
	s_add_u32 s3, s3, s27
	s_addc_u32 s16, s16, 0
	v_add_co_u32 v29, vcc_lo, v29, s26
	s_add_u32 s17, s17, s27
	s_addc_u32 s22, s22, 0
	v_add_co_ci_u32_e32 v30, vcc_lo, 0, v30, vcc_lo
	s_and_b32 s2, exec_lo, s2
	s_delay_alu instid0(SALU_CYCLE_1) | instskip(NEXT) | instid1(SALU_CYCLE_1)
	s_or_b32 s25, s2, s25
	s_and_not1_b32 exec_lo, exec_lo, s25
	s_cbranch_execz .LBB40_12
.LBB40_4:                               ; =>This Inner Loop Header: Depth=1
	v_add_co_u32 v21, s2, s17, v37
	s_delay_alu instid0(VALU_DEP_1) | instskip(SKIP_1) | instid1(VALU_DEP_1)
	v_add_co_ci_u32_e64 v22, null, s22, 0, s2
	v_add_co_u32 v31, s2, s3, v37
	v_add_co_ci_u32_e64 v32, null, s16, 0, s2
	s_clause 0x1
	global_load_b128 v[38:41], v[21:22], off
	global_load_b128 v[25:28], v[21:22], off offset:16
	s_clause 0x3
	global_load_b128 v[1:4], v[31:32], off offset:48
	global_load_b128 v[13:16], v[31:32], off offset:32
	;; [unrolled: 1-line block ×3, first 2 shown]
	global_load_b128 v[9:12], v[31:32], off
	s_clause 0x1
	global_load_b128 v[17:20], v[21:22], off offset:48
	global_load_b128 v[21:24], v[21:22], off offset:32
	s_and_not1_b32 vcc_lo, exec_lo, s24
	s_waitcnt vmcnt(7)
	v_mul_f64 v[33:34], s[10:11], v[40:41]
	v_mul_f64 v[35:36], s[8:9], v[40:41]
	s_delay_alu instid0(VALU_DEP_2) | instskip(NEXT) | instid1(VALU_DEP_2)
	v_fma_f64 v[33:34], s[8:9], v[38:39], -v[33:34]
	v_fma_f64 v[35:36], s[10:11], v[38:39], v[35:36]
	s_cbranch_vccnz .LBB40_6
; %bb.5:                                ;   in Loop: Header=BB40_4 Depth=1
	s_delay_alu instid0(VALU_DEP_1) | instskip(NEXT) | instid1(VALU_DEP_3)
	v_mul_f64 v[38:39], s[6:7], v[35:36]
	v_mul_f64 v[40:41], s[6:7], v[33:34]
	s_delay_alu instid0(VALU_DEP_2) | instskip(NEXT) | instid1(VALU_DEP_2)
	v_fma_f64 v[33:34], s[4:5], v[33:34], -v[38:39]
	v_fma_f64 v[35:36], s[4:5], v[35:36], v[40:41]
.LBB40_6:                               ;   in Loop: Header=BB40_4 Depth=1
	s_waitcnt vmcnt(6)
	v_mul_f64 v[38:39], s[10:11], v[27:28]
	v_mul_f64 v[40:41], s[8:9], v[27:28]
	s_and_not1_b32 vcc_lo, exec_lo, s24
	s_delay_alu instid0(VALU_DEP_2) | instskip(NEXT) | instid1(VALU_DEP_2)
	v_fma_f64 v[27:28], s[8:9], v[25:26], -v[38:39]
	v_fma_f64 v[25:26], s[10:11], v[25:26], v[40:41]
	s_cbranch_vccnz .LBB40_8
; %bb.7:                                ;   in Loop: Header=BB40_4 Depth=1
	s_delay_alu instid0(VALU_DEP_1) | instskip(NEXT) | instid1(VALU_DEP_3)
	v_mul_f64 v[38:39], s[6:7], v[25:26]
	v_mul_f64 v[40:41], s[6:7], v[27:28]
	s_delay_alu instid0(VALU_DEP_2) | instskip(NEXT) | instid1(VALU_DEP_2)
	v_fma_f64 v[27:28], s[4:5], v[27:28], -v[38:39]
	v_fma_f64 v[25:26], s[4:5], v[25:26], v[40:41]
.LBB40_8:                               ;   in Loop: Header=BB40_4 Depth=1
	s_waitcnt vmcnt(0)
	v_mul_f64 v[38:39], s[10:11], v[23:24]
	v_mul_f64 v[40:41], s[8:9], v[23:24]
	s_and_not1_b32 vcc_lo, exec_lo, s24
	s_delay_alu instid0(VALU_DEP_2) | instskip(NEXT) | instid1(VALU_DEP_2)
	v_fma_f64 v[23:24], s[8:9], v[21:22], -v[38:39]
	v_fma_f64 v[21:22], s[10:11], v[21:22], v[40:41]
	s_cbranch_vccnz .LBB40_10
; %bb.9:                                ;   in Loop: Header=BB40_4 Depth=1
	s_delay_alu instid0(VALU_DEP_1) | instskip(NEXT) | instid1(VALU_DEP_3)
	v_mul_f64 v[38:39], s[6:7], v[21:22]
	v_mul_f64 v[40:41], s[6:7], v[23:24]
	s_delay_alu instid0(VALU_DEP_2) | instskip(NEXT) | instid1(VALU_DEP_2)
	v_fma_f64 v[23:24], s[4:5], v[23:24], -v[38:39]
	v_fma_f64 v[21:22], s[4:5], v[21:22], v[40:41]
.LBB40_10:                              ;   in Loop: Header=BB40_4 Depth=1
	v_mul_f64 v[38:39], s[10:11], v[19:20]
	v_mul_f64 v[40:41], s[8:9], v[19:20]
	s_and_not1_b32 vcc_lo, exec_lo, s24
	s_delay_alu instid0(VALU_DEP_2) | instskip(NEXT) | instid1(VALU_DEP_2)
	v_fma_f64 v[19:20], s[8:9], v[17:18], -v[38:39]
	v_fma_f64 v[17:18], s[10:11], v[17:18], v[40:41]
	s_cbranch_vccnz .LBB40_3
; %bb.11:                               ;   in Loop: Header=BB40_4 Depth=1
	s_delay_alu instid0(VALU_DEP_1) | instskip(NEXT) | instid1(VALU_DEP_3)
	v_mul_f64 v[38:39], s[6:7], v[17:18]
	v_mul_f64 v[40:41], s[6:7], v[19:20]
	s_delay_alu instid0(VALU_DEP_2) | instskip(NEXT) | instid1(VALU_DEP_2)
	v_fma_f64 v[19:20], s[4:5], v[19:20], -v[38:39]
	v_fma_f64 v[17:18], s[4:5], v[17:18], v[40:41]
	s_branch .LBB40_3
.LBB40_12:
	s_or_b32 exec_lo, exec_lo, s23
	s_mov_b32 s2, 0
.LBB40_13:
	s_delay_alu instid0(SALU_CYCLE_1)
	s_and_not1_b32 vcc_lo, exec_lo, s2
	s_cbranch_vccnz .LBB40_41
; %bb.14:
	v_cmp_lt_i64_e64 s2, s[14:15], 1
	s_delay_alu instid0(VALU_DEP_1)
	s_and_b32 vcc_lo, exec_lo, s2
	s_cbranch_vccnz .LBB40_41
; %bb.15:
	v_cmp_neq_f64_e64 s2, s[4:5], 1.0
	v_cmp_neq_f64_e64 s16, s[6:7], 0
	s_load_b32 s0, s[0:1], 0xc6c
	v_dual_mov_b32 v1, 0 :: v_dual_lshlrev_b32 v6, 4, v0
	v_cmp_gt_u64_e64 s17, 0x10000, s[14:15]
	s_mov_b32 s3, 0
	s_delay_alu instid0(VALU_DEP_2) | instskip(NEXT) | instid1(VALU_DEP_3)
	v_or_b32_e32 v2, 8, v6
	v_mov_b32_e32 v3, v1
	s_delay_alu instid0(VALU_DEP_2) | instskip(NEXT) | instid1(VALU_DEP_1)
	v_add_co_u32 v46, s1, s20, v2
	v_add_co_ci_u32_e64 v47, null, s21, 0, s1
	s_waitcnt lgkmcnt(0)
	s_and_b32 s1, s0, 0xffff
	v_add_co_u32 v48, s0, s18, v2
	v_add_lshl_u32 v7, v0, s1, 4
	v_mad_u64_u32 v[4:5], null, s1, 48, v[2:3]
	v_add_co_ci_u32_e64 v49, null, s19, 0, s0
	s_delay_alu instid0(VALU_DEP_3) | instskip(NEXT) | instid1(VALU_DEP_1)
	v_add_co_u32 v50, s0, s18, v7
	v_add_co_ci_u32_e64 v51, null, s19, 0, s0
	v_add_co_u32 v52, s0, s20, v7
	s_delay_alu instid0(VALU_DEP_1)
	v_add_co_ci_u32_e64 v53, null, s21, 0, s0
	v_add_co_u32 v54, vcc_lo, s20, v4
	s_or_b32 s23, s2, s16
	s_and_b32 s0, s17, exec_lo
	s_cselect_b32 s17, s15, 0
	s_cselect_b32 s16, s14, 0x10000
	s_lshl_b32 s0, s1, 5
	v_add_co_ci_u32_e32 v55, vcc_lo, s21, v5, vcc_lo
	v_add_co_u32 v2, s0, s0, v6
	s_delay_alu instid0(VALU_DEP_1) | instskip(SKIP_2) | instid1(VALU_DEP_4)
	v_add_co_ci_u32_e64 v3, null, 0, 0, s0
	v_add_co_u32 v56, vcc_lo, s18, v4
	v_add_co_ci_u32_e32 v57, vcc_lo, s19, v5, vcc_lo
	v_add_co_u32 v4, vcc_lo, v2, s20
	s_delay_alu instid0(VALU_DEP_4) | instskip(SKIP_2) | instid1(VALU_DEP_4)
	v_add_co_ci_u32_e32 v5, vcc_lo, s21, v3, vcc_lo
	v_add_co_u32 v58, vcc_lo, s18, v2
	v_add_co_ci_u32_e32 v59, vcc_lo, s19, v3, vcc_lo
	v_add_co_u32 v60, vcc_lo, v4, 8
	s_delay_alu instid0(VALU_DEP_4)
	v_add_co_ci_u32_e32 v61, vcc_lo, 0, v5, vcc_lo
	s_lshl_b32 s2, s1, 2
	s_mul_i32 s22, s1, 3
	s_lshl_b32 s24, s1, 1
	s_lshl_b32 s20, s1, 6
	s_mov_b64 s[18:19], s[2:3]
	s_branch .LBB40_17
.LBB40_16:                              ;   in Loop: Header=BB40_17 Depth=1
	s_or_b32 exec_lo, exec_lo, s0
	v_add_co_u32 v0, vcc_lo, v0, s2
	v_add_co_ci_u32_e32 v1, vcc_lo, 0, v1, vcc_lo
	v_add_co_u32 v46, vcc_lo, v46, s20
	v_add_co_ci_u32_e32 v47, vcc_lo, 0, v47, vcc_lo
	;; [unrolled: 2-line block ×7, first 2 shown]
	v_cmp_ge_i64_e64 s0, s[18:19], s[14:15]
	v_cmp_lt_u64_e64 s3, 0xffff, s[18:19]
	v_add_co_u32 v58, vcc_lo, v58, s20
	v_add_co_ci_u32_e32 v59, vcc_lo, 0, v59, vcc_lo
	v_add_co_u32 v60, vcc_lo, v60, s20
	v_add_co_ci_u32_e32 v61, vcc_lo, 0, v61, vcc_lo
	s_or_b32 s0, s0, s3
	s_add_u32 s18, s18, s2
	s_addc_u32 s19, s19, 0
	s_and_b32 vcc_lo, exec_lo, s0
	s_cbranch_vccnz .LBB40_41
.LBB40_17:                              ; =>This Inner Loop Header: Depth=1
	v_mov_b32_e32 v16, 0
	v_mov_b32_e32 v17, 0
	v_cmp_gt_i64_e32 vcc_lo, s[14:15], v[0:1]
	v_cmp_gt_u64_e64 s0, 0x10000, v[0:1]
	s_delay_alu instid0(VALU_DEP_4) | instskip(NEXT) | instid1(VALU_DEP_4)
	v_mov_b32_e32 v4, v16
	v_dual_mov_b32 v2, v16 :: v_dual_mov_b32 v3, v17
	v_dual_mov_b32 v21, v17 :: v_dual_mov_b32 v20, v16
	;; [unrolled: 1-line block ×3, first 2 shown]
	v_mov_b32_e32 v5, v17
	s_and_b32 s3, vcc_lo, s0
	s_delay_alu instid0(SALU_CYCLE_1)
	s_and_saveexec_b32 s0, s3
	s_cbranch_execz .LBB40_19
; %bb.18:                               ;   in Loop: Header=BB40_17 Depth=1
	v_add_co_u32 v2, vcc_lo, v48, s12
	v_add_co_ci_u32_e32 v3, vcc_lo, s13, v49, vcc_lo
	v_add_co_u32 v6, vcc_lo, v46, s12
	v_add_co_ci_u32_e32 v7, vcc_lo, s13, v47, vcc_lo
	global_load_b128 v[2:5], v[2:3], off offset:-8
	global_load_b128 v[18:21], v[6:7], off offset:-8
.LBB40_19:                              ;   in Loop: Header=BB40_17 Depth=1
	s_or_b32 exec_lo, exec_lo, s0
	v_add_co_u32 v34, vcc_lo, s1, v0
	v_add_co_ci_u32_e32 v35, vcc_lo, 0, v1, vcc_lo
	v_dual_mov_b32 v14, v16 :: v_dual_mov_b32 v15, v17
	v_dual_mov_b32 v8, v16 :: v_dual_mov_b32 v9, v17
	s_delay_alu instid0(VALU_DEP_3) | instskip(SKIP_2) | instid1(VALU_DEP_2)
	v_cmp_gt_i64_e32 vcc_lo, s[14:15], v[34:35]
	v_cmp_gt_u64_e64 s0, 0x10000, v[34:35]
	v_dual_mov_b32 v6, v16 :: v_dual_mov_b32 v7, v17
	s_and_b32 s3, vcc_lo, s0
	s_delay_alu instid0(SALU_CYCLE_1)
	s_and_saveexec_b32 s0, s3
	s_cbranch_execz .LBB40_21
; %bb.20:                               ;   in Loop: Header=BB40_17 Depth=1
	v_add_co_u32 v6, vcc_lo, v50, s12
	v_add_co_ci_u32_e32 v7, vcc_lo, s13, v51, vcc_lo
	v_add_co_u32 v10, vcc_lo, v52, s12
	v_add_co_ci_u32_e32 v11, vcc_lo, s13, v53, vcc_lo
	global_load_b128 v[6:9], v[6:7], off
	global_load_b128 v[14:17], v[10:11], off
.LBB40_21:                              ;   in Loop: Header=BB40_17 Depth=1
	s_or_b32 exec_lo, exec_lo, s0
	v_add_co_u32 v36, vcc_lo, s24, v0
	v_add_co_ci_u32_e32 v37, vcc_lo, 0, v1, vcc_lo
	v_mov_b32_e32 v28, 0
	v_mov_b32_e32 v29, 0
	s_delay_alu instid0(VALU_DEP_2) | instskip(NEXT) | instid1(VALU_DEP_4)
	v_mov_b32_e32 v12, v28
	v_cmp_gt_i64_e32 vcc_lo, s[14:15], v[36:37]
	v_cmp_gt_u64_e64 s0, 0x10000, v[36:37]
	s_delay_alu instid0(VALU_DEP_4) | instskip(SKIP_4) | instid1(SALU_CYCLE_1)
	v_dual_mov_b32 v10, v28 :: v_dual_mov_b32 v11, v29
	v_dual_mov_b32 v33, v29 :: v_dual_mov_b32 v32, v28
	;; [unrolled: 1-line block ×3, first 2 shown]
	v_mov_b32_e32 v13, v29
	s_and_b32 s3, vcc_lo, s0
	s_and_saveexec_b32 s0, s3
	s_cbranch_execz .LBB40_23
; %bb.22:                               ;   in Loop: Header=BB40_17 Depth=1
	v_add_co_u32 v10, vcc_lo, v58, s12
	v_add_co_ci_u32_e32 v11, vcc_lo, s13, v59, vcc_lo
	v_add_co_u32 v22, vcc_lo, v60, s12
	v_add_co_ci_u32_e32 v23, vcc_lo, s13, v61, vcc_lo
	global_load_b128 v[10:13], v[10:11], off
	global_load_b128 v[30:33], v[22:23], off offset:-8
.LBB40_23:                              ;   in Loop: Header=BB40_17 Depth=1
	s_or_b32 exec_lo, exec_lo, s0
	v_add_co_u32 v38, vcc_lo, s22, v0
	v_add_co_ci_u32_e32 v39, vcc_lo, 0, v1, vcc_lo
	v_dual_mov_b32 v26, v28 :: v_dual_mov_b32 v27, v29
	v_dual_mov_b32 v24, v28 :: v_dual_mov_b32 v25, v29
	s_delay_alu instid0(VALU_DEP_3) | instskip(SKIP_2) | instid1(VALU_DEP_2)
	v_cmp_gt_i64_e32 vcc_lo, s[14:15], v[38:39]
	v_cmp_gt_u64_e64 s0, 0x10000, v[38:39]
	v_dual_mov_b32 v22, v28 :: v_dual_mov_b32 v23, v29
	s_and_b32 s3, vcc_lo, s0
	s_delay_alu instid0(SALU_CYCLE_1)
	s_and_saveexec_b32 s0, s3
	s_cbranch_execz .LBB40_25
; %bb.24:                               ;   in Loop: Header=BB40_17 Depth=1
	v_add_co_u32 v22, vcc_lo, v56, s12
	v_add_co_ci_u32_e32 v23, vcc_lo, s13, v57, vcc_lo
	v_add_co_u32 v26, vcc_lo, v54, s12
	v_add_co_ci_u32_e32 v27, vcc_lo, s13, v55, vcc_lo
	global_load_b128 v[22:25], v[22:23], off offset:-8
	global_load_b128 v[26:29], v[26:27], off offset:-8
.LBB40_25:                              ;   in Loop: Header=BB40_17 Depth=1
	s_or_b32 exec_lo, exec_lo, s0
	s_waitcnt vmcnt(0)
	v_mul_f64 v[40:41], s[10:11], v[20:21]
	v_mul_f64 v[42:43], s[10:11], v[18:19]
	s_and_b32 vcc_lo, exec_lo, s23
	s_delay_alu instid0(VALU_DEP_2) | instskip(NEXT) | instid1(VALU_DEP_2)
	v_fma_f64 v[40:41], s[8:9], v[18:19], -v[40:41]
	v_fma_f64 v[44:45], s[8:9], v[20:21], v[42:43]
	s_cbranch_vccz .LBB40_27
; %bb.26:                               ;   in Loop: Header=BB40_17 Depth=1
	s_delay_alu instid0(VALU_DEP_1) | instskip(NEXT) | instid1(VALU_DEP_3)
	v_mul_f64 v[18:19], s[6:7], v[44:45]
	v_mul_f64 v[20:21], s[6:7], v[40:41]
	s_delay_alu instid0(VALU_DEP_2) | instskip(NEXT) | instid1(VALU_DEP_2)
	v_fma_f64 v[40:41], s[4:5], v[40:41], -v[18:19]
	v_fma_f64 v[44:45], s[4:5], v[44:45], v[20:21]
.LBB40_27:                              ;   in Loop: Header=BB40_17 Depth=1
	v_mul_f64 v[18:19], s[10:11], v[16:17]
	v_mul_f64 v[20:21], s[10:11], v[14:15]
	s_and_not1_b32 vcc_lo, exec_lo, s23
	s_delay_alu instid0(VALU_DEP_2) | instskip(NEXT) | instid1(VALU_DEP_2)
	v_fma_f64 v[18:19], s[8:9], v[14:15], -v[18:19]
	v_fma_f64 v[42:43], s[8:9], v[16:17], v[20:21]
	s_cbranch_vccnz .LBB40_29
; %bb.28:                               ;   in Loop: Header=BB40_17 Depth=1
	s_delay_alu instid0(VALU_DEP_1) | instskip(NEXT) | instid1(VALU_DEP_3)
	v_mul_f64 v[14:15], s[6:7], v[42:43]
	v_mul_f64 v[16:17], s[6:7], v[18:19]
	s_delay_alu instid0(VALU_DEP_2) | instskip(NEXT) | instid1(VALU_DEP_2)
	v_fma_f64 v[18:19], s[4:5], v[18:19], -v[14:15]
	v_fma_f64 v[42:43], s[4:5], v[42:43], v[16:17]
.LBB40_29:                              ;   in Loop: Header=BB40_17 Depth=1
	v_mul_f64 v[14:15], s[10:11], v[32:33]
	v_mul_f64 v[20:21], s[10:11], v[30:31]
	s_and_not1_b32 vcc_lo, exec_lo, s23
	s_delay_alu instid0(VALU_DEP_2) | instskip(NEXT) | instid1(VALU_DEP_2)
	v_fma_f64 v[16:17], s[8:9], v[30:31], -v[14:15]
	v_fma_f64 v[30:31], s[8:9], v[32:33], v[20:21]
	s_cbranch_vccnz .LBB40_31
; %bb.30:                               ;   in Loop: Header=BB40_17 Depth=1
	s_delay_alu instid0(VALU_DEP_1) | instskip(NEXT) | instid1(VALU_DEP_3)
	v_mul_f64 v[14:15], s[6:7], v[30:31]
	v_mul_f64 v[20:21], s[6:7], v[16:17]
	s_delay_alu instid0(VALU_DEP_2) | instskip(NEXT) | instid1(VALU_DEP_2)
	v_fma_f64 v[16:17], s[4:5], v[16:17], -v[14:15]
	v_fma_f64 v[30:31], s[4:5], v[30:31], v[20:21]
.LBB40_31:                              ;   in Loop: Header=BB40_17 Depth=1
	v_mul_f64 v[14:15], s[10:11], v[28:29]
	v_mul_f64 v[20:21], s[10:11], v[26:27]
	s_and_not1_b32 vcc_lo, exec_lo, s23
	s_delay_alu instid0(VALU_DEP_2) | instskip(NEXT) | instid1(VALU_DEP_2)
	v_fma_f64 v[14:15], s[8:9], v[26:27], -v[14:15]
	v_fma_f64 v[20:21], s[8:9], v[28:29], v[20:21]
	s_cbranch_vccz .LBB40_36
; %bb.32:                               ;   in Loop: Header=BB40_17 Depth=1
	s_mov_b32 s0, exec_lo
	v_cmpx_gt_u64_e64 s[16:17], v[0:1]
	s_xor_b32 s0, exec_lo, s0
	s_cbranch_execnz .LBB40_37
.LBB40_33:                              ;   in Loop: Header=BB40_17 Depth=1
	s_or_b32 exec_lo, exec_lo, s0
	s_delay_alu instid0(SALU_CYCLE_1)
	s_mov_b32 s0, exec_lo
	v_cmpx_gt_u64_e64 s[16:17], v[34:35]
	s_cbranch_execnz .LBB40_38
.LBB40_34:                              ;   in Loop: Header=BB40_17 Depth=1
	s_or_b32 exec_lo, exec_lo, s0
	s_delay_alu instid0(SALU_CYCLE_1)
	s_mov_b32 s0, exec_lo
	v_cmpx_gt_u64_e64 s[16:17], v[36:37]
	s_cbranch_execnz .LBB40_39
.LBB40_35:                              ;   in Loop: Header=BB40_17 Depth=1
	s_or_b32 exec_lo, exec_lo, s0
	s_delay_alu instid0(SALU_CYCLE_1)
	s_mov_b32 s0, exec_lo
	v_cmpx_gt_u64_e64 s[16:17], v[38:39]
	s_cbranch_execz .LBB40_16
	s_branch .LBB40_40
.LBB40_36:                              ;   in Loop: Header=BB40_17 Depth=1
	s_delay_alu instid0(VALU_DEP_1) | instskip(NEXT) | instid1(VALU_DEP_3)
	v_mul_f64 v[26:27], s[6:7], v[20:21]
	v_mul_f64 v[28:29], s[6:7], v[14:15]
	s_delay_alu instid0(VALU_DEP_2) | instskip(NEXT) | instid1(VALU_DEP_2)
	v_fma_f64 v[14:15], s[4:5], v[14:15], -v[26:27]
	v_fma_f64 v[20:21], s[4:5], v[20:21], v[28:29]
	s_mov_b32 s0, exec_lo
	v_cmpx_gt_u64_e64 s[16:17], v[0:1]
	s_xor_b32 s0, exec_lo, s0
	s_cbranch_execz .LBB40_33
.LBB40_37:                              ;   in Loop: Header=BB40_17 Depth=1
	v_add_f64 v[4:5], v[4:5], v[44:45]
	v_add_f64 v[2:3], v[2:3], v[40:41]
	v_add_co_u32 v26, vcc_lo, v48, s12
	v_add_co_ci_u32_e32 v27, vcc_lo, s13, v49, vcc_lo
	global_store_b128 v[26:27], v[2:5], off offset:-8
	s_or_b32 exec_lo, exec_lo, s0
	s_delay_alu instid0(SALU_CYCLE_1)
	s_mov_b32 s0, exec_lo
	v_cmpx_gt_u64_e64 s[16:17], v[34:35]
	s_cbranch_execz .LBB40_34
.LBB40_38:                              ;   in Loop: Header=BB40_17 Depth=1
	v_add_f64 v[4:5], v[8:9], v[42:43]
	v_add_f64 v[2:3], v[6:7], v[18:19]
	v_add_co_u32 v6, vcc_lo, v50, s12
	v_add_co_ci_u32_e32 v7, vcc_lo, s13, v51, vcc_lo
	global_store_b128 v[6:7], v[2:5], off
	s_or_b32 exec_lo, exec_lo, s0
	s_delay_alu instid0(SALU_CYCLE_1)
	s_mov_b32 s0, exec_lo
	v_cmpx_gt_u64_e64 s[16:17], v[36:37]
	s_cbranch_execz .LBB40_35
.LBB40_39:                              ;   in Loop: Header=BB40_17 Depth=1
	v_add_f64 v[4:5], v[12:13], v[30:31]
	v_add_f64 v[2:3], v[10:11], v[16:17]
	v_add_co_u32 v6, vcc_lo, v58, s12
	v_add_co_ci_u32_e32 v7, vcc_lo, s13, v59, vcc_lo
	global_store_b128 v[6:7], v[2:5], off
	s_or_b32 exec_lo, exec_lo, s0
	s_delay_alu instid0(SALU_CYCLE_1)
	s_mov_b32 s0, exec_lo
	v_cmpx_gt_u64_e64 s[16:17], v[38:39]
	s_cbranch_execz .LBB40_16
.LBB40_40:                              ;   in Loop: Header=BB40_17 Depth=1
	v_add_f64 v[4:5], v[24:25], v[20:21]
	v_add_f64 v[2:3], v[22:23], v[14:15]
	v_add_co_u32 v6, vcc_lo, v56, s12
	v_add_co_ci_u32_e32 v7, vcc_lo, s13, v57, vcc_lo
	global_store_b128 v[6:7], v[2:5], off offset:-8
	s_branch .LBB40_16
.LBB40_41:
	s_nop 0
	s_sendmsg sendmsg(MSG_DEALLOC_VGPRS)
	s_endpgm
	.section	.rodata,"a",@progbits
	.p2align	6, 0x0
	.amdhsa_kernel _ZN2at6native12_GLOBAL__N_125multi_tensor_apply_kernelINS1_18TensorListMetadataILi3EEENS1_32PointwiseOpScalar0dTensorFunctorIN3c107complexIdEELi3ELi2ELi0EEEJSt10multipliesIS8_ES8_EEEvT_T0_DpT1_
		.amdhsa_group_segment_fixed_size 0
		.amdhsa_private_segment_fixed_size 0
		.amdhsa_kernarg_size 3424
		.amdhsa_user_sgpr_count 15
		.amdhsa_user_sgpr_dispatch_ptr 0
		.amdhsa_user_sgpr_queue_ptr 0
		.amdhsa_user_sgpr_kernarg_segment_ptr 1
		.amdhsa_user_sgpr_dispatch_id 0
		.amdhsa_user_sgpr_private_segment_size 0
		.amdhsa_wavefront_size32 1
		.amdhsa_uses_dynamic_stack 0
		.amdhsa_enable_private_segment 0
		.amdhsa_system_sgpr_workgroup_id_x 1
		.amdhsa_system_sgpr_workgroup_id_y 0
		.amdhsa_system_sgpr_workgroup_id_z 0
		.amdhsa_system_sgpr_workgroup_info 0
		.amdhsa_system_vgpr_workitem_id 0
		.amdhsa_next_free_vgpr 62
		.amdhsa_next_free_sgpr 30
		.amdhsa_reserve_vcc 1
		.amdhsa_float_round_mode_32 0
		.amdhsa_float_round_mode_16_64 0
		.amdhsa_float_denorm_mode_32 3
		.amdhsa_float_denorm_mode_16_64 3
		.amdhsa_dx10_clamp 1
		.amdhsa_ieee_mode 1
		.amdhsa_fp16_overflow 0
		.amdhsa_workgroup_processor_mode 1
		.amdhsa_memory_ordered 1
		.amdhsa_forward_progress 0
		.amdhsa_shared_vgpr_count 0
		.amdhsa_exception_fp_ieee_invalid_op 0
		.amdhsa_exception_fp_denorm_src 0
		.amdhsa_exception_fp_ieee_div_zero 0
		.amdhsa_exception_fp_ieee_overflow 0
		.amdhsa_exception_fp_ieee_underflow 0
		.amdhsa_exception_fp_ieee_inexact 0
		.amdhsa_exception_int_div_zero 0
	.end_amdhsa_kernel
	.section	.text._ZN2at6native12_GLOBAL__N_125multi_tensor_apply_kernelINS1_18TensorListMetadataILi3EEENS1_32PointwiseOpScalar0dTensorFunctorIN3c107complexIdEELi3ELi2ELi0EEEJSt10multipliesIS8_ES8_EEEvT_T0_DpT1_,"axG",@progbits,_ZN2at6native12_GLOBAL__N_125multi_tensor_apply_kernelINS1_18TensorListMetadataILi3EEENS1_32PointwiseOpScalar0dTensorFunctorIN3c107complexIdEELi3ELi2ELi0EEEJSt10multipliesIS8_ES8_EEEvT_T0_DpT1_,comdat
.Lfunc_end40:
	.size	_ZN2at6native12_GLOBAL__N_125multi_tensor_apply_kernelINS1_18TensorListMetadataILi3EEENS1_32PointwiseOpScalar0dTensorFunctorIN3c107complexIdEELi3ELi2ELi0EEEJSt10multipliesIS8_ES8_EEEvT_T0_DpT1_, .Lfunc_end40-_ZN2at6native12_GLOBAL__N_125multi_tensor_apply_kernelINS1_18TensorListMetadataILi3EEENS1_32PointwiseOpScalar0dTensorFunctorIN3c107complexIdEELi3ELi2ELi0EEEJSt10multipliesIS8_ES8_EEEvT_T0_DpT1_
                                        ; -- End function
	.section	.AMDGPU.csdata,"",@progbits
; Kernel info:
; codeLenInByte = 2632
; NumSgprs: 32
; NumVgprs: 62
; ScratchSize: 0
; MemoryBound: 1
; FloatMode: 240
; IeeeMode: 1
; LDSByteSize: 0 bytes/workgroup (compile time only)
; SGPRBlocks: 3
; VGPRBlocks: 7
; NumSGPRsForWavesPerEU: 32
; NumVGPRsForWavesPerEU: 62
; Occupancy: 16
; WaveLimiterHint : 0
; COMPUTE_PGM_RSRC2:SCRATCH_EN: 0
; COMPUTE_PGM_RSRC2:USER_SGPR: 15
; COMPUTE_PGM_RSRC2:TRAP_HANDLER: 0
; COMPUTE_PGM_RSRC2:TGID_X_EN: 1
; COMPUTE_PGM_RSRC2:TGID_Y_EN: 0
; COMPUTE_PGM_RSRC2:TGID_Z_EN: 0
; COMPUTE_PGM_RSRC2:TIDIG_COMP_CNT: 0
	.section	.text._ZN2at6native12_GLOBAL__N_125multi_tensor_apply_kernelINS1_18TensorListMetadataILi3EEENS1_32PointwiseOpScalar0dTensorFunctorIN3c107complexIfEELi3ELi2ELi0EEEJSt10multipliesIS8_ES8_EEEvT_T0_DpT1_,"axG",@progbits,_ZN2at6native12_GLOBAL__N_125multi_tensor_apply_kernelINS1_18TensorListMetadataILi3EEENS1_32PointwiseOpScalar0dTensorFunctorIN3c107complexIfEELi3ELi2ELi0EEEJSt10multipliesIS8_ES8_EEEvT_T0_DpT1_,comdat
	.globl	_ZN2at6native12_GLOBAL__N_125multi_tensor_apply_kernelINS1_18TensorListMetadataILi3EEENS1_32PointwiseOpScalar0dTensorFunctorIN3c107complexIfEELi3ELi2ELi0EEEJSt10multipliesIS8_ES8_EEEvT_T0_DpT1_ ; -- Begin function _ZN2at6native12_GLOBAL__N_125multi_tensor_apply_kernelINS1_18TensorListMetadataILi3EEENS1_32PointwiseOpScalar0dTensorFunctorIN3c107complexIfEELi3ELi2ELi0EEEJSt10multipliesIS8_ES8_EEEvT_T0_DpT1_
	.p2align	8
	.type	_ZN2at6native12_GLOBAL__N_125multi_tensor_apply_kernelINS1_18TensorListMetadataILi3EEENS1_32PointwiseOpScalar0dTensorFunctorIN3c107complexIfEELi3ELi2ELi0EEEJSt10multipliesIS8_ES8_EEEvT_T0_DpT1_,@function
_ZN2at6native12_GLOBAL__N_125multi_tensor_apply_kernelINS1_18TensorListMetadataILi3EEENS1_32PointwiseOpScalar0dTensorFunctorIN3c107complexIfEELi3ELi2ELi0EEEJSt10multipliesIS8_ES8_EEEvT_T0_DpT1_: ; @_ZN2at6native12_GLOBAL__N_125multi_tensor_apply_kernelINS1_18TensorListMetadataILi3EEENS1_32PointwiseOpScalar0dTensorFunctorIN3c107complexIfEELi3ELi2ELi0EEEJSt10multipliesIS8_ES8_EEEvT_T0_DpT1_
; %bb.0:
	v_mov_b32_e32 v1, s15
	s_add_u32 s2, s0, s15
	s_mul_hi_u32 s3, s15, 3
	s_mul_i32 s15, s15, 3
	s_addc_u32 s4, s1, 0
	global_load_u8 v1, v1, s[0:1] offset:1536
	s_load_b64 s[6:7], s[0:1], 0xc50
	s_add_u32 s2, s2, s15
	s_addc_u32 s3, s4, s3
	s_mov_b32 s25, 0
	s_load_b32 s2, s[2:3], 0x740
	s_mov_b32 s27, s25
	s_waitcnt vmcnt(0)
	v_readfirstlane_b32 s3, v1
	s_delay_alu instid0(VALU_DEP_1)
	s_lshl_b32 s3, s3, 3
	s_clause 0x3
	s_load_b64 s[14:15], s[0:1], s3 offset:0x0
	s_load_b64 s[12:13], s[0:1], s3 offset:0x180
	;; [unrolled: 1-line block ×4, first 2 shown]
	s_waitcnt lgkmcnt(0)
	s_ashr_i32 s3, s2, 31
	s_delay_alu instid0(SALU_CYCLE_1) | instskip(NEXT) | instid1(SALU_CYCLE_1)
	s_lshl_b64 s[8:9], s[2:3], 19
	s_add_u32 s5, s14, s8
	s_addc_u32 s18, s15, s9
	s_add_u32 s4, s12, s8
	s_add_u32 s19, s16, s8
	s_load_b64 s[12:13], s[12:13], 0x0
	s_addc_u32 s20, s17, s9
	s_or_b32 s4, s19, s4
	s_lshl_b64 s[2:3], s[2:3], 16
	s_and_b32 s4, s4, 31
	s_and_b32 s24, s5, 31
	s_cmp_lg_u32 s4, 0
	s_cselect_b32 s4, -1, 0
	s_sub_u32 s10, s22, s2
	s_subb_u32 s11, s23, s3
	s_and_b32 s26, s22, 3
	s_delay_alu instid0(SALU_CYCLE_1) | instskip(NEXT) | instid1(SALU_CYCLE_1)
	s_or_b64 s[2:3], s[24:25], s[26:27]
	s_cmp_lg_u64 s[2:3], 0
	s_cselect_b32 s2, -1, 0
	s_delay_alu instid0(SALU_CYCLE_1) | instskip(NEXT) | instid1(SALU_CYCLE_1)
	s_or_b32 s2, s4, s2
	s_and_not1_b32 vcc_lo, exec_lo, s2
	s_mov_b32 s2, -1
	s_cbranch_vccz .LBB41_5
; %bb.1:
	v_dual_mov_b32 v2, 0 :: v_dual_lshlrev_b32 v1, 2, v0
	s_mov_b32 s21, exec_lo
	s_delay_alu instid0(VALU_DEP_1)
	v_cmpx_gt_i64_e64 s[10:11], v[1:2]
	s_cbranch_execz .LBB41_4
; %bb.2:
	s_load_b32 s2, s[0:1], 0xc64
	s_and_b32 s3, s7, 0x7fffffff
	v_lshlrev_b32_e32 v3, 5, v0
	s_cmp_eq_u32 s3, 0
	v_cmp_eq_f32_e64 s3, s6, 1.0
	s_cselect_b32 s4, -1, 0
	s_mov_b32 s22, 0
	s_delay_alu instid0(VALU_DEP_1) | instskip(SKIP_2) | instid1(SALU_CYCLE_1)
	s_and_b32 vcc_lo, s3, s4
	s_waitcnt lgkmcnt(0)
	s_and_b32 s2, s2, 0xffff
	v_add_lshl_u32 v1, v0, s2, 2
	s_lshl_b32 s23, s2, 2
	s_lshl_b32 s24, s2, 5
.LBB41_3:                               ; =>This Inner Loop Header: Depth=1
	v_add_co_u32 v8, s2, s19, v3
	s_delay_alu instid0(VALU_DEP_1) | instskip(SKIP_1) | instid1(VALU_DEP_1)
	v_add_co_ci_u32_e64 v9, null, s20, 0, s2
	v_add_co_u32 v20, s2, s5, v3
	v_add_co_ci_u32_e64 v21, null, s18, 0, s2
	s_clause 0x1
	global_load_b128 v[4:7], v[8:9], off
	global_load_b128 v[8:11], v[8:9], off offset:16
	s_clause 0x1
	global_load_b128 v[12:15], v[20:21], off
	global_load_b128 v[16:19], v[20:21], off offset:16
	v_cmp_le_i64_e64 s2, s[10:11], v[1:2]
	v_cmp_lt_u64_e64 s3, 0xffff, v[1:2]
	v_add_co_u32 v1, s4, v1, s23
	s_delay_alu instid0(VALU_DEP_1) | instskip(NEXT) | instid1(VALU_DEP_3)
	v_add_co_ci_u32_e64 v2, s4, 0, v2, s4
	s_or_b32 s2, s2, s3
	s_add_u32 s5, s5, s24
	s_addc_u32 s18, s18, 0
	s_add_u32 s19, s19, s24
	s_addc_u32 s20, s20, 0
	s_and_b32 s2, exec_lo, s2
	s_delay_alu instid0(SALU_CYCLE_1) | instskip(SKIP_4) | instid1(VALU_DEP_2)
	s_or_b32 s22, s2, s22
	s_waitcnt vmcnt(3)
	v_dual_mul_f32 v22, s13, v5 :: v_dual_mul_f32 v23, s13, v7
	s_waitcnt vmcnt(2)
	v_dual_mul_f32 v7, s12, v7 :: v_dual_mul_f32 v24, s13, v9
	v_fma_f32 v22, v4, s12, -v22
	s_delay_alu instid0(VALU_DEP_2) | instskip(SKIP_1) | instid1(VALU_DEP_1)
	v_fmac_f32_e32 v7, s13, v6
	v_mul_f32_e32 v5, s12, v5
	v_fmac_f32_e32 v5, s13, v4
	v_mul_f32_e32 v25, s13, v11
	v_mul_f32_e32 v11, s12, v11
	v_fma_f32 v4, v6, s12, -v23
	v_fma_f32 v6, v8, s12, -v24
	v_dual_mul_f32 v24, s7, v7 :: v_dual_mul_f32 v23, s7, v22
	s_delay_alu instid0(VALU_DEP_4) | instskip(SKIP_1) | instid1(VALU_DEP_3)
	v_fmac_f32_e32 v11, s13, v10
	v_mul_f32_e32 v9, s12, v9
	v_fma_f32 v24, v4, s6, -v24
	s_delay_alu instid0(VALU_DEP_2) | instskip(SKIP_2) | instid1(VALU_DEP_2)
	v_dual_mul_f32 v28, s7, v11 :: v_dual_fmac_f32 v9, s13, v8
	v_fma_f32 v8, v10, s12, -v25
	v_mul_f32_e32 v10, s7, v5
	v_fma_f32 v28, v8, s6, -v28
	s_delay_alu instid0(VALU_DEP_2) | instskip(NEXT) | instid1(VALU_DEP_1)
	v_fma_f32 v10, v22, s6, -v10
	v_dual_mul_f32 v29, s7, v8 :: v_dual_cndmask_b32 v10, v10, v22
	v_cndmask_b32_e32 v22, v24, v4, vcc_lo
	v_mul_f32_e32 v25, s7, v4
	s_delay_alu instid0(VALU_DEP_3)
	v_dual_cndmask_b32 v24, v28, v8 :: v_dual_fmac_f32 v29, s6, v11
	s_waitcnt vmcnt(1)
	v_add_f32_e32 v4, v12, v10
	v_mul_f32_e32 v26, s7, v9
	s_waitcnt vmcnt(0)
	v_dual_add_f32 v10, v18, v24 :: v_dual_fmac_f32 v23, s6, v5
	v_cndmask_b32_e32 v11, v29, v11, vcc_lo
	s_delay_alu instid0(VALU_DEP_3) | instskip(NEXT) | instid1(VALU_DEP_3)
	v_fma_f32 v26, v6, s6, -v26
	v_cndmask_b32_e32 v5, v23, v5, vcc_lo
	s_delay_alu instid0(VALU_DEP_3) | instskip(NEXT) | instid1(VALU_DEP_3)
	v_add_f32_e32 v11, v19, v11
	v_cndmask_b32_e32 v23, v26, v6, vcc_lo
	v_mul_f32_e32 v27, s7, v6
	v_dual_add_f32 v6, v14, v22 :: v_dual_fmac_f32 v25, s6, v7
	s_delay_alu instid0(VALU_DEP_3) | instskip(NEXT) | instid1(VALU_DEP_3)
	v_dual_add_f32 v5, v13, v5 :: v_dual_add_f32 v8, v16, v23
	v_fmac_f32_e32 v27, s6, v9
	s_delay_alu instid0(VALU_DEP_3) | instskip(NEXT) | instid1(VALU_DEP_2)
	v_cndmask_b32_e32 v7, v25, v7, vcc_lo
	v_cndmask_b32_e32 v9, v27, v9, vcc_lo
	s_delay_alu instid0(VALU_DEP_2) | instskip(NEXT) | instid1(VALU_DEP_2)
	v_add_f32_e32 v7, v15, v7
	v_add_f32_e32 v9, v17, v9
	s_clause 0x1
	global_store_b128 v[20:21], v[4:7], off
	global_store_b128 v[20:21], v[8:11], off offset:16
	s_and_not1_b32 exec_lo, exec_lo, s22
	s_cbranch_execnz .LBB41_3
.LBB41_4:
	s_or_b32 exec_lo, exec_lo, s21
	s_mov_b32 s2, 0
.LBB41_5:
	s_delay_alu instid0(SALU_CYCLE_1)
	s_and_not1_b32 vcc_lo, exec_lo, s2
	s_cbranch_vccnz .LBB41_25
; %bb.6:
	v_cmp_lt_i64_e64 s2, s[10:11], 1
	s_delay_alu instid0(VALU_DEP_1)
	s_and_b32 vcc_lo, exec_lo, s2
	s_cbranch_vccnz .LBB41_25
; %bb.7:
	s_load_b32 s0, s[0:1], 0xc64
	v_dual_mov_b32 v1, 0 :: v_dual_lshlrev_b32 v6, 3, v0
	s_and_b32 s2, s7, 0x7fffffff
	v_cmp_eq_f32_e64 s1, s6, 1.0
	v_cmp_gt_u64_e64 s4, 0x10000, s[10:11]
	s_delay_alu instid0(VALU_DEP_3) | instskip(SKIP_2) | instid1(VALU_DEP_2)
	v_or_b32_e32 v2, 4, v6
	v_mov_b32_e32 v3, v1
	s_mov_b32 s3, 0
	v_add_co_u32 v24, s5, s16, v2
	s_delay_alu instid0(VALU_DEP_1)
	v_add_co_ci_u32_e64 v25, null, s17, 0, s5
	s_waitcnt lgkmcnt(0)
	s_and_b32 s18, s0, 0xffff
	s_cmp_eq_u32 s2, 0
	v_add_lshl_u32 v7, v0, s18, 3
	s_cselect_b32 s0, -1, 0
	v_mad_u64_u32 v[4:5], null, s18, 24, v[2:3]
	s_and_b32 s0, s1, s0
	s_and_b32 s1, s4, exec_lo
	v_add_co_u32 v26, s1, s14, v7
	s_delay_alu instid0(VALU_DEP_1) | instskip(SKIP_1) | instid1(VALU_DEP_1)
	v_add_co_ci_u32_e64 v27, null, s15, 0, s1
	v_add_co_u32 v28, s1, s14, v2
	v_add_co_ci_u32_e64 v29, null, s15, 0, s1
	v_add_co_u32 v30, s1, s16, v7
	s_cselect_b32 s5, s11, 0
	s_cselect_b32 s4, s10, 0x10000
	v_add_co_ci_u32_e64 v31, null, s17, 0, s1
	s_lshl_b32 s1, s18, 4
	v_add_co_u32 v32, vcc_lo, s16, v4
	v_add_co_u32 v2, s1, s1, v6
	v_add_co_ci_u32_e32 v33, vcc_lo, s17, v5, vcc_lo
	v_add_co_ci_u32_e64 v3, null, 0, 0, s1
	v_add_co_u32 v34, vcc_lo, s14, v4
	v_add_co_ci_u32_e32 v35, vcc_lo, s15, v5, vcc_lo
	v_add_co_u32 v4, vcc_lo, v2, s16
	s_delay_alu instid0(VALU_DEP_4) | instskip(SKIP_2) | instid1(VALU_DEP_4)
	v_add_co_ci_u32_e32 v5, vcc_lo, s17, v3, vcc_lo
	v_add_co_u32 v36, vcc_lo, s14, v2
	v_add_co_ci_u32_e32 v37, vcc_lo, s15, v3, vcc_lo
	v_add_co_u32 v38, vcc_lo, v4, 4
	s_delay_alu instid0(VALU_DEP_4)
	v_add_co_ci_u32_e32 v39, vcc_lo, 0, v5, vcc_lo
	s_lshl_b32 s2, s18, 2
	s_mul_i32 s19, s18, 3
	s_lshl_b32 s20, s18, 1
	s_lshl_b32 s16, s18, 5
	s_mov_b64 s[14:15], s[2:3]
	s_branch .LBB41_9
.LBB41_8:                               ;   in Loop: Header=BB41_9 Depth=1
	s_or_b32 exec_lo, exec_lo, s1
	v_add_co_u32 v0, vcc_lo, v0, s2
	v_add_co_ci_u32_e32 v1, vcc_lo, 0, v1, vcc_lo
	v_add_co_u32 v24, vcc_lo, v24, s16
	v_add_co_ci_u32_e32 v25, vcc_lo, 0, v25, vcc_lo
	;; [unrolled: 2-line block ×7, first 2 shown]
	v_cmp_ge_i64_e64 s1, s[14:15], s[10:11]
	v_cmp_lt_u64_e64 s3, 0xffff, s[14:15]
	v_add_co_u32 v36, vcc_lo, v36, s16
	v_add_co_ci_u32_e32 v37, vcc_lo, 0, v37, vcc_lo
	v_add_co_u32 v38, vcc_lo, v38, s16
	v_add_co_ci_u32_e32 v39, vcc_lo, 0, v39, vcc_lo
	s_or_b32 s1, s1, s3
	s_add_u32 s14, s14, s2
	s_addc_u32 s15, s15, 0
	s_and_b32 vcc_lo, exec_lo, s1
	s_cbranch_vccnz .LBB41_25
.LBB41_9:                               ; =>This Inner Loop Header: Depth=1
	v_cmp_gt_i64_e32 vcc_lo, s[10:11], v[0:1]
	v_cmp_gt_u64_e64 s1, 0x10000, v[0:1]
	s_waitcnt vmcnt(0)
	v_dual_mov_b32 v9, 0 :: v_dual_mov_b32 v8, 0
	v_dual_mov_b32 v5, 0 :: v_dual_mov_b32 v4, 0
	s_delay_alu instid0(VALU_DEP_3) | instskip(NEXT) | instid1(SALU_CYCLE_1)
	s_and_b32 s3, vcc_lo, s1
	s_and_saveexec_b32 s1, s3
	s_cbranch_execz .LBB41_11
; %bb.10:                               ;   in Loop: Header=BB41_9 Depth=1
	v_add_co_u32 v2, vcc_lo, v28, s8
	v_add_co_ci_u32_e32 v3, vcc_lo, s9, v29, vcc_lo
	v_add_co_u32 v6, vcc_lo, v24, s8
	v_add_co_ci_u32_e32 v7, vcc_lo, s9, v25, vcc_lo
	global_load_b64 v[4:5], v[2:3], off offset:-4
	global_load_b64 v[8:9], v[6:7], off offset:-4
.LBB41_11:                              ;   in Loop: Header=BB41_9 Depth=1
	s_or_b32 exec_lo, exec_lo, s1
	v_add_co_u32 v10, vcc_lo, s18, v0
	v_add_co_ci_u32_e32 v11, vcc_lo, 0, v1, vcc_lo
	v_dual_mov_b32 v3, 0 :: v_dual_mov_b32 v12, 0
	v_dual_mov_b32 v13, 0 :: v_dual_mov_b32 v6, 0
	s_delay_alu instid0(VALU_DEP_3) | instskip(SKIP_2) | instid1(VALU_DEP_2)
	v_cmp_gt_i64_e32 vcc_lo, s[10:11], v[10:11]
	v_cmp_gt_u64_e64 s1, 0x10000, v[10:11]
	v_mov_b32_e32 v7, 0
	s_and_b32 s3, vcc_lo, s1
	s_delay_alu instid0(SALU_CYCLE_1)
	s_and_saveexec_b32 s1, s3
	s_cbranch_execz .LBB41_13
; %bb.12:                               ;   in Loop: Header=BB41_9 Depth=1
	v_add_co_u32 v6, vcc_lo, v26, s8
	v_add_co_ci_u32_e32 v7, vcc_lo, s9, v27, vcc_lo
	v_add_co_u32 v12, vcc_lo, v30, s8
	v_add_co_ci_u32_e32 v13, vcc_lo, s9, v31, vcc_lo
	global_load_b64 v[6:7], v[6:7], off
	global_load_b64 v[12:13], v[12:13], off
.LBB41_13:                              ;   in Loop: Header=BB41_9 Depth=1
	s_or_b32 exec_lo, exec_lo, s1
	v_add_co_u32 v16, vcc_lo, s20, v0
	v_add_co_ci_u32_e32 v17, vcc_lo, 0, v1, vcc_lo
	v_dual_mov_b32 v2, 0 :: v_dual_mov_b32 v15, 0
	v_mov_b32_e32 v14, 0
	s_delay_alu instid0(VALU_DEP_3) | instskip(SKIP_1) | instid1(VALU_DEP_1)
	v_cmp_gt_i64_e32 vcc_lo, s[10:11], v[16:17]
	v_cmp_gt_u64_e64 s1, 0x10000, v[16:17]
	s_and_b32 s3, vcc_lo, s1
	s_delay_alu instid0(SALU_CYCLE_1)
	s_and_saveexec_b32 s1, s3
	s_cbranch_execz .LBB41_15
; %bb.14:                               ;   in Loop: Header=BB41_9 Depth=1
	v_add_co_u32 v2, vcc_lo, v36, s8
	v_add_co_ci_u32_e32 v3, vcc_lo, s9, v37, vcc_lo
	v_add_co_u32 v18, vcc_lo, v38, s8
	v_add_co_ci_u32_e32 v19, vcc_lo, s9, v39, vcc_lo
	global_load_b64 v[14:15], v[2:3], off
	global_load_b64 v[2:3], v[18:19], off offset:-4
.LBB41_15:                              ;   in Loop: Header=BB41_9 Depth=1
	s_or_b32 exec_lo, exec_lo, s1
	v_add_co_u32 v20, vcc_lo, s19, v0
	v_add_co_ci_u32_e32 v21, vcc_lo, 0, v1, vcc_lo
	v_dual_mov_b32 v23, 0 :: v_dual_mov_b32 v22, 0
	v_dual_mov_b32 v19, 0 :: v_dual_mov_b32 v18, 0
	s_delay_alu instid0(VALU_DEP_3) | instskip(SKIP_1) | instid1(VALU_DEP_1)
	v_cmp_gt_i64_e32 vcc_lo, s[10:11], v[20:21]
	v_cmp_gt_u64_e64 s1, 0x10000, v[20:21]
	s_and_b32 s3, vcc_lo, s1
	s_delay_alu instid0(SALU_CYCLE_1)
	s_and_saveexec_b32 s1, s3
	s_cbranch_execnz .LBB41_20
; %bb.16:                               ;   in Loop: Header=BB41_9 Depth=1
	s_or_b32 exec_lo, exec_lo, s1
	s_delay_alu instid0(SALU_CYCLE_1)
	s_mov_b32 s1, exec_lo
	v_cmpx_gt_u64_e64 s[4:5], v[0:1]
	s_cbranch_execnz .LBB41_21
.LBB41_17:                              ;   in Loop: Header=BB41_9 Depth=1
	s_or_b32 exec_lo, exec_lo, s1
	s_delay_alu instid0(SALU_CYCLE_1)
	s_mov_b32 s1, exec_lo
	v_cmpx_gt_u64_e64 s[4:5], v[10:11]
	s_cbranch_execnz .LBB41_22
.LBB41_18:                              ;   in Loop: Header=BB41_9 Depth=1
	s_or_b32 exec_lo, exec_lo, s1
	s_delay_alu instid0(SALU_CYCLE_1)
	s_mov_b32 s1, exec_lo
	v_cmpx_gt_u64_e64 s[4:5], v[16:17]
	s_cbranch_execnz .LBB41_23
.LBB41_19:                              ;   in Loop: Header=BB41_9 Depth=1
	s_or_b32 exec_lo, exec_lo, s1
	s_delay_alu instid0(SALU_CYCLE_1)
	s_mov_b32 s1, exec_lo
	v_cmpx_gt_u64_e64 s[4:5], v[20:21]
	s_cbranch_execz .LBB41_8
	s_branch .LBB41_24
.LBB41_20:                              ;   in Loop: Header=BB41_9 Depth=1
	v_add_co_u32 v18, vcc_lo, v34, s8
	v_add_co_ci_u32_e32 v19, vcc_lo, s9, v35, vcc_lo
	v_add_co_u32 v22, vcc_lo, v32, s8
	v_add_co_ci_u32_e32 v23, vcc_lo, s9, v33, vcc_lo
	global_load_b64 v[18:19], v[18:19], off offset:-4
	global_load_b64 v[22:23], v[22:23], off offset:-4
	s_or_b32 exec_lo, exec_lo, s1
	s_delay_alu instid0(SALU_CYCLE_1)
	s_mov_b32 s1, exec_lo
	v_cmpx_gt_u64_e64 s[4:5], v[0:1]
	s_cbranch_execz .LBB41_17
.LBB41_21:                              ;   in Loop: Header=BB41_9 Depth=1
	s_waitcnt vmcnt(0)
	v_dual_mul_f32 v40, s13, v9 :: v_dual_mul_f32 v41, s13, v8
	s_delay_alu instid0(VALU_DEP_1) | instskip(NEXT) | instid1(VALU_DEP_2)
	v_fma_f32 v8, v8, s12, -v40
	v_fmac_f32_e32 v41, s12, v9
	s_delay_alu instid0(VALU_DEP_1) | instskip(NEXT) | instid1(VALU_DEP_1)
	v_dual_mul_f32 v9, s7, v8 :: v_dual_mul_f32 v40, s7, v41
	v_fma_f32 v40, v8, s6, -v40
	s_delay_alu instid0(VALU_DEP_1) | instskip(NEXT) | instid1(VALU_DEP_1)
	v_cndmask_b32_e64 v8, v40, v8, s0
	v_dual_add_f32 v4, v4, v8 :: v_dual_fmac_f32 v9, s6, v41
	v_add_co_u32 v8, vcc_lo, v28, s8
	s_delay_alu instid0(VALU_DEP_2) | instskip(NEXT) | instid1(VALU_DEP_1)
	v_cndmask_b32_e64 v9, v9, v41, s0
	v_add_f32_e32 v5, v5, v9
	v_add_co_ci_u32_e32 v9, vcc_lo, s9, v29, vcc_lo
	global_store_b64 v[8:9], v[4:5], off offset:-4
	s_or_b32 exec_lo, exec_lo, s1
	s_delay_alu instid0(SALU_CYCLE_1)
	s_mov_b32 s1, exec_lo
	v_cmpx_gt_u64_e64 s[4:5], v[10:11]
	s_cbranch_execz .LBB41_18
.LBB41_22:                              ;   in Loop: Header=BB41_9 Depth=1
	s_waitcnt vmcnt(0)
	v_dual_mul_f32 v4, s13, v12 :: v_dual_mul_f32 v5, s13, v13
	s_delay_alu instid0(VALU_DEP_1) | instskip(NEXT) | instid1(VALU_DEP_2)
	v_fmac_f32_e32 v4, s12, v13
	v_fma_f32 v5, v12, s12, -v5
	s_delay_alu instid0(VALU_DEP_1) | instskip(NEXT) | instid1(VALU_DEP_1)
	v_dual_mul_f32 v8, s7, v4 :: v_dual_mul_f32 v9, s7, v5
	v_fma_f32 v8, v5, s6, -v8
	s_delay_alu instid0(VALU_DEP_1) | instskip(NEXT) | instid1(VALU_DEP_3)
	v_cndmask_b32_e64 v5, v8, v5, s0
	v_fmac_f32_e32 v9, s6, v4
	s_delay_alu instid0(VALU_DEP_1) | instskip(NEXT) | instid1(VALU_DEP_3)
	v_cndmask_b32_e64 v8, v9, v4, s0
	v_add_f32_e32 v4, v6, v5
	v_add_co_u32 v6, vcc_lo, v26, s8
	s_delay_alu instid0(VALU_DEP_3) | instskip(SKIP_3) | instid1(SALU_CYCLE_1)
	v_add_f32_e32 v5, v7, v8
	v_add_co_ci_u32_e32 v7, vcc_lo, s9, v27, vcc_lo
	global_store_b64 v[6:7], v[4:5], off
	s_or_b32 exec_lo, exec_lo, s1
	s_mov_b32 s1, exec_lo
	v_cmpx_gt_u64_e64 s[4:5], v[16:17]
	s_cbranch_execz .LBB41_19
.LBB41_23:                              ;   in Loop: Header=BB41_9 Depth=1
	s_waitcnt vmcnt(0)
	v_dual_mul_f32 v4, s13, v2 :: v_dual_mul_f32 v5, s13, v3
	s_delay_alu instid0(VALU_DEP_1) | instskip(NEXT) | instid1(VALU_DEP_1)
	v_fma_f32 v2, v2, s12, -v5
	v_dual_fmac_f32 v4, s12, v3 :: v_dual_mul_f32 v5, s7, v2
	s_delay_alu instid0(VALU_DEP_1) | instskip(NEXT) | instid1(VALU_DEP_2)
	v_mul_f32_e32 v3, s7, v4
	v_fmac_f32_e32 v5, s6, v4
	s_delay_alu instid0(VALU_DEP_2) | instskip(NEXT) | instid1(VALU_DEP_1)
	v_fma_f32 v3, v2, s6, -v3
	v_cndmask_b32_e64 v2, v3, v2, s0
	s_delay_alu instid0(VALU_DEP_3) | instskip(SKIP_2) | instid1(VALU_DEP_3)
	v_cndmask_b32_e64 v3, v5, v4, s0
	v_add_co_u32 v4, vcc_lo, v36, s8
	v_add_co_ci_u32_e32 v5, vcc_lo, s9, v37, vcc_lo
	v_dual_add_f32 v2, v14, v2 :: v_dual_add_f32 v3, v15, v3
	global_store_b64 v[4:5], v[2:3], off
	s_or_b32 exec_lo, exec_lo, s1
	s_delay_alu instid0(SALU_CYCLE_1)
	s_mov_b32 s1, exec_lo
	v_cmpx_gt_u64_e64 s[4:5], v[20:21]
	s_cbranch_execz .LBB41_8
.LBB41_24:                              ;   in Loop: Header=BB41_9 Depth=1
	s_waitcnt vmcnt(0)
	v_dual_mul_f32 v2, s13, v22 :: v_dual_mul_f32 v3, s13, v23
	s_delay_alu instid0(VALU_DEP_1) | instskip(NEXT) | instid1(VALU_DEP_2)
	v_fmac_f32_e32 v2, s12, v23
	v_fma_f32 v3, v22, s12, -v3
	s_delay_alu instid0(VALU_DEP_1) | instskip(NEXT) | instid1(VALU_DEP_1)
	v_dual_mul_f32 v4, s7, v2 :: v_dual_mul_f32 v5, s7, v3
	v_fma_f32 v4, v3, s6, -v4
	s_delay_alu instid0(VALU_DEP_1) | instskip(NEXT) | instid1(VALU_DEP_3)
	v_cndmask_b32_e64 v3, v4, v3, s0
	v_fmac_f32_e32 v5, s6, v2
	s_delay_alu instid0(VALU_DEP_1) | instskip(NEXT) | instid1(VALU_DEP_1)
	v_cndmask_b32_e64 v4, v5, v2, s0
	v_dual_add_f32 v2, v18, v3 :: v_dual_add_f32 v3, v19, v4
	v_add_co_u32 v4, vcc_lo, v34, s8
	v_add_co_ci_u32_e32 v5, vcc_lo, s9, v35, vcc_lo
	global_store_b64 v[4:5], v[2:3], off offset:-4
	s_branch .LBB41_8
.LBB41_25:
	s_nop 0
	s_sendmsg sendmsg(MSG_DEALLOC_VGPRS)
	s_endpgm
	.section	.rodata,"a",@progbits
	.p2align	6, 0x0
	.amdhsa_kernel _ZN2at6native12_GLOBAL__N_125multi_tensor_apply_kernelINS1_18TensorListMetadataILi3EEENS1_32PointwiseOpScalar0dTensorFunctorIN3c107complexIfEELi3ELi2ELi0EEEJSt10multipliesIS8_ES8_EEEvT_T0_DpT1_
		.amdhsa_group_segment_fixed_size 0
		.amdhsa_private_segment_fixed_size 0
		.amdhsa_kernarg_size 3416
		.amdhsa_user_sgpr_count 15
		.amdhsa_user_sgpr_dispatch_ptr 0
		.amdhsa_user_sgpr_queue_ptr 0
		.amdhsa_user_sgpr_kernarg_segment_ptr 1
		.amdhsa_user_sgpr_dispatch_id 0
		.amdhsa_user_sgpr_private_segment_size 0
		.amdhsa_wavefront_size32 1
		.amdhsa_uses_dynamic_stack 0
		.amdhsa_enable_private_segment 0
		.amdhsa_system_sgpr_workgroup_id_x 1
		.amdhsa_system_sgpr_workgroup_id_y 0
		.amdhsa_system_sgpr_workgroup_id_z 0
		.amdhsa_system_sgpr_workgroup_info 0
		.amdhsa_system_vgpr_workitem_id 0
		.amdhsa_next_free_vgpr 42
		.amdhsa_next_free_sgpr 28
		.amdhsa_reserve_vcc 1
		.amdhsa_float_round_mode_32 0
		.amdhsa_float_round_mode_16_64 0
		.amdhsa_float_denorm_mode_32 3
		.amdhsa_float_denorm_mode_16_64 3
		.amdhsa_dx10_clamp 1
		.amdhsa_ieee_mode 1
		.amdhsa_fp16_overflow 0
		.amdhsa_workgroup_processor_mode 1
		.amdhsa_memory_ordered 1
		.amdhsa_forward_progress 0
		.amdhsa_shared_vgpr_count 0
		.amdhsa_exception_fp_ieee_invalid_op 0
		.amdhsa_exception_fp_denorm_src 0
		.amdhsa_exception_fp_ieee_div_zero 0
		.amdhsa_exception_fp_ieee_overflow 0
		.amdhsa_exception_fp_ieee_underflow 0
		.amdhsa_exception_fp_ieee_inexact 0
		.amdhsa_exception_int_div_zero 0
	.end_amdhsa_kernel
	.section	.text._ZN2at6native12_GLOBAL__N_125multi_tensor_apply_kernelINS1_18TensorListMetadataILi3EEENS1_32PointwiseOpScalar0dTensorFunctorIN3c107complexIfEELi3ELi2ELi0EEEJSt10multipliesIS8_ES8_EEEvT_T0_DpT1_,"axG",@progbits,_ZN2at6native12_GLOBAL__N_125multi_tensor_apply_kernelINS1_18TensorListMetadataILi3EEENS1_32PointwiseOpScalar0dTensorFunctorIN3c107complexIfEELi3ELi2ELi0EEEJSt10multipliesIS8_ES8_EEEvT_T0_DpT1_,comdat
.Lfunc_end41:
	.size	_ZN2at6native12_GLOBAL__N_125multi_tensor_apply_kernelINS1_18TensorListMetadataILi3EEENS1_32PointwiseOpScalar0dTensorFunctorIN3c107complexIfEELi3ELi2ELi0EEEJSt10multipliesIS8_ES8_EEEvT_T0_DpT1_, .Lfunc_end41-_ZN2at6native12_GLOBAL__N_125multi_tensor_apply_kernelINS1_18TensorListMetadataILi3EEENS1_32PointwiseOpScalar0dTensorFunctorIN3c107complexIfEELi3ELi2ELi0EEEJSt10multipliesIS8_ES8_EEEvT_T0_DpT1_
                                        ; -- End function
	.section	.AMDGPU.csdata,"",@progbits
; Kernel info:
; codeLenInByte = 2324
; NumSgprs: 30
; NumVgprs: 42
; ScratchSize: 0
; MemoryBound: 0
; FloatMode: 240
; IeeeMode: 1
; LDSByteSize: 0 bytes/workgroup (compile time only)
; SGPRBlocks: 3
; VGPRBlocks: 5
; NumSGPRsForWavesPerEU: 30
; NumVGPRsForWavesPerEU: 42
; Occupancy: 16
; WaveLimiterHint : 0
; COMPUTE_PGM_RSRC2:SCRATCH_EN: 0
; COMPUTE_PGM_RSRC2:USER_SGPR: 15
; COMPUTE_PGM_RSRC2:TRAP_HANDLER: 0
; COMPUTE_PGM_RSRC2:TGID_X_EN: 1
; COMPUTE_PGM_RSRC2:TGID_Y_EN: 0
; COMPUTE_PGM_RSRC2:TGID_Z_EN: 0
; COMPUTE_PGM_RSRC2:TIDIG_COMP_CNT: 0
	.section	.text._ZN2at6native12_GLOBAL__N_125multi_tensor_apply_kernelINS1_18TensorListMetadataILi3EEENS1_32PointwiseOpScalar0dTensorFunctorIN3c104HalfELi3ELi2ELi0EEEJSt10multipliesIfEfEEEvT_T0_DpT1_,"axG",@progbits,_ZN2at6native12_GLOBAL__N_125multi_tensor_apply_kernelINS1_18TensorListMetadataILi3EEENS1_32PointwiseOpScalar0dTensorFunctorIN3c104HalfELi3ELi2ELi0EEEJSt10multipliesIfEfEEEvT_T0_DpT1_,comdat
	.globl	_ZN2at6native12_GLOBAL__N_125multi_tensor_apply_kernelINS1_18TensorListMetadataILi3EEENS1_32PointwiseOpScalar0dTensorFunctorIN3c104HalfELi3ELi2ELi0EEEJSt10multipliesIfEfEEEvT_T0_DpT1_ ; -- Begin function _ZN2at6native12_GLOBAL__N_125multi_tensor_apply_kernelINS1_18TensorListMetadataILi3EEENS1_32PointwiseOpScalar0dTensorFunctorIN3c104HalfELi3ELi2ELi0EEEJSt10multipliesIfEfEEEvT_T0_DpT1_
	.p2align	8
	.type	_ZN2at6native12_GLOBAL__N_125multi_tensor_apply_kernelINS1_18TensorListMetadataILi3EEENS1_32PointwiseOpScalar0dTensorFunctorIN3c104HalfELi3ELi2ELi0EEEJSt10multipliesIfEfEEEvT_T0_DpT1_,@function
_ZN2at6native12_GLOBAL__N_125multi_tensor_apply_kernelINS1_18TensorListMetadataILi3EEENS1_32PointwiseOpScalar0dTensorFunctorIN3c104HalfELi3ELi2ELi0EEEJSt10multipliesIfEfEEEvT_T0_DpT1_: ; @_ZN2at6native12_GLOBAL__N_125multi_tensor_apply_kernelINS1_18TensorListMetadataILi3EEENS1_32PointwiseOpScalar0dTensorFunctorIN3c104HalfELi3ELi2ELi0EEEJSt10multipliesIfEfEEEvT_T0_DpT1_
; %bb.0:
	v_dual_mov_b32 v1, s15 :: v_dual_mov_b32 v2, 0
	s_add_u32 s2, s0, s15
	s_mul_i32 s4, s15, 3
	s_addc_u32 s3, s1, 0
	global_load_u8 v1, v1, s[0:1] offset:1536
	s_load_b32 s14, s[0:1], 0xc4c
	s_mul_hi_u32 s5, s15, 3
	s_add_u32 s2, s2, s4
	s_addc_u32 s3, s3, s5
	s_mov_b32 s19, 0
	s_load_b32 s6, s[2:3], 0x740
	s_waitcnt lgkmcnt(0)
	s_ashr_i32 s7, s6, 31
	s_waitcnt vmcnt(0)
	v_readfirstlane_b32 s2, v1
	s_delay_alu instid0(VALU_DEP_1)
	s_lshl_b32 s4, s2, 3
	s_clause 0x1
	s_load_b64 s[2:3], s[0:1], s4 offset:0x180
	s_load_b64 s[10:11], s[0:1], s4 offset:0x300
	s_waitcnt lgkmcnt(0)
	global_load_u16 v1, v2, s[2:3]
	s_clause 0x1
	s_load_b64 s[12:13], s[0:1], s4 offset:0x0
	s_load_b64 s[16:17], s[0:1], s4 offset:0x480
	s_lshl_b64 s[4:5], s[6:7], 17
	s_waitcnt lgkmcnt(0)
	s_add_u32 s3, s12, s4
	s_addc_u32 s8, s13, s5
	s_and_b32 s18, s3, 7
	s_add_u32 s2, s2, s4
	s_add_u32 s9, s10, s4
	s_addc_u32 s15, s11, s5
	s_or_b32 s2, s9, s2
	s_delay_alu instid0(SALU_CYCLE_1) | instskip(NEXT) | instid1(SALU_CYCLE_1)
	s_and_b32 s2, s2, 7
	s_cmp_lg_u32 s2, 0
	s_cselect_b32 s2, -1, 0
	s_lshl_b64 s[6:7], s[6:7], 16
	s_delay_alu instid0(SALU_CYCLE_1) | instskip(SKIP_3) | instid1(SALU_CYCLE_1)
	s_sub_u32 s6, s16, s6
	s_subb_u32 s7, s17, s7
	s_and_b32 s16, s16, 3
	s_mov_b32 s17, s19
	s_or_b64 s[16:17], s[18:19], s[16:17]
	s_delay_alu instid0(SALU_CYCLE_1) | instskip(SKIP_1) | instid1(SALU_CYCLE_1)
	s_cmp_lg_u64 s[16:17], 0
	s_cselect_b32 s16, -1, 0
	s_or_b32 s2, s2, s16
	s_delay_alu instid0(SALU_CYCLE_1)
	s_and_not1_b32 vcc_lo, exec_lo, s2
	s_mov_b32 s2, -1
	s_waitcnt vmcnt(0)
	v_cvt_f32_f16_e32 v9, v1
	s_cbranch_vccz .LBB42_21
; %bb.1:
	v_lshlrev_b32_e32 v1, 2, v0
	s_mov_b32 s16, exec_lo
	s_delay_alu instid0(VALU_DEP_1)
	v_cmpx_gt_i64_e64 s[6:7], v[1:2]
	s_cbranch_execz .LBB42_20
; %bb.2:
	s_load_b32 s2, s[0:1], 0xc5c
	v_mov_b32_e32 v2, 0
	v_lshlrev_b32_e32 v10, 3, v0
	v_cmp_neq_f32_e64 s17, s14, 1.0
	s_mov_b32 s18, 0
	s_waitcnt lgkmcnt(0)
	s_and_b32 s2, s2, 0xffff
	s_delay_alu instid0(SALU_CYCLE_1)
	v_add_lshl_u32 v1, v0, s2, 2
	s_lshl_b32 s19, s2, 2
	s_lshl_b32 s20, s2, 3
	s_branch .LBB42_4
.LBB42_3:                               ;   in Loop: Header=BB42_4 Depth=1
	v_cmp_le_i64_e32 vcc_lo, s[6:7], v[1:2]
	v_cmp_lt_u64_e64 s2, 0xffff, v[1:2]
	v_cvt_f16_f32_e32 v6, v7
	v_cvt_f16_f32_e32 v5, v5
	;; [unrolled: 1-line block ×4, first 2 shown]
	s_or_b32 s2, vcc_lo, s2
	s_add_u32 s3, s3, s20
	v_add_co_u32 v1, vcc_lo, v1, s19
	s_addc_u32 s8, s8, 0
	s_add_u32 s9, s9, s20
	v_pack_b32_f16 v6, v6, v8
	v_pack_b32_f16 v5, v7, v5
	v_add_co_ci_u32_e32 v2, vcc_lo, 0, v2, vcc_lo
	s_addc_u32 s15, s15, 0
	s_and_b32 s2, exec_lo, s2
	global_store_b64 v[3:4], v[5:6], off
	s_or_b32 s18, s2, s18
	s_delay_alu instid0(SALU_CYCLE_1)
	s_and_not1_b32 exec_lo, exec_lo, s18
	s_cbranch_execz .LBB42_20
.LBB42_4:                               ; =>This Inner Loop Header: Depth=1
	v_add_co_u32 v3, s2, s3, v10
	s_delay_alu instid0(VALU_DEP_1) | instskip(SKIP_1) | instid1(VALU_DEP_1)
	v_add_co_ci_u32_e64 v4, null, s8, 0, s2
	v_add_co_u32 v7, s2, s9, v10
	v_add_co_ci_u32_e64 v8, null, s15, 0, s2
	global_load_b64 v[5:6], v[3:4], off
	global_load_b64 v[7:8], v[7:8], off
	s_and_b32 vcc_lo, exec_lo, s17
	s_waitcnt vmcnt(1)
	v_cvt_f32_f16_e32 v12, v5
	s_waitcnt vmcnt(0)
	v_cvt_f32_f16_e32 v13, v7
	s_cbranch_vccz .LBB42_15
; %bb.5:                                ;   in Loop: Header=BB42_4 Depth=1
	s_delay_alu instid0(VALU_DEP_1) | instskip(NEXT) | instid1(VALU_DEP_1)
	v_mul_f32_e32 v11, v9, v13
	v_fma_f32 v11, s14, v11, v12
	s_cbranch_execnz .LBB42_7
.LBB42_6:                               ;   in Loop: Header=BB42_4 Depth=1
	s_delay_alu instid0(VALU_DEP_1) | instskip(NEXT) | instid1(VALU_DEP_1)
	v_fmac_f32_e32 v12, v9, v13
	v_mov_b32_e32 v11, v12
.LBB42_7:                               ;   in Loop: Header=BB42_4 Depth=1
	v_lshrrev_b32_e32 v5, 16, v5
	v_lshrrev_b32_e32 v12, 16, v7
	s_and_not1_b32 vcc_lo, exec_lo, s17
	s_delay_alu instid0(VALU_DEP_2) | instskip(NEXT) | instid1(VALU_DEP_2)
	v_cvt_f32_f16_e32 v7, v5
	v_cvt_f32_f16_e32 v12, v12
	s_cbranch_vccnz .LBB42_16
; %bb.8:                                ;   in Loop: Header=BB42_4 Depth=1
	s_delay_alu instid0(VALU_DEP_1) | instskip(NEXT) | instid1(VALU_DEP_1)
	v_mul_f32_e32 v5, v9, v12
	v_fma_f32 v5, s14, v5, v7
	s_cbranch_execnz .LBB42_10
.LBB42_9:                               ;   in Loop: Header=BB42_4 Depth=1
	s_delay_alu instid0(VALU_DEP_1) | instskip(NEXT) | instid1(VALU_DEP_1)
	v_fmac_f32_e32 v7, v9, v12
	v_mov_b32_e32 v5, v7
.LBB42_10:                              ;   in Loop: Header=BB42_4 Depth=1
	v_cvt_f32_f16_e32 v12, v6
	v_cvt_f32_f16_e32 v13, v8
	s_and_not1_b32 vcc_lo, exec_lo, s17
	s_cbranch_vccnz .LBB42_17
; %bb.11:                               ;   in Loop: Header=BB42_4 Depth=1
	s_delay_alu instid0(VALU_DEP_1) | instskip(NEXT) | instid1(VALU_DEP_1)
	v_mul_f32_e32 v7, v9, v13
	v_fma_f32 v7, s14, v7, v12
	s_cbranch_execnz .LBB42_13
.LBB42_12:                              ;   in Loop: Header=BB42_4 Depth=1
	s_delay_alu instid0(VALU_DEP_1) | instskip(NEXT) | instid1(VALU_DEP_1)
	v_fmac_f32_e32 v12, v9, v13
	v_mov_b32_e32 v7, v12
.LBB42_13:                              ;   in Loop: Header=BB42_4 Depth=1
	v_lshrrev_b32_e32 v6, 16, v6
	v_lshrrev_b32_e32 v8, 16, v8
	s_and_not1_b32 vcc_lo, exec_lo, s17
	s_delay_alu instid0(VALU_DEP_2) | instskip(NEXT) | instid1(VALU_DEP_2)
	v_cvt_f32_f16_e32 v6, v6
	v_cvt_f32_f16_e32 v8, v8
	s_cbranch_vccnz .LBB42_18
; %bb.14:                               ;   in Loop: Header=BB42_4 Depth=1
	s_delay_alu instid0(VALU_DEP_1) | instskip(NEXT) | instid1(VALU_DEP_1)
	v_mul_f32_e32 v12, v9, v8
	v_fma_f32 v12, s14, v12, v6
	s_cbranch_execnz .LBB42_3
	s_branch .LBB42_19
.LBB42_15:                              ;   in Loop: Header=BB42_4 Depth=1
                                        ; implicit-def: $vgpr11
	s_branch .LBB42_6
.LBB42_16:                              ;   in Loop: Header=BB42_4 Depth=1
                                        ; implicit-def: $vgpr5
	s_branch .LBB42_9
.LBB42_17:                              ;   in Loop: Header=BB42_4 Depth=1
                                        ; implicit-def: $vgpr7
	s_branch .LBB42_12
.LBB42_18:                              ;   in Loop: Header=BB42_4 Depth=1
                                        ; implicit-def: $vgpr12
.LBB42_19:                              ;   in Loop: Header=BB42_4 Depth=1
	s_delay_alu instid0(VALU_DEP_1) | instskip(NEXT) | instid1(VALU_DEP_1)
	v_fmac_f32_e32 v6, v9, v8
	v_mov_b32_e32 v12, v6
	s_branch .LBB42_3
.LBB42_20:
	s_or_b32 exec_lo, exec_lo, s16
	s_mov_b32 s2, 0
.LBB42_21:
	s_delay_alu instid0(SALU_CYCLE_1)
	s_and_not1_b32 vcc_lo, exec_lo, s2
	s_cbranch_vccnz .LBB42_57
; %bb.22:
	v_cmp_lt_i64_e64 s2, s[6:7], 1
	s_delay_alu instid0(VALU_DEP_1)
	s_and_b32 vcc_lo, exec_lo, s2
	s_cbranch_vccnz .LBB42_57
; %bb.23:
	s_load_b32 s0, s[0:1], 0xc5c
	v_dual_mov_b32 v1, 0 :: v_dual_lshlrev_b32 v2, 1, v0
	v_cmp_gt_u64_e64 s2, 0x10000, s[6:7]
	s_mov_b32 s3, 0
	s_delay_alu instid0(VALU_DEP_2) | instskip(NEXT) | instid1(VALU_DEP_3)
	v_mov_b32_e32 v3, v1
	v_add_co_u32 v8, s1, s12, v2
	s_delay_alu instid0(VALU_DEP_1) | instskip(SKIP_1) | instid1(VALU_DEP_1)
	v_add_co_ci_u32_e64 v10, null, s13, 0, s1
	v_add_co_u32 v11, s1, s10, v2
	v_add_co_ci_u32_e64 v12, null, s11, 0, s1
	s_waitcnt lgkmcnt(0)
	s_and_b32 s1, s0, 0xffff
	s_and_b32 s0, s2, exec_lo
	v_mad_u64_u32 v[4:5], null, s1, 6, v[2:3]
	s_cselect_b32 s9, s7, 0
	s_cselect_b32 s8, s6, 0x10000
	s_lshl_b32 s2, s1, 2
	s_lshl_b32 s15, s1, 1
	v_add_co_u32 v2, s0, s2, v2
	s_delay_alu instid0(VALU_DEP_2) | instskip(NEXT) | instid1(VALU_DEP_3)
	v_add_co_u32 v13, vcc_lo, s12, v4
	v_add_co_ci_u32_e32 v14, vcc_lo, s13, v5, vcc_lo
	v_add_co_u32 v15, vcc_lo, s10, v4
	v_add_lshl_u32 v4, v0, s1, 1
	v_add_co_ci_u32_e64 v3, null, 0, 0, s0
	v_add_co_ci_u32_e32 v16, vcc_lo, s11, v5, vcc_lo
	v_add_co_u32 v17, vcc_lo, s12, v2
	s_delay_alu instid0(VALU_DEP_4) | instskip(NEXT) | instid1(VALU_DEP_4)
	v_add_co_u32 v21, s0, s12, v4
	v_add_co_ci_u32_e32 v18, vcc_lo, s13, v3, vcc_lo
	v_add_co_u32 v19, vcc_lo, s10, v2
	v_add_co_ci_u32_e64 v22, null, s13, 0, s0
	v_add_co_u32 v23, s0, s10, v4
	v_add_co_ci_u32_e32 v20, vcc_lo, s11, v3, vcc_lo
	v_add_co_ci_u32_e64 v24, null, s11, 0, s0
	v_cmp_neq_f32_e64 s12, s14, 1.0
	s_mul_i32 s13, s1, 3
	s_lshl_b32 s16, s1, 3
	s_mov_b64 s[10:11], s[2:3]
	s_branch .LBB42_25
.LBB42_24:                              ;   in Loop: Header=BB42_25 Depth=1
	s_or_b32 exec_lo, exec_lo, s0
	v_add_co_u32 v8, vcc_lo, v8, s16
	v_add_co_ci_u32_e32 v10, vcc_lo, 0, v10, vcc_lo
	v_add_co_u32 v11, vcc_lo, v11, s16
	v_add_co_ci_u32_e32 v12, vcc_lo, 0, v12, vcc_lo
	v_add_co_u32 v0, vcc_lo, v0, s2
	v_add_co_ci_u32_e32 v1, vcc_lo, 0, v1, vcc_lo
	v_add_co_u32 v13, vcc_lo, v13, s16
	v_add_co_ci_u32_e32 v14, vcc_lo, 0, v14, vcc_lo
	v_add_co_u32 v15, vcc_lo, v15, s16
	v_add_co_ci_u32_e32 v16, vcc_lo, 0, v16, vcc_lo
	v_add_co_u32 v17, vcc_lo, v17, s16
	v_add_co_ci_u32_e32 v18, vcc_lo, 0, v18, vcc_lo
	v_add_co_u32 v19, vcc_lo, v19, s16
	v_add_co_ci_u32_e32 v20, vcc_lo, 0, v20, vcc_lo
	v_cmp_ge_i64_e64 s0, s[10:11], s[6:7]
	v_cmp_lt_u64_e64 s3, 0xffff, s[10:11]
	v_add_co_u32 v21, vcc_lo, v21, s16
	v_add_co_ci_u32_e32 v22, vcc_lo, 0, v22, vcc_lo
	v_add_co_u32 v23, vcc_lo, v23, s16
	v_add_co_ci_u32_e32 v24, vcc_lo, 0, v24, vcc_lo
	s_or_b32 s0, s0, s3
	s_add_u32 s10, s10, s2
	s_addc_u32 s11, s11, 0
	s_and_b32 vcc_lo, exec_lo, s0
	s_cbranch_vccnz .LBB42_57
.LBB42_25:                              ; =>This Inner Loop Header: Depth=1
	v_cmp_gt_i64_e32 vcc_lo, s[6:7], v[0:1]
	v_cmp_gt_u64_e64 s0, 0x10000, v[0:1]
	v_mov_b32_e32 v26, 0
	v_mov_b32_e32 v32, 0
	s_delay_alu instid0(VALU_DEP_3) | instskip(NEXT) | instid1(SALU_CYCLE_1)
	s_and_b32 s3, vcc_lo, s0
	s_and_saveexec_b32 s0, s3
	s_cbranch_execz .LBB42_27
; %bb.26:                               ;   in Loop: Header=BB42_25 Depth=1
	v_add_co_u32 v2, vcc_lo, v8, s4
	v_add_co_ci_u32_e32 v3, vcc_lo, s5, v10, vcc_lo
	v_add_co_u32 v4, vcc_lo, v11, s4
	v_add_co_ci_u32_e32 v5, vcc_lo, s5, v12, vcc_lo
	global_load_u16 v32, v[2:3], off
	global_load_u16 v26, v[4:5], off
.LBB42_27:                              ;   in Loop: Header=BB42_25 Depth=1
	s_or_b32 exec_lo, exec_lo, s0
	v_add_co_u32 v2, vcc_lo, s1, v0
	v_add_co_ci_u32_e32 v3, vcc_lo, 0, v1, vcc_lo
	v_dual_mov_b32 v25, 0 :: v_dual_mov_b32 v28, 0
	v_mov_b32_e32 v31, 0
	s_delay_alu instid0(VALU_DEP_3) | instskip(SKIP_1) | instid1(VALU_DEP_1)
	v_cmp_gt_i64_e32 vcc_lo, s[6:7], v[2:3]
	v_cmp_gt_u64_e64 s0, 0x10000, v[2:3]
	s_and_b32 s3, vcc_lo, s0
	s_delay_alu instid0(SALU_CYCLE_1)
	s_and_saveexec_b32 s0, s3
	s_cbranch_execz .LBB42_29
; %bb.28:                               ;   in Loop: Header=BB42_25 Depth=1
	v_add_co_u32 v4, vcc_lo, v21, s4
	v_add_co_ci_u32_e32 v5, vcc_lo, s5, v22, vcc_lo
	v_add_co_u32 v6, vcc_lo, v23, s4
	v_add_co_ci_u32_e32 v7, vcc_lo, s5, v24, vcc_lo
	global_load_u16 v31, v[4:5], off
	global_load_u16 v28, v[6:7], off
.LBB42_29:                              ;   in Loop: Header=BB42_25 Depth=1
	s_or_b32 exec_lo, exec_lo, s0
	v_add_co_u32 v4, vcc_lo, s15, v0
	v_add_co_ci_u32_e32 v5, vcc_lo, 0, v1, vcc_lo
	v_mov_b32_e32 v29, 0
	s_delay_alu instid0(VALU_DEP_2) | instskip(SKIP_1) | instid1(VALU_DEP_1)
	v_cmp_gt_i64_e32 vcc_lo, s[6:7], v[4:5]
	v_cmp_gt_u64_e64 s0, 0x10000, v[4:5]
	s_and_b32 s3, vcc_lo, s0
	s_delay_alu instid0(SALU_CYCLE_1)
	s_and_saveexec_b32 s0, s3
	s_cbranch_execz .LBB42_31
; %bb.30:                               ;   in Loop: Header=BB42_25 Depth=1
	v_add_co_u32 v6, vcc_lo, v17, s4
	v_add_co_ci_u32_e32 v7, vcc_lo, s5, v18, vcc_lo
	v_add_co_u32 v33, vcc_lo, v19, s4
	v_add_co_ci_u32_e32 v34, vcc_lo, s5, v20, vcc_lo
	global_load_u16 v29, v[6:7], off
	global_load_u16 v25, v[33:34], off
.LBB42_31:                              ;   in Loop: Header=BB42_25 Depth=1
	s_or_b32 exec_lo, exec_lo, s0
	v_add_co_u32 v6, vcc_lo, s13, v0
	v_add_co_ci_u32_e32 v7, vcc_lo, 0, v1, vcc_lo
	v_dual_mov_b32 v27, 0 :: v_dual_mov_b32 v30, 0
	s_delay_alu instid0(VALU_DEP_2) | instskip(SKIP_1) | instid1(VALU_DEP_1)
	v_cmp_gt_i64_e32 vcc_lo, s[6:7], v[6:7]
	v_cmp_gt_u64_e64 s0, 0x10000, v[6:7]
	s_and_b32 s3, vcc_lo, s0
	s_delay_alu instid0(SALU_CYCLE_1)
	s_and_saveexec_b32 s0, s3
	s_cbranch_execz .LBB42_33
; %bb.32:                               ;   in Loop: Header=BB42_25 Depth=1
	v_add_co_u32 v33, vcc_lo, v13, s4
	v_add_co_ci_u32_e32 v34, vcc_lo, s5, v14, vcc_lo
	v_add_co_u32 v35, vcc_lo, v15, s4
	v_add_co_ci_u32_e32 v36, vcc_lo, s5, v16, vcc_lo
	global_load_u16 v30, v[33:34], off
	global_load_u16 v27, v[35:36], off
.LBB42_33:                              ;   in Loop: Header=BB42_25 Depth=1
	s_or_b32 exec_lo, exec_lo, s0
	s_waitcnt vmcnt(1)
	v_cvt_f32_f16_e32 v32, v32
	s_waitcnt vmcnt(0)
	v_cvt_f32_f16_e32 v33, v26
	s_and_b32 vcc_lo, exec_lo, s12
	s_cbranch_vccz .LBB42_53
; %bb.34:                               ;   in Loop: Header=BB42_25 Depth=1
	s_delay_alu instid0(VALU_DEP_1) | instskip(NEXT) | instid1(VALU_DEP_1)
	v_mul_f32_e32 v26, v9, v33
	v_fma_f32 v26, s14, v26, v32
	s_cbranch_execnz .LBB42_36
.LBB42_35:                              ;   in Loop: Header=BB42_25 Depth=1
	s_delay_alu instid0(VALU_DEP_1) | instskip(NEXT) | instid1(VALU_DEP_1)
	v_fmac_f32_e32 v32, v9, v33
	v_mov_b32_e32 v26, v32
.LBB42_36:                              ;   in Loop: Header=BB42_25 Depth=1
	v_cvt_f32_f16_e32 v31, v31
	v_cvt_f32_f16_e32 v32, v28
	s_and_not1_b32 vcc_lo, exec_lo, s12
	s_cbranch_vccnz .LBB42_54
; %bb.37:                               ;   in Loop: Header=BB42_25 Depth=1
	s_delay_alu instid0(VALU_DEP_1) | instskip(NEXT) | instid1(VALU_DEP_1)
	v_mul_f32_e32 v28, v9, v32
	v_fma_f32 v28, s14, v28, v31
	s_cbranch_execnz .LBB42_39
.LBB42_38:                              ;   in Loop: Header=BB42_25 Depth=1
	s_delay_alu instid0(VALU_DEP_1) | instskip(NEXT) | instid1(VALU_DEP_1)
	v_fmac_f32_e32 v31, v9, v32
	v_mov_b32_e32 v28, v31
.LBB42_39:                              ;   in Loop: Header=BB42_25 Depth=1
	v_cvt_f32_f16_e32 v29, v29
	v_cvt_f32_f16_e32 v31, v25
	s_and_not1_b32 vcc_lo, exec_lo, s12
	s_cbranch_vccnz .LBB42_55
; %bb.40:                               ;   in Loop: Header=BB42_25 Depth=1
	s_delay_alu instid0(VALU_DEP_1) | instskip(NEXT) | instid1(VALU_DEP_1)
	v_mul_f32_e32 v25, v9, v31
	v_fma_f32 v25, s14, v25, v29
	s_cbranch_execnz .LBB42_42
.LBB42_41:                              ;   in Loop: Header=BB42_25 Depth=1
	s_delay_alu instid0(VALU_DEP_1) | instskip(NEXT) | instid1(VALU_DEP_1)
	v_fmac_f32_e32 v29, v9, v31
	v_mov_b32_e32 v25, v29
.LBB42_42:                              ;   in Loop: Header=BB42_25 Depth=1
	v_cvt_f32_f16_e32 v29, v30
	v_cvt_f32_f16_e32 v30, v27
	s_and_not1_b32 vcc_lo, exec_lo, s12
	s_cbranch_vccnz .LBB42_56
; %bb.43:                               ;   in Loop: Header=BB42_25 Depth=1
	s_delay_alu instid0(VALU_DEP_1) | instskip(NEXT) | instid1(VALU_DEP_1)
	v_mul_f32_e32 v27, v9, v30
	v_fma_f32 v27, s14, v27, v29
	s_cbranch_execnz .LBB42_45
.LBB42_44:                              ;   in Loop: Header=BB42_25 Depth=1
	s_delay_alu instid0(VALU_DEP_1) | instskip(NEXT) | instid1(VALU_DEP_1)
	v_fmac_f32_e32 v29, v9, v30
	v_mov_b32_e32 v27, v29
.LBB42_45:                              ;   in Loop: Header=BB42_25 Depth=1
	s_mov_b32 s0, exec_lo
	v_cmpx_gt_u64_e64 s[8:9], v[0:1]
	s_xor_b32 s0, exec_lo, s0
	s_cbranch_execz .LBB42_47
; %bb.46:                               ;   in Loop: Header=BB42_25 Depth=1
	v_add_co_u32 v29, vcc_lo, v8, s4
	v_cvt_f16_f32_e32 v26, v26
	v_add_co_ci_u32_e32 v30, vcc_lo, s5, v10, vcc_lo
	global_store_b16 v[29:30], v26, off
.LBB42_47:                              ;   in Loop: Header=BB42_25 Depth=1
	s_or_b32 exec_lo, exec_lo, s0
	s_delay_alu instid0(SALU_CYCLE_1)
	s_mov_b32 s0, exec_lo
	v_cmpx_gt_u64_e64 s[8:9], v[2:3]
	s_cbranch_execnz .LBB42_50
; %bb.48:                               ;   in Loop: Header=BB42_25 Depth=1
	s_or_b32 exec_lo, exec_lo, s0
	s_delay_alu instid0(SALU_CYCLE_1)
	s_mov_b32 s0, exec_lo
	v_cmpx_gt_u64_e64 s[8:9], v[4:5]
	s_cbranch_execnz .LBB42_51
.LBB42_49:                              ;   in Loop: Header=BB42_25 Depth=1
	s_or_b32 exec_lo, exec_lo, s0
	s_delay_alu instid0(SALU_CYCLE_1)
	s_mov_b32 s0, exec_lo
	v_cmpx_gt_u64_e64 s[8:9], v[6:7]
	s_cbranch_execz .LBB42_24
	s_branch .LBB42_52
.LBB42_50:                              ;   in Loop: Header=BB42_25 Depth=1
	v_add_co_u32 v2, vcc_lo, v21, s4
	v_cvt_f16_f32_e32 v26, v28
	v_add_co_ci_u32_e32 v3, vcc_lo, s5, v22, vcc_lo
	global_store_b16 v[2:3], v26, off
	s_or_b32 exec_lo, exec_lo, s0
	s_delay_alu instid0(SALU_CYCLE_1)
	s_mov_b32 s0, exec_lo
	v_cmpx_gt_u64_e64 s[8:9], v[4:5]
	s_cbranch_execz .LBB42_49
.LBB42_51:                              ;   in Loop: Header=BB42_25 Depth=1
	v_add_co_u32 v2, vcc_lo, v17, s4
	v_cvt_f16_f32_e32 v4, v25
	v_add_co_ci_u32_e32 v3, vcc_lo, s5, v18, vcc_lo
	global_store_b16 v[2:3], v4, off
	s_or_b32 exec_lo, exec_lo, s0
	s_delay_alu instid0(SALU_CYCLE_1)
	s_mov_b32 s0, exec_lo
	v_cmpx_gt_u64_e64 s[8:9], v[6:7]
	s_cbranch_execz .LBB42_24
.LBB42_52:                              ;   in Loop: Header=BB42_25 Depth=1
	v_add_co_u32 v2, vcc_lo, v13, s4
	v_cvt_f16_f32_e32 v4, v27
	v_add_co_ci_u32_e32 v3, vcc_lo, s5, v14, vcc_lo
	global_store_b16 v[2:3], v4, off
	s_branch .LBB42_24
.LBB42_53:                              ;   in Loop: Header=BB42_25 Depth=1
                                        ; implicit-def: $vgpr26
	s_branch .LBB42_35
.LBB42_54:                              ;   in Loop: Header=BB42_25 Depth=1
                                        ; implicit-def: $vgpr28
	s_branch .LBB42_38
.LBB42_55:                              ;   in Loop: Header=BB42_25 Depth=1
                                        ; implicit-def: $vgpr25
	s_branch .LBB42_41
.LBB42_56:                              ;   in Loop: Header=BB42_25 Depth=1
                                        ; implicit-def: $vgpr27
	s_branch .LBB42_44
.LBB42_57:
	s_nop 0
	s_sendmsg sendmsg(MSG_DEALLOC_VGPRS)
	s_endpgm
	.section	.rodata,"a",@progbits
	.p2align	6, 0x0
	.amdhsa_kernel _ZN2at6native12_GLOBAL__N_125multi_tensor_apply_kernelINS1_18TensorListMetadataILi3EEENS1_32PointwiseOpScalar0dTensorFunctorIN3c104HalfELi3ELi2ELi0EEEJSt10multipliesIfEfEEEvT_T0_DpT1_
		.amdhsa_group_segment_fixed_size 0
		.amdhsa_private_segment_fixed_size 0
		.amdhsa_kernarg_size 3408
		.amdhsa_user_sgpr_count 15
		.amdhsa_user_sgpr_dispatch_ptr 0
		.amdhsa_user_sgpr_queue_ptr 0
		.amdhsa_user_sgpr_kernarg_segment_ptr 1
		.amdhsa_user_sgpr_dispatch_id 0
		.amdhsa_user_sgpr_private_segment_size 0
		.amdhsa_wavefront_size32 1
		.amdhsa_uses_dynamic_stack 0
		.amdhsa_enable_private_segment 0
		.amdhsa_system_sgpr_workgroup_id_x 1
		.amdhsa_system_sgpr_workgroup_id_y 0
		.amdhsa_system_sgpr_workgroup_id_z 0
		.amdhsa_system_sgpr_workgroup_info 0
		.amdhsa_system_vgpr_workitem_id 0
		.amdhsa_next_free_vgpr 37
		.amdhsa_next_free_sgpr 21
		.amdhsa_reserve_vcc 1
		.amdhsa_float_round_mode_32 0
		.amdhsa_float_round_mode_16_64 0
		.amdhsa_float_denorm_mode_32 3
		.amdhsa_float_denorm_mode_16_64 3
		.amdhsa_dx10_clamp 1
		.amdhsa_ieee_mode 1
		.amdhsa_fp16_overflow 0
		.amdhsa_workgroup_processor_mode 1
		.amdhsa_memory_ordered 1
		.amdhsa_forward_progress 0
		.amdhsa_shared_vgpr_count 0
		.amdhsa_exception_fp_ieee_invalid_op 0
		.amdhsa_exception_fp_denorm_src 0
		.amdhsa_exception_fp_ieee_div_zero 0
		.amdhsa_exception_fp_ieee_overflow 0
		.amdhsa_exception_fp_ieee_underflow 0
		.amdhsa_exception_fp_ieee_inexact 0
		.amdhsa_exception_int_div_zero 0
	.end_amdhsa_kernel
	.section	.text._ZN2at6native12_GLOBAL__N_125multi_tensor_apply_kernelINS1_18TensorListMetadataILi3EEENS1_32PointwiseOpScalar0dTensorFunctorIN3c104HalfELi3ELi2ELi0EEEJSt10multipliesIfEfEEEvT_T0_DpT1_,"axG",@progbits,_ZN2at6native12_GLOBAL__N_125multi_tensor_apply_kernelINS1_18TensorListMetadataILi3EEENS1_32PointwiseOpScalar0dTensorFunctorIN3c104HalfELi3ELi2ELi0EEEJSt10multipliesIfEfEEEvT_T0_DpT1_,comdat
.Lfunc_end42:
	.size	_ZN2at6native12_GLOBAL__N_125multi_tensor_apply_kernelINS1_18TensorListMetadataILi3EEENS1_32PointwiseOpScalar0dTensorFunctorIN3c104HalfELi3ELi2ELi0EEEJSt10multipliesIfEfEEEvT_T0_DpT1_, .Lfunc_end42-_ZN2at6native12_GLOBAL__N_125multi_tensor_apply_kernelINS1_18TensorListMetadataILi3EEENS1_32PointwiseOpScalar0dTensorFunctorIN3c104HalfELi3ELi2ELi0EEEJSt10multipliesIfEfEEEvT_T0_DpT1_
                                        ; -- End function
	.section	.AMDGPU.csdata,"",@progbits
; Kernel info:
; codeLenInByte = 2052
; NumSgprs: 23
; NumVgprs: 37
; ScratchSize: 0
; MemoryBound: 0
; FloatMode: 240
; IeeeMode: 1
; LDSByteSize: 0 bytes/workgroup (compile time only)
; SGPRBlocks: 2
; VGPRBlocks: 4
; NumSGPRsForWavesPerEU: 23
; NumVGPRsForWavesPerEU: 37
; Occupancy: 16
; WaveLimiterHint : 0
; COMPUTE_PGM_RSRC2:SCRATCH_EN: 0
; COMPUTE_PGM_RSRC2:USER_SGPR: 15
; COMPUTE_PGM_RSRC2:TRAP_HANDLER: 0
; COMPUTE_PGM_RSRC2:TGID_X_EN: 1
; COMPUTE_PGM_RSRC2:TGID_Y_EN: 0
; COMPUTE_PGM_RSRC2:TGID_Z_EN: 0
; COMPUTE_PGM_RSRC2:TIDIG_COMP_CNT: 0
	.section	.text._ZN2at6native12_GLOBAL__N_125multi_tensor_apply_kernelINS1_18TensorListMetadataILi3EEENS1_32PointwiseOpScalar0dTensorFunctorIN3c108BFloat16ELi3ELi2ELi0EEEJSt10multipliesIfEfEEEvT_T0_DpT1_,"axG",@progbits,_ZN2at6native12_GLOBAL__N_125multi_tensor_apply_kernelINS1_18TensorListMetadataILi3EEENS1_32PointwiseOpScalar0dTensorFunctorIN3c108BFloat16ELi3ELi2ELi0EEEJSt10multipliesIfEfEEEvT_T0_DpT1_,comdat
	.globl	_ZN2at6native12_GLOBAL__N_125multi_tensor_apply_kernelINS1_18TensorListMetadataILi3EEENS1_32PointwiseOpScalar0dTensorFunctorIN3c108BFloat16ELi3ELi2ELi0EEEJSt10multipliesIfEfEEEvT_T0_DpT1_ ; -- Begin function _ZN2at6native12_GLOBAL__N_125multi_tensor_apply_kernelINS1_18TensorListMetadataILi3EEENS1_32PointwiseOpScalar0dTensorFunctorIN3c108BFloat16ELi3ELi2ELi0EEEJSt10multipliesIfEfEEEvT_T0_DpT1_
	.p2align	8
	.type	_ZN2at6native12_GLOBAL__N_125multi_tensor_apply_kernelINS1_18TensorListMetadataILi3EEENS1_32PointwiseOpScalar0dTensorFunctorIN3c108BFloat16ELi3ELi2ELi0EEEJSt10multipliesIfEfEEEvT_T0_DpT1_,@function
_ZN2at6native12_GLOBAL__N_125multi_tensor_apply_kernelINS1_18TensorListMetadataILi3EEENS1_32PointwiseOpScalar0dTensorFunctorIN3c108BFloat16ELi3ELi2ELi0EEEJSt10multipliesIfEfEEEvT_T0_DpT1_: ; @_ZN2at6native12_GLOBAL__N_125multi_tensor_apply_kernelINS1_18TensorListMetadataILi3EEENS1_32PointwiseOpScalar0dTensorFunctorIN3c108BFloat16ELi3ELi2ELi0EEEJSt10multipliesIfEfEEEvT_T0_DpT1_
; %bb.0:
	v_dual_mov_b32 v1, s15 :: v_dual_mov_b32 v2, 0
	s_add_u32 s2, s0, s15
	s_mul_i32 s4, s15, 3
	s_addc_u32 s3, s1, 0
	global_load_u8 v1, v1, s[0:1] offset:1536
	s_load_b32 s14, s[0:1], 0xc4c
	s_mul_hi_u32 s5, s15, 3
	s_add_u32 s2, s2, s4
	s_addc_u32 s3, s3, s5
	s_mov_b32 s17, 0
	s_load_b32 s2, s[2:3], 0x740
	s_waitcnt vmcnt(0)
	v_readfirstlane_b32 s3, v1
	s_delay_alu instid0(VALU_DEP_1)
	s_lshl_b32 s3, s3, 3
	s_clause 0x1
	s_load_b64 s[6:7], s[0:1], s3 offset:0x180
	s_load_b64 s[10:11], s[0:1], s3 offset:0x300
	s_waitcnt lgkmcnt(0)
	global_load_u16 v1, v2, s[6:7]
	s_clause 0x1
	s_load_b64 s[12:13], s[0:1], s3 offset:0x0
	s_load_b64 s[8:9], s[0:1], s3 offset:0x480
	s_ashr_i32 s3, s2, 31
	s_delay_alu instid0(SALU_CYCLE_1) | instskip(NEXT) | instid1(SALU_CYCLE_1)
	s_lshl_b64 s[4:5], s[2:3], 17
	s_add_u32 s6, s6, s4
	s_delay_alu instid0(SALU_CYCLE_1) | instskip(NEXT) | instid1(SALU_CYCLE_1)
	s_or_b32 s6, s10, s6
	s_and_b32 s6, s6, 7
	s_waitcnt lgkmcnt(0)
	s_and_b32 s16, s12, 7
	s_cmp_lg_u32 s6, 0
	s_cselect_b32 s15, -1, 0
	s_lshl_b64 s[2:3], s[2:3], 16
	s_delay_alu instid0(SALU_CYCLE_1) | instskip(SKIP_3) | instid1(SALU_CYCLE_1)
	s_sub_u32 s6, s8, s2
	s_subb_u32 s7, s9, s3
	s_and_b32 s2, s8, 3
	s_mov_b32 s3, s17
	s_or_b64 s[2:3], s[16:17], s[2:3]
	s_delay_alu instid0(SALU_CYCLE_1) | instskip(SKIP_1) | instid1(SALU_CYCLE_1)
	s_cmp_lg_u64 s[2:3], 0
	s_cselect_b32 s2, -1, 0
	s_or_b32 s2, s15, s2
	s_delay_alu instid0(SALU_CYCLE_1)
	s_and_not1_b32 vcc_lo, exec_lo, s2
	s_mov_b32 s2, -1
	s_waitcnt vmcnt(0)
	v_lshlrev_b32_e32 v12, 16, v1
	s_cbranch_vccz .LBB43_21
; %bb.1:
	v_lshlrev_b32_e32 v1, 2, v0
	s_mov_b32 s8, exec_lo
	s_delay_alu instid0(VALU_DEP_1)
	v_cmpx_gt_i64_e64 s[6:7], v[1:2]
	s_cbranch_execz .LBB43_20
; %bb.2:
	s_load_b32 s2, s[0:1], 0xc5c
	v_dual_mov_b32 v2, 0 :: v_dual_lshlrev_b32 v1, 3, v0
	v_cmp_neq_f32_e64 s9, s14, 1.0
	s_mov_b32 s15, 0
	s_delay_alu instid0(VALU_DEP_2) | instskip(NEXT) | instid1(VALU_DEP_1)
	v_add_co_u32 v9, s3, s4, v1
	v_add_co_ci_u32_e64 v10, null, s5, 0, s3
	s_waitcnt lgkmcnt(0)
	s_and_b32 s2, s2, 0xffff
	s_delay_alu instid0(SALU_CYCLE_1)
	v_add_lshl_u32 v1, v0, s2, 2
	s_lshl_b32 s16, s2, 3
	s_lshl_b32 s17, s2, 2
	s_branch .LBB43_4
.LBB43_3:                               ;   in Loop: Header=BB43_4 Depth=1
	v_bfe_u32 v7, v11, 16, 1
	v_bfe_u32 v8, v13, 16, 1
	;; [unrolled: 1-line block ×3, first 2 shown]
	v_cmp_o_f32_e32 vcc_lo, v11, v11
	v_bfe_u32 v15, v6, 16, 1
	v_add3_u32 v7, v11, v7, 0x7fff
	v_add3_u32 v8, v13, v8, 0x7fff
	;; [unrolled: 1-line block ×3, first 2 shown]
	v_cmp_lt_u64_e64 s2, 0xffff, v[1:2]
	v_add3_u32 v15, v6, v15, 0x7fff
	v_lshrrev_b32_e32 v7, 16, v7
	v_and_b32_e32 v8, 0xffff0000, v8
	v_lshrrev_b32_e32 v14, 16, v14
	v_cmp_o_f32_e64 s3, v6, v6
	v_and_b32_e32 v15, 0xffff0000, v15
	v_cndmask_b32_e32 v7, 0x7fc0, v7, vcc_lo
	v_cmp_o_f32_e32 vcc_lo, v13, v13
	s_delay_alu instid0(VALU_DEP_3) | instskip(SKIP_2) | instid1(VALU_DEP_2)
	v_cndmask_b32_e64 v6, 0x7fc00000, v15, s3
	v_cndmask_b32_e32 v8, 0x7fc00000, v8, vcc_lo
	v_cmp_o_f32_e32 vcc_lo, v5, v5
	v_or_b32_e32 v7, v8, v7
	v_cndmask_b32_e32 v5, 0x7fc0, v14, vcc_lo
	v_cmp_le_i64_e32 vcc_lo, s[6:7], v[1:2]
	s_delay_alu instid0(VALU_DEP_2) | instskip(NEXT) | instid1(VALU_DEP_4)
	v_or3_b32 v6, 0, v5, v6
	v_or3_b32 v5, v7, 0, 0
	s_or_b32 s2, vcc_lo, s2
	v_add_co_u32 v9, vcc_lo, v9, s16
	v_add_co_ci_u32_e32 v10, vcc_lo, 0, v10, vcc_lo
	v_add_co_u32 v1, vcc_lo, v1, s17
	v_add_co_ci_u32_e32 v2, vcc_lo, 0, v2, vcc_lo
	s_and_b32 s2, exec_lo, s2
	global_store_b64 v[3:4], v[5:6], off
	s_or_b32 s15, s2, s15
	s_delay_alu instid0(SALU_CYCLE_1)
	s_and_not1_b32 exec_lo, exec_lo, s15
	s_cbranch_execz .LBB43_20
.LBB43_4:                               ; =>This Inner Loop Header: Depth=1
	v_add_co_u32 v3, vcc_lo, s12, v9
	v_add_co_ci_u32_e32 v4, vcc_lo, s13, v10, vcc_lo
	v_add_co_u32 v7, vcc_lo, s10, v9
	v_add_co_ci_u32_e32 v8, vcc_lo, s11, v10, vcc_lo
	s_and_b32 vcc_lo, exec_lo, s9
	global_load_b64 v[5:6], v[3:4], off
	global_load_b64 v[7:8], v[7:8], off
	s_waitcnt vmcnt(1)
	v_lshlrev_b32_e32 v13, 16, v5
	s_waitcnt vmcnt(0)
	v_lshlrev_b32_e32 v14, 16, v7
	s_cbranch_vccz .LBB43_15
; %bb.5:                                ;   in Loop: Header=BB43_4 Depth=1
	s_delay_alu instid0(VALU_DEP_1) | instskip(NEXT) | instid1(VALU_DEP_1)
	v_mul_f32_e32 v11, v12, v14
	v_fma_f32 v11, s14, v11, v13
	s_cbranch_execnz .LBB43_7
.LBB43_6:                               ;   in Loop: Header=BB43_4 Depth=1
	s_delay_alu instid0(VALU_DEP_1) | instskip(NEXT) | instid1(VALU_DEP_1)
	v_fmac_f32_e32 v13, v12, v14
	v_mov_b32_e32 v11, v13
.LBB43_7:                               ;   in Loop: Header=BB43_4 Depth=1
	v_and_b32_e32 v14, 0xffff0000, v5
	v_and_b32_e32 v15, 0xffff0000, v7
	s_and_not1_b32 vcc_lo, exec_lo, s9
	s_cbranch_vccnz .LBB43_16
; %bb.8:                                ;   in Loop: Header=BB43_4 Depth=1
	s_delay_alu instid0(VALU_DEP_1) | instskip(NEXT) | instid1(VALU_DEP_1)
	v_mul_f32_e32 v13, v12, v15
	v_fma_f32 v13, s14, v13, v14
	s_cbranch_execnz .LBB43_10
.LBB43_9:                               ;   in Loop: Header=BB43_4 Depth=1
	s_delay_alu instid0(VALU_DEP_1) | instskip(NEXT) | instid1(VALU_DEP_1)
	v_fmac_f32_e32 v14, v12, v15
	v_mov_b32_e32 v13, v14
.LBB43_10:                              ;   in Loop: Header=BB43_4 Depth=1
	v_alignbit_b32 v5, v6, v5, 16
	v_alignbit_b32 v14, v8, v7, 16
	s_and_not1_b32 vcc_lo, exec_lo, s9
	s_delay_alu instid0(VALU_DEP_2) | instskip(NEXT) | instid1(VALU_DEP_2)
	v_and_b32_e32 v7, 0xffff0000, v5
	v_and_b32_e32 v14, 0xffff0000, v14
	s_cbranch_vccnz .LBB43_17
; %bb.11:                               ;   in Loop: Header=BB43_4 Depth=1
	s_delay_alu instid0(VALU_DEP_1) | instskip(NEXT) | instid1(VALU_DEP_1)
	v_mul_f32_e32 v5, v12, v14
	v_fma_f32 v5, s14, v5, v7
	s_cbranch_execnz .LBB43_13
.LBB43_12:                              ;   in Loop: Header=BB43_4 Depth=1
	s_delay_alu instid0(VALU_DEP_1) | instskip(NEXT) | instid1(VALU_DEP_1)
	v_fmac_f32_e32 v7, v12, v14
	v_mov_b32_e32 v5, v7
.LBB43_13:                              ;   in Loop: Header=BB43_4 Depth=1
	v_and_b32_e32 v7, 0xffff0000, v6
	v_and_b32_e32 v8, 0xffff0000, v8
	s_and_not1_b32 vcc_lo, exec_lo, s9
	s_cbranch_vccnz .LBB43_18
; %bb.14:                               ;   in Loop: Header=BB43_4 Depth=1
	s_delay_alu instid0(VALU_DEP_1) | instskip(NEXT) | instid1(VALU_DEP_1)
	v_mul_f32_e32 v6, v12, v8
	v_fma_f32 v6, s14, v6, v7
	s_cbranch_execnz .LBB43_3
	s_branch .LBB43_19
.LBB43_15:                              ;   in Loop: Header=BB43_4 Depth=1
                                        ; implicit-def: $vgpr11
	s_branch .LBB43_6
.LBB43_16:                              ;   in Loop: Header=BB43_4 Depth=1
                                        ; implicit-def: $vgpr13
	s_branch .LBB43_9
.LBB43_17:                              ;   in Loop: Header=BB43_4 Depth=1
                                        ; implicit-def: $vgpr5
	s_branch .LBB43_12
.LBB43_18:                              ;   in Loop: Header=BB43_4 Depth=1
                                        ; implicit-def: $vgpr6
.LBB43_19:                              ;   in Loop: Header=BB43_4 Depth=1
	s_delay_alu instid0(VALU_DEP_1) | instskip(NEXT) | instid1(VALU_DEP_1)
	v_fmac_f32_e32 v7, v12, v8
	v_mov_b32_e32 v6, v7
	s_branch .LBB43_3
.LBB43_20:
	s_or_b32 exec_lo, exec_lo, s8
	s_mov_b32 s2, 0
.LBB43_21:
	s_delay_alu instid0(SALU_CYCLE_1)
	s_and_not1_b32 vcc_lo, exec_lo, s2
	s_cbranch_vccnz .LBB43_57
; %bb.22:
	v_cmp_lt_i64_e64 s2, s[6:7], 1
	s_delay_alu instid0(VALU_DEP_1)
	s_and_b32 vcc_lo, exec_lo, s2
	s_cbranch_vccnz .LBB43_57
; %bb.23:
	s_load_b32 s0, s[0:1], 0xc5c
	v_dual_mov_b32 v1, 0 :: v_dual_lshlrev_b32 v2, 1, v0
	v_cmp_gt_u64_e64 s2, 0x10000, s[6:7]
	v_cmp_neq_f32_e64 s1, s14, 1.0
	s_mov_b32 s3, 0
	s_delay_alu instid0(VALU_DEP_3) | instskip(SKIP_1) | instid1(VALU_DEP_1)
	v_mov_b32_e32 v3, v1
	v_add_co_u32 v13, s8, s12, v2
	v_add_co_ci_u32_e64 v14, null, s13, 0, s8
	v_add_co_u32 v15, s8, s10, v2
	s_delay_alu instid0(VALU_DEP_1)
	v_add_co_ci_u32_e64 v16, null, s11, 0, s8
	s_waitcnt lgkmcnt(0)
	s_and_b32 s15, s0, 0xffff
	s_and_b32 s0, s2, exec_lo
	v_mad_u64_u32 v[4:5], null, s15, 6, v[2:3]
	s_cselect_b32 s9, s7, 0
	s_cselect_b32 s8, s6, 0x10000
	s_lshl_b32 s2, s15, 2
	s_lshl_b32 s16, s15, 1
	v_add_co_u32 v2, s0, s2, v2
	s_delay_alu instid0(VALU_DEP_2) | instskip(NEXT) | instid1(VALU_DEP_3)
	v_add_co_u32 v17, vcc_lo, s12, v4
	v_add_co_ci_u32_e32 v18, vcc_lo, s13, v5, vcc_lo
	v_add_co_u32 v19, vcc_lo, s10, v4
	v_add_lshl_u32 v4, v0, s15, 1
	v_add_co_ci_u32_e64 v3, null, 0, 0, s0
	v_add_co_ci_u32_e32 v20, vcc_lo, s11, v5, vcc_lo
	v_add_co_u32 v21, vcc_lo, s12, v2
	s_delay_alu instid0(VALU_DEP_4) | instskip(NEXT) | instid1(VALU_DEP_4)
	v_add_co_u32 v25, s0, s12, v4
	v_add_co_ci_u32_e32 v22, vcc_lo, s13, v3, vcc_lo
	v_add_co_u32 v23, vcc_lo, s10, v2
	v_add_co_ci_u32_e64 v26, null, s13, 0, s0
	v_add_co_u32 v27, s0, s10, v4
	v_add_co_ci_u32_e32 v24, vcc_lo, s11, v3, vcc_lo
	v_add_co_ci_u32_e64 v28, null, s11, 0, s0
	s_mul_i32 s12, s15, 3
	s_lshl_b32 s13, s15, 3
	s_mov_b64 s[10:11], s[2:3]
	s_branch .LBB43_25
.LBB43_24:                              ;   in Loop: Header=BB43_25 Depth=1
	s_or_b32 exec_lo, exec_lo, s0
	v_add_co_u32 v13, vcc_lo, v13, s13
	v_add_co_ci_u32_e32 v14, vcc_lo, 0, v14, vcc_lo
	v_add_co_u32 v15, vcc_lo, v15, s13
	v_add_co_ci_u32_e32 v16, vcc_lo, 0, v16, vcc_lo
	v_add_co_u32 v0, vcc_lo, v0, s2
	v_add_co_ci_u32_e32 v1, vcc_lo, 0, v1, vcc_lo
	v_add_co_u32 v17, vcc_lo, v17, s13
	v_add_co_ci_u32_e32 v18, vcc_lo, 0, v18, vcc_lo
	v_add_co_u32 v19, vcc_lo, v19, s13
	v_add_co_ci_u32_e32 v20, vcc_lo, 0, v20, vcc_lo
	v_add_co_u32 v21, vcc_lo, v21, s13
	v_add_co_ci_u32_e32 v22, vcc_lo, 0, v22, vcc_lo
	v_add_co_u32 v23, vcc_lo, v23, s13
	v_add_co_ci_u32_e32 v24, vcc_lo, 0, v24, vcc_lo
	v_cmp_ge_i64_e64 s0, s[10:11], s[6:7]
	v_cmp_lt_u64_e64 s17, 0xffff, s[10:11]
	v_add_co_u32 v25, vcc_lo, v25, s13
	v_add_co_ci_u32_e32 v26, vcc_lo, 0, v26, vcc_lo
	v_add_co_u32 v27, vcc_lo, v27, s13
	v_add_co_ci_u32_e32 v28, vcc_lo, 0, v28, vcc_lo
	s_or_b32 s0, s0, s17
	s_add_u32 s10, s10, s2
	s_addc_u32 s11, s11, 0
	s_and_b32 vcc_lo, exec_lo, s0
	s_cbranch_vccnz .LBB43_57
.LBB43_25:                              ; =>This Inner Loop Header: Depth=1
	v_mov_b32_e32 v6, 0
	v_mov_b32_e32 v7, 0
	v_cmp_gt_i64_e32 vcc_lo, s[6:7], v[0:1]
	v_cmp_gt_u64_e64 s0, 0x10000, v[0:1]
	s_delay_alu instid0(VALU_DEP_3) | instskip(NEXT) | instid1(VALU_DEP_2)
	v_dual_mov_b32 v9, v7 :: v_dual_mov_b32 v8, v6
	s_and_b32 s17, vcc_lo, s0
	s_delay_alu instid0(SALU_CYCLE_1)
	s_and_saveexec_b32 s0, s17
	s_cbranch_execz .LBB43_27
; %bb.26:                               ;   in Loop: Header=BB43_25 Depth=1
	v_add_co_u32 v2, vcc_lo, v13, s4
	v_add_co_ci_u32_e32 v3, vcc_lo, s5, v14, vcc_lo
	v_add_co_u32 v4, vcc_lo, v15, s4
	v_add_co_ci_u32_e32 v5, vcc_lo, s5, v16, vcc_lo
	global_load_u16 v2, v[2:3], off
	global_load_u16 v3, v[4:5], off
	v_mov_b32_e32 v9, s3
	s_waitcnt vmcnt(1)
	v_dual_mov_b32 v7, s3 :: v_dual_and_b32 v8, 0xffff, v2
	s_waitcnt vmcnt(0)
	v_and_b32_e32 v6, 0xffff, v3
.LBB43_27:                              ;   in Loop: Header=BB43_25 Depth=1
	s_or_b32 exec_lo, exec_lo, s0
	v_add_co_u32 v2, vcc_lo, s15, v0
	v_add_co_ci_u32_e32 v3, vcc_lo, 0, v1, vcc_lo
	s_delay_alu instid0(VALU_DEP_1) | instskip(SKIP_1) | instid1(VALU_DEP_1)
	v_cmp_gt_i64_e32 vcc_lo, s[6:7], v[2:3]
	v_cmp_gt_u64_e64 s0, 0x10000, v[2:3]
	s_and_b32 s17, vcc_lo, s0
	s_delay_alu instid0(SALU_CYCLE_1)
	s_and_saveexec_b32 s0, s17
	s_cbranch_execz .LBB43_29
; %bb.28:                               ;   in Loop: Header=BB43_25 Depth=1
	v_add_co_u32 v4, vcc_lo, v25, s4
	v_add_co_ci_u32_e32 v5, vcc_lo, s5, v26, vcc_lo
	v_add_co_u32 v10, vcc_lo, v27, s4
	v_add_co_ci_u32_e32 v11, vcc_lo, s5, v28, vcc_lo
	global_load_u16 v4, v[4:5], off
	global_load_u16 v5, v[10:11], off
	s_waitcnt vmcnt(1)
	v_lshl_or_b32 v8, v4, 16, v8
	s_waitcnt vmcnt(0)
	v_lshl_or_b32 v6, v5, 16, v6
.LBB43_29:                              ;   in Loop: Header=BB43_25 Depth=1
	s_or_b32 exec_lo, exec_lo, s0
	v_add_co_u32 v4, vcc_lo, s16, v0
	v_add_co_ci_u32_e32 v5, vcc_lo, 0, v1, vcc_lo
	s_delay_alu instid0(VALU_DEP_1) | instskip(SKIP_1) | instid1(VALU_DEP_1)
	v_cmp_gt_i64_e32 vcc_lo, s[6:7], v[4:5]
	v_cmp_gt_u64_e64 s0, 0x10000, v[4:5]
	s_and_b32 s17, vcc_lo, s0
	s_delay_alu instid0(SALU_CYCLE_1)
	s_and_saveexec_b32 s0, s17
	s_cbranch_execz .LBB43_31
; %bb.30:                               ;   in Loop: Header=BB43_25 Depth=1
	v_add_co_u32 v10, vcc_lo, v21, s4
	v_add_co_ci_u32_e32 v11, vcc_lo, s5, v22, vcc_lo
	v_add_co_u32 v29, vcc_lo, v23, s4
	v_add_co_ci_u32_e32 v30, vcc_lo, s5, v24, vcc_lo
	global_load_u16 v10, v[10:11], off
	global_load_u16 v11, v[29:30], off
	s_waitcnt vmcnt(1)
	v_or_b32_e32 v9, v10, v9
	s_waitcnt vmcnt(0)
	v_or_b32_e32 v7, v11, v7
.LBB43_31:                              ;   in Loop: Header=BB43_25 Depth=1
	s_or_b32 exec_lo, exec_lo, s0
	v_add_co_u32 v10, vcc_lo, s12, v0
	v_add_co_ci_u32_e32 v11, vcc_lo, 0, v1, vcc_lo
	s_delay_alu instid0(VALU_DEP_1) | instskip(SKIP_1) | instid1(VALU_DEP_1)
	v_cmp_gt_i64_e32 vcc_lo, s[6:7], v[10:11]
	v_cmp_gt_u64_e64 s0, 0x10000, v[10:11]
	s_and_b32 s17, vcc_lo, s0
	s_delay_alu instid0(SALU_CYCLE_1)
	s_and_saveexec_b32 s0, s17
	s_cbranch_execz .LBB43_33
; %bb.32:                               ;   in Loop: Header=BB43_25 Depth=1
	v_add_co_u32 v29, vcc_lo, v19, s4
	v_add_co_ci_u32_e32 v30, vcc_lo, s5, v20, vcc_lo
	v_add_co_u32 v31, vcc_lo, v17, s4
	v_add_co_ci_u32_e32 v32, vcc_lo, s5, v18, vcc_lo
	v_dual_mov_b32 v33, 0 :: v_dual_mov_b32 v34, 0
	global_load_d16_hi_b16 v33, v[31:32], off
	global_load_d16_hi_b16 v34, v[29:30], off
	s_waitcnt vmcnt(1)
	v_or_b32_e32 v9, v33, v9
	s_waitcnt vmcnt(0)
	v_or_b32_e32 v7, v34, v7
.LBB43_33:                              ;   in Loop: Header=BB43_25 Depth=1
	s_or_b32 exec_lo, exec_lo, s0
	v_lshlrev_b32_e32 v30, 16, v8
	v_lshlrev_b32_e32 v31, 16, v6
	s_and_b32 vcc_lo, exec_lo, s1
	s_cbranch_vccz .LBB43_53
; %bb.34:                               ;   in Loop: Header=BB43_25 Depth=1
	s_delay_alu instid0(VALU_DEP_1) | instskip(NEXT) | instid1(VALU_DEP_1)
	v_mul_f32_e32 v29, v12, v31
	v_fma_f32 v29, s14, v29, v30
	s_cbranch_execnz .LBB43_36
.LBB43_35:                              ;   in Loop: Header=BB43_25 Depth=1
	s_delay_alu instid0(VALU_DEP_1) | instskip(NEXT) | instid1(VALU_DEP_1)
	v_fmac_f32_e32 v30, v12, v31
	v_mov_b32_e32 v29, v30
.LBB43_36:                              ;   in Loop: Header=BB43_25 Depth=1
	v_and_b32_e32 v31, 0xffff0000, v8
	v_and_b32_e32 v32, 0xffff0000, v6
	s_and_not1_b32 vcc_lo, exec_lo, s1
	s_cbranch_vccnz .LBB43_54
; %bb.37:                               ;   in Loop: Header=BB43_25 Depth=1
	s_delay_alu instid0(VALU_DEP_1) | instskip(NEXT) | instid1(VALU_DEP_1)
	v_mul_f32_e32 v30, v12, v32
	v_fma_f32 v30, s14, v30, v31
	s_cbranch_execnz .LBB43_39
.LBB43_38:                              ;   in Loop: Header=BB43_25 Depth=1
	s_delay_alu instid0(VALU_DEP_1) | instskip(NEXT) | instid1(VALU_DEP_1)
	v_fmac_f32_e32 v31, v12, v32
	v_mov_b32_e32 v30, v31
.LBB43_39:                              ;   in Loop: Header=BB43_25 Depth=1
	v_alignbit_b32 v8, v9, v8, 16
	v_alignbit_b32 v6, v7, v6, 16
	s_and_not1_b32 vcc_lo, exec_lo, s1
	s_delay_alu instid0(VALU_DEP_2) | instskip(NEXT) | instid1(VALU_DEP_2)
	v_and_b32_e32 v8, 0xffff0000, v8
	v_and_b32_e32 v31, 0xffff0000, v6
	s_cbranch_vccnz .LBB43_55
; %bb.40:                               ;   in Loop: Header=BB43_25 Depth=1
	s_delay_alu instid0(VALU_DEP_1) | instskip(NEXT) | instid1(VALU_DEP_1)
	v_mul_f32_e32 v6, v12, v31
	v_fma_f32 v6, s14, v6, v8
	s_cbranch_execnz .LBB43_42
.LBB43_41:                              ;   in Loop: Header=BB43_25 Depth=1
	s_delay_alu instid0(VALU_DEP_1) | instskip(NEXT) | instid1(VALU_DEP_1)
	v_fmac_f32_e32 v8, v12, v31
	v_mov_b32_e32 v6, v8
.LBB43_42:                              ;   in Loop: Header=BB43_25 Depth=1
	v_and_b32_e32 v8, 0xffff0000, v9
	v_and_b32_e32 v9, 0xffff0000, v7
	s_and_not1_b32 vcc_lo, exec_lo, s1
	s_cbranch_vccnz .LBB43_56
; %bb.43:                               ;   in Loop: Header=BB43_25 Depth=1
	s_delay_alu instid0(VALU_DEP_1) | instskip(NEXT) | instid1(VALU_DEP_1)
	v_mul_f32_e32 v7, v12, v9
	v_fma_f32 v7, s14, v7, v8
	s_cbranch_execnz .LBB43_45
.LBB43_44:                              ;   in Loop: Header=BB43_25 Depth=1
	s_delay_alu instid0(VALU_DEP_1) | instskip(NEXT) | instid1(VALU_DEP_1)
	v_fmac_f32_e32 v8, v12, v9
	v_mov_b32_e32 v7, v8
.LBB43_45:                              ;   in Loop: Header=BB43_25 Depth=1
	s_mov_b32 s0, exec_lo
	v_cmpx_gt_u64_e64 s[8:9], v[0:1]
	s_xor_b32 s0, exec_lo, s0
	s_cbranch_execz .LBB43_47
; %bb.46:                               ;   in Loop: Header=BB43_25 Depth=1
	v_bfe_u32 v8, v29, 16, 1
	v_cmp_o_f32_e32 vcc_lo, v29, v29
	s_delay_alu instid0(VALU_DEP_2) | instskip(NEXT) | instid1(VALU_DEP_1)
	v_add3_u32 v8, v29, v8, 0x7fff
	v_lshrrev_b32_e32 v8, 16, v8
	s_delay_alu instid0(VALU_DEP_1)
	v_cndmask_b32_e32 v29, 0x7fc0, v8, vcc_lo
	v_add_co_u32 v8, vcc_lo, v13, s4
	v_add_co_ci_u32_e32 v9, vcc_lo, s5, v14, vcc_lo
	global_store_b16 v[8:9], v29, off
.LBB43_47:                              ;   in Loop: Header=BB43_25 Depth=1
	s_or_b32 exec_lo, exec_lo, s0
	s_delay_alu instid0(SALU_CYCLE_1)
	s_mov_b32 s0, exec_lo
	v_cmpx_gt_u64_e64 s[8:9], v[2:3]
	s_cbranch_execnz .LBB43_50
; %bb.48:                               ;   in Loop: Header=BB43_25 Depth=1
	s_or_b32 exec_lo, exec_lo, s0
	s_delay_alu instid0(SALU_CYCLE_1)
	s_mov_b32 s0, exec_lo
	v_cmpx_gt_u64_e64 s[8:9], v[4:5]
	s_cbranch_execnz .LBB43_51
.LBB43_49:                              ;   in Loop: Header=BB43_25 Depth=1
	s_or_b32 exec_lo, exec_lo, s0
	s_delay_alu instid0(SALU_CYCLE_1)
	s_mov_b32 s0, exec_lo
	v_cmpx_gt_u64_e64 s[8:9], v[10:11]
	s_cbranch_execz .LBB43_24
	s_branch .LBB43_52
.LBB43_50:                              ;   in Loop: Header=BB43_25 Depth=1
	v_bfe_u32 v2, v30, 16, 1
	v_cmp_o_f32_e32 vcc_lo, v30, v30
	s_delay_alu instid0(VALU_DEP_2) | instskip(NEXT) | instid1(VALU_DEP_1)
	v_add3_u32 v2, v30, v2, 0x7fff
	v_lshrrev_b32_e32 v2, 16, v2
	s_delay_alu instid0(VALU_DEP_1) | instskip(SKIP_4) | instid1(SALU_CYCLE_1)
	v_cndmask_b32_e32 v8, 0x7fc0, v2, vcc_lo
	v_add_co_u32 v2, vcc_lo, v25, s4
	v_add_co_ci_u32_e32 v3, vcc_lo, s5, v26, vcc_lo
	global_store_b16 v[2:3], v8, off
	s_or_b32 exec_lo, exec_lo, s0
	s_mov_b32 s0, exec_lo
	v_cmpx_gt_u64_e64 s[8:9], v[4:5]
	s_cbranch_execz .LBB43_49
.LBB43_51:                              ;   in Loop: Header=BB43_25 Depth=1
	v_bfe_u32 v2, v6, 16, 1
	v_cmp_o_f32_e32 vcc_lo, v6, v6
	s_delay_alu instid0(VALU_DEP_2) | instskip(NEXT) | instid1(VALU_DEP_1)
	v_add3_u32 v2, v6, v2, 0x7fff
	v_lshrrev_b32_e32 v2, 16, v2
	s_delay_alu instid0(VALU_DEP_1) | instskip(SKIP_4) | instid1(SALU_CYCLE_1)
	v_cndmask_b32_e32 v4, 0x7fc0, v2, vcc_lo
	v_add_co_u32 v2, vcc_lo, v21, s4
	v_add_co_ci_u32_e32 v3, vcc_lo, s5, v22, vcc_lo
	global_store_b16 v[2:3], v4, off
	s_or_b32 exec_lo, exec_lo, s0
	s_mov_b32 s0, exec_lo
	v_cmpx_gt_u64_e64 s[8:9], v[10:11]
	s_cbranch_execz .LBB43_24
.LBB43_52:                              ;   in Loop: Header=BB43_25 Depth=1
	v_bfe_u32 v2, v7, 16, 1
	v_cmp_o_f32_e32 vcc_lo, v7, v7
	s_delay_alu instid0(VALU_DEP_2) | instskip(NEXT) | instid1(VALU_DEP_1)
	v_add3_u32 v2, v7, v2, 0x7fff
	v_lshrrev_b32_e32 v2, 16, v2
	s_delay_alu instid0(VALU_DEP_1)
	v_cndmask_b32_e32 v4, 0x7fc0, v2, vcc_lo
	v_add_co_u32 v2, vcc_lo, v17, s4
	v_add_co_ci_u32_e32 v3, vcc_lo, s5, v18, vcc_lo
	global_store_b16 v[2:3], v4, off
	s_branch .LBB43_24
.LBB43_53:                              ;   in Loop: Header=BB43_25 Depth=1
                                        ; implicit-def: $vgpr29
	s_branch .LBB43_35
.LBB43_54:                              ;   in Loop: Header=BB43_25 Depth=1
                                        ; implicit-def: $vgpr30
	s_branch .LBB43_38
.LBB43_55:                              ;   in Loop: Header=BB43_25 Depth=1
                                        ; implicit-def: $vgpr6
	s_branch .LBB43_41
.LBB43_56:                              ;   in Loop: Header=BB43_25 Depth=1
                                        ; implicit-def: $vgpr7
	s_branch .LBB43_44
.LBB43_57:
	s_nop 0
	s_sendmsg sendmsg(MSG_DEALLOC_VGPRS)
	s_endpgm
	.section	.rodata,"a",@progbits
	.p2align	6, 0x0
	.amdhsa_kernel _ZN2at6native12_GLOBAL__N_125multi_tensor_apply_kernelINS1_18TensorListMetadataILi3EEENS1_32PointwiseOpScalar0dTensorFunctorIN3c108BFloat16ELi3ELi2ELi0EEEJSt10multipliesIfEfEEEvT_T0_DpT1_
		.amdhsa_group_segment_fixed_size 0
		.amdhsa_private_segment_fixed_size 0
		.amdhsa_kernarg_size 3408
		.amdhsa_user_sgpr_count 15
		.amdhsa_user_sgpr_dispatch_ptr 0
		.amdhsa_user_sgpr_queue_ptr 0
		.amdhsa_user_sgpr_kernarg_segment_ptr 1
		.amdhsa_user_sgpr_dispatch_id 0
		.amdhsa_user_sgpr_private_segment_size 0
		.amdhsa_wavefront_size32 1
		.amdhsa_uses_dynamic_stack 0
		.amdhsa_enable_private_segment 0
		.amdhsa_system_sgpr_workgroup_id_x 1
		.amdhsa_system_sgpr_workgroup_id_y 0
		.amdhsa_system_sgpr_workgroup_id_z 0
		.amdhsa_system_sgpr_workgroup_info 0
		.amdhsa_system_vgpr_workitem_id 0
		.amdhsa_next_free_vgpr 35
		.amdhsa_next_free_sgpr 18
		.amdhsa_reserve_vcc 1
		.amdhsa_float_round_mode_32 0
		.amdhsa_float_round_mode_16_64 0
		.amdhsa_float_denorm_mode_32 3
		.amdhsa_float_denorm_mode_16_64 3
		.amdhsa_dx10_clamp 1
		.amdhsa_ieee_mode 1
		.amdhsa_fp16_overflow 0
		.amdhsa_workgroup_processor_mode 1
		.amdhsa_memory_ordered 1
		.amdhsa_forward_progress 0
		.amdhsa_shared_vgpr_count 0
		.amdhsa_exception_fp_ieee_invalid_op 0
		.amdhsa_exception_fp_denorm_src 0
		.amdhsa_exception_fp_ieee_div_zero 0
		.amdhsa_exception_fp_ieee_overflow 0
		.amdhsa_exception_fp_ieee_underflow 0
		.amdhsa_exception_fp_ieee_inexact 0
		.amdhsa_exception_int_div_zero 0
	.end_amdhsa_kernel
	.section	.text._ZN2at6native12_GLOBAL__N_125multi_tensor_apply_kernelINS1_18TensorListMetadataILi3EEENS1_32PointwiseOpScalar0dTensorFunctorIN3c108BFloat16ELi3ELi2ELi0EEEJSt10multipliesIfEfEEEvT_T0_DpT1_,"axG",@progbits,_ZN2at6native12_GLOBAL__N_125multi_tensor_apply_kernelINS1_18TensorListMetadataILi3EEENS1_32PointwiseOpScalar0dTensorFunctorIN3c108BFloat16ELi3ELi2ELi0EEEJSt10multipliesIfEfEEEvT_T0_DpT1_,comdat
.Lfunc_end43:
	.size	_ZN2at6native12_GLOBAL__N_125multi_tensor_apply_kernelINS1_18TensorListMetadataILi3EEENS1_32PointwiseOpScalar0dTensorFunctorIN3c108BFloat16ELi3ELi2ELi0EEEJSt10multipliesIfEfEEEvT_T0_DpT1_, .Lfunc_end43-_ZN2at6native12_GLOBAL__N_125multi_tensor_apply_kernelINS1_18TensorListMetadataILi3EEENS1_32PointwiseOpScalar0dTensorFunctorIN3c108BFloat16ELi3ELi2ELi0EEEJSt10multipliesIfEfEEEvT_T0_DpT1_
                                        ; -- End function
	.section	.AMDGPU.csdata,"",@progbits
; Kernel info:
; codeLenInByte = 2488
; NumSgprs: 20
; NumVgprs: 35
; ScratchSize: 0
; MemoryBound: 0
; FloatMode: 240
; IeeeMode: 1
; LDSByteSize: 0 bytes/workgroup (compile time only)
; SGPRBlocks: 2
; VGPRBlocks: 4
; NumSGPRsForWavesPerEU: 20
; NumVGPRsForWavesPerEU: 35
; Occupancy: 16
; WaveLimiterHint : 0
; COMPUTE_PGM_RSRC2:SCRATCH_EN: 0
; COMPUTE_PGM_RSRC2:USER_SGPR: 15
; COMPUTE_PGM_RSRC2:TRAP_HANDLER: 0
; COMPUTE_PGM_RSRC2:TGID_X_EN: 1
; COMPUTE_PGM_RSRC2:TGID_Y_EN: 0
; COMPUTE_PGM_RSRC2:TGID_Z_EN: 0
; COMPUTE_PGM_RSRC2:TIDIG_COMP_CNT: 0
	.section	.text._ZN2at6native12_GLOBAL__N_125multi_tensor_apply_kernelINS1_18TensorListMetadataILi4EEENS1_24PointwiseOpScalarFunctorIhLi4ELi3ELi3EEEJSt7dividesIhEhEEEvT_T0_DpT1_,"axG",@progbits,_ZN2at6native12_GLOBAL__N_125multi_tensor_apply_kernelINS1_18TensorListMetadataILi4EEENS1_24PointwiseOpScalarFunctorIhLi4ELi3ELi3EEEJSt7dividesIhEhEEEvT_T0_DpT1_,comdat
	.globl	_ZN2at6native12_GLOBAL__N_125multi_tensor_apply_kernelINS1_18TensorListMetadataILi4EEENS1_24PointwiseOpScalarFunctorIhLi4ELi3ELi3EEEJSt7dividesIhEhEEEvT_T0_DpT1_ ; -- Begin function _ZN2at6native12_GLOBAL__N_125multi_tensor_apply_kernelINS1_18TensorListMetadataILi4EEENS1_24PointwiseOpScalarFunctorIhLi4ELi3ELi3EEEJSt7dividesIhEhEEEvT_T0_DpT1_
	.p2align	8
	.type	_ZN2at6native12_GLOBAL__N_125multi_tensor_apply_kernelINS1_18TensorListMetadataILi4EEENS1_24PointwiseOpScalarFunctorIhLi4ELi3ELi3EEEJSt7dividesIhEhEEEvT_T0_DpT1_,@function
_ZN2at6native12_GLOBAL__N_125multi_tensor_apply_kernelINS1_18TensorListMetadataILi4EEENS1_24PointwiseOpScalarFunctorIhLi4ELi3ELi3EEEJSt7dividesIhEhEEEvT_T0_DpT1_: ; @_ZN2at6native12_GLOBAL__N_125multi_tensor_apply_kernelINS1_18TensorListMetadataILi4EEENS1_24PointwiseOpScalarFunctorIhLi4ELi3ELi3EEEJSt7dividesIhEhEEEvT_T0_DpT1_
; %bb.0:
	v_mov_b32_e32 v1, s15
	s_add_u32 s2, s0, s15
	s_mul_hi_u32 s3, s15, 3
	s_mul_i32 s15, s15, 3
	s_addc_u32 s4, s1, 0
	global_load_u8 v1, v1, s[0:1] offset:1440
	s_load_b32 s24, s[0:1], 0xbe8
	s_add_u32 s2, s2, s15
	s_addc_u32 s3, s4, s3
	s_mov_b32 s11, 0
	s_load_b32 s6, s[2:3], 0x6e0
	s_waitcnt lgkmcnt(0)
	s_ashr_i32 s7, s6, 31
	s_delay_alu instid0(SALU_CYCLE_1) | instskip(SKIP_2) | instid1(VALU_DEP_1)
	s_lshl_b64 s[16:17], s[6:7], 16
	s_waitcnt vmcnt(0)
	v_readfirstlane_b32 s2, v1
	s_lshl_b32 s8, s2, 3
	s_clause 0x4
	s_load_b64 s[2:3], s[0:1], s8 offset:0x0
	s_load_b64 s[4:5], s[0:1], s8 offset:0x120
	;; [unrolled: 1-line block ×5, first 2 shown]
	s_waitcnt lgkmcnt(0)
	s_add_u32 s6, s2, s16
	s_addc_u32 s7, s3, s17
	s_add_u32 s18, s4, s16
	s_addc_u32 s19, s5, s17
	s_and_b32 s10, s18, 3
	s_delay_alu instid0(SALU_CYCLE_1)
	s_cmp_eq_u64 s[10:11], 0
	s_cselect_b32 s8, -1, 0
	s_add_u32 s20, s12, s16
	s_addc_u32 s21, s13, s17
	s_add_u32 s22, s14, s16
	s_addc_u32 s23, s15, s17
	s_or_b32 s9, s22, s20
	s_delay_alu instid0(SALU_CYCLE_1) | instskip(NEXT) | instid1(SALU_CYCLE_1)
	s_and_b32 s9, s9, 3
	s_cmp_eq_u32 s9, 0
	s_cselect_b32 s9, -1, 0
	s_delay_alu instid0(SALU_CYCLE_1) | instskip(SKIP_3) | instid1(SALU_CYCLE_1)
	s_and_b32 s25, s9, s8
	s_sub_u32 s8, s26, s16
	s_subb_u32 s9, s27, s17
	s_or_b64 s[26:27], s[26:27], s[6:7]
	s_and_b32 s10, s26, 3
	s_delay_alu instid0(SALU_CYCLE_1) | instskip(SKIP_1) | instid1(SALU_CYCLE_1)
	s_cmp_eq_u64 s[10:11], 0
	s_cselect_b32 s10, -1, 0
	s_and_b32 s10, s25, s10
	s_delay_alu instid0(SALU_CYCLE_1)
	s_and_b32 vcc_lo, exec_lo, s10
	s_mov_b32 s10, -1
	s_cbranch_vccnz .LBB44_29
; %bb.1:
	v_cmp_lt_i64_e64 s10, s[8:9], 1
	s_delay_alu instid0(VALU_DEP_1)
	s_and_b32 vcc_lo, exec_lo, s10
	s_cbranch_vccnz .LBB44_28
; %bb.2:
	s_load_b32 s10, s[0:1], 0xbfc
	v_add_co_u32 v27, s11, s16, v0
	s_delay_alu instid0(VALU_DEP_1) | instskip(SKIP_1) | instid1(VALU_DEP_3)
	v_add_co_ci_u32_e64 v28, null, s17, 0, s11
	v_cmp_gt_u64_e64 s11, 0x10000, s[8:9]
	v_add_co_u32 v1, vcc_lo, s2, v27
	s_delay_alu instid0(VALU_DEP_3)
	v_add_co_ci_u32_e32 v2, vcc_lo, s3, v28, vcc_lo
	v_add_co_u32 v3, vcc_lo, s4, v27
	v_add_co_ci_u32_e32 v4, vcc_lo, s5, v28, vcc_lo
	v_add_co_u32 v5, vcc_lo, s12, v27
	;; [unrolled: 2-line block ×3, first 2 shown]
	s_waitcnt lgkmcnt(0)
	s_and_b32 s26, s10, 0xffff
	s_and_b32 s10, s11, exec_lo
	s_mul_i32 s28, s26, 3
	s_cselect_b32 s11, s9, 0
	s_cselect_b32 s10, s8, 0x10000
	s_lshl_b32 s27, s26, 1
	s_lshl_b32 s25, s26, 2
	s_add_u32 s29, s16, s28
	s_addc_u32 s30, s17, 0
	v_add_co_u32 v15, s29, s29, v0
	s_delay_alu instid0(VALU_DEP_1) | instskip(SKIP_1) | instid1(VALU_DEP_3)
	v_add_co_ci_u32_e64 v16, null, s30, 0, s29
	v_add_co_ci_u32_e32 v8, vcc_lo, s15, v28, vcc_lo
	v_add_co_u32 v9, vcc_lo, s2, v15
	s_delay_alu instid0(VALU_DEP_3)
	v_add_co_ci_u32_e32 v10, vcc_lo, s3, v16, vcc_lo
	v_add_co_u32 v11, vcc_lo, s4, v15
	v_add_co_ci_u32_e32 v12, vcc_lo, s5, v16, vcc_lo
	s_add_u32 s16, s16, s27
	v_add_co_u32 v13, vcc_lo, s12, v15
	s_addc_u32 s17, s17, 0
	v_add_co_u32 v25, s16, s16, v0
	v_add_co_ci_u32_e32 v14, vcc_lo, s13, v16, vcc_lo
	v_add_co_u32 v15, vcc_lo, s14, v15
	v_add_co_ci_u32_e64 v26, null, s17, 0, s16
	v_add_co_ci_u32_e32 v16, vcc_lo, s15, v16, vcc_lo
	v_add_co_u32 v19, vcc_lo, s2, v25
	s_delay_alu instid0(VALU_DEP_3)
	v_add_co_ci_u32_e32 v20, vcc_lo, s3, v26, vcc_lo
	v_add_co_u32 v21, vcc_lo, s4, v25
	v_add_co_ci_u32_e32 v22, vcc_lo, s5, v26, vcc_lo
	v_add_co_u32 v23, vcc_lo, s12, v25
	;; [unrolled: 2-line block ×4, first 2 shown]
	v_add_co_ci_u32_e32 v36, vcc_lo, 0, v28, vcc_lo
	v_add_co_u32 v17, s16, s28, v0
	s_delay_alu instid0(VALU_DEP_3) | instskip(NEXT) | instid1(VALU_DEP_3)
	v_add_co_u32 v29, vcc_lo, s2, v35
	v_add_co_ci_u32_e32 v30, vcc_lo, s3, v36, vcc_lo
	v_add_co_u32 v31, vcc_lo, s4, v35
	v_add_co_ci_u32_e32 v32, vcc_lo, s5, v36, vcc_lo
	;; [unrolled: 2-line block ×3, first 2 shown]
	v_add_co_ci_u32_e64 v18, null, 0, 0, s16
	v_add_co_u32 v27, s16, s27, v0
	v_add_co_u32 v35, vcc_lo, s14, v35
	v_add_co_u32 v37, s2, v0, s26
	v_add_co_ci_u32_e64 v28, null, 0, 0, s16
	v_add_co_ci_u32_e32 v36, vcc_lo, s15, v36, vcc_lo
	v_add_co_ci_u32_e64 v38, null, 0, 0, s2
	s_mov_b64 s[12:13], 0
	s_lshr_b32 s14, s24, 16
	s_branch .LBB44_4
.LBB44_3:                               ;   in Loop: Header=BB44_4 Depth=1
	s_or_b32 exec_lo, exec_lo, s2
	s_add_u32 s12, s12, s25
	s_addc_u32 s13, s13, 0
	s_delay_alu instid0(SALU_CYCLE_1) | instskip(SKIP_1) | instid1(VALU_DEP_1)
	v_cmp_lt_i64_e64 s2, s[12:13], s[8:9]
	v_cmp_gt_u64_e64 s3, 0x10000, s[12:13]
	s_and_b32 s2, s2, s3
	s_delay_alu instid0(SALU_CYCLE_1)
	s_and_b32 vcc_lo, exec_lo, s2
	s_cbranch_vccz .LBB44_28
.LBB44_4:                               ; =>This Inner Loop Header: Depth=1
	s_waitcnt vmcnt(1)
	v_add_co_u32 v39, s2, v0, s12
	s_delay_alu instid0(VALU_DEP_1) | instskip(SKIP_2) | instid1(VALU_DEP_2)
	v_add_co_ci_u32_e64 v40, null, 0, s13, s2
	s_waitcnt vmcnt(0)
	v_mov_b32_e32 v41, 0
	v_cmp_gt_u64_e32 vcc_lo, s[10:11], v[39:40]
	v_mov_b32_e32 v39, 0
	s_and_saveexec_b32 s3, vcc_lo
	s_cbranch_execz .LBB44_6
; %bb.5:                                ;   in Loop: Header=BB44_4 Depth=1
	v_add_co_u32 v39, s2, v1, s12
	s_delay_alu instid0(VALU_DEP_1) | instskip(SKIP_1) | instid1(VALU_DEP_1)
	v_add_co_ci_u32_e64 v40, s2, s13, v2, s2
	v_add_co_u32 v41, s2, v3, s12
	v_add_co_ci_u32_e64 v42, s2, s13, v4, s2
	global_load_u8 v39, v[39:40], off
	global_load_u8 v41, v[41:42], off
.LBB44_6:                               ;   in Loop: Header=BB44_4 Depth=1
	s_or_b32 exec_lo, exec_lo, s3
	v_dual_mov_b32 v40, 0 :: v_dual_mov_b32 v43, 0
	s_and_saveexec_b32 s3, vcc_lo
	s_cbranch_execz .LBB44_8
; %bb.7:                                ;   in Loop: Header=BB44_4 Depth=1
	v_add_co_u32 v42, s2, v5, s12
	s_delay_alu instid0(VALU_DEP_1)
	v_add_co_ci_u32_e64 v43, s2, s13, v6, s2
	global_load_u8 v43, v[42:43], off
.LBB44_8:                               ;   in Loop: Header=BB44_4 Depth=1
	s_or_b32 exec_lo, exec_lo, s3
	v_add_co_u32 v44, s2, v37, s12
	s_delay_alu instid0(VALU_DEP_1) | instskip(NEXT) | instid1(VALU_DEP_1)
	v_add_co_ci_u32_e64 v45, s2, s13, v38, s2
	v_cmp_gt_u64_e64 s2, s[10:11], v[44:45]
	v_mov_b32_e32 v44, 0
	s_delay_alu instid0(VALU_DEP_2)
	s_and_saveexec_b32 s4, s2
	s_cbranch_execz .LBB44_10
; %bb.9:                                ;   in Loop: Header=BB44_4 Depth=1
	v_add_co_u32 v44, s3, v29, s12
	s_delay_alu instid0(VALU_DEP_1) | instskip(SKIP_1) | instid1(VALU_DEP_1)
	v_add_co_ci_u32_e64 v45, s3, s13, v30, s3
	v_add_co_u32 v46, s3, v31, s12
	v_add_co_ci_u32_e64 v47, s3, s13, v32, s3
	global_load_u8 v40, v[44:45], off
	global_load_u8 v44, v[46:47], off
.LBB44_10:                              ;   in Loop: Header=BB44_4 Depth=1
	s_or_b32 exec_lo, exec_lo, s4
	v_mov_b32_e32 v42, 0
	v_mov_b32_e32 v46, 0
	s_and_saveexec_b32 s4, s2
	s_cbranch_execz .LBB44_12
; %bb.11:                               ;   in Loop: Header=BB44_4 Depth=1
	v_add_co_u32 v45, s3, v33, s12
	s_delay_alu instid0(VALU_DEP_1)
	v_add_co_ci_u32_e64 v46, s3, s13, v34, s3
	global_load_u8 v46, v[45:46], off
.LBB44_12:                              ;   in Loop: Header=BB44_4 Depth=1
	s_or_b32 exec_lo, exec_lo, s4
	v_add_co_u32 v47, s3, v27, s12
	s_delay_alu instid0(VALU_DEP_1) | instskip(NEXT) | instid1(VALU_DEP_1)
	v_add_co_ci_u32_e64 v48, s3, s13, v28, s3
	v_cmp_gt_u64_e64 s3, s[10:11], v[47:48]
	v_mov_b32_e32 v47, 0
	s_delay_alu instid0(VALU_DEP_2)
	s_and_saveexec_b32 s5, s3
	s_cbranch_execz .LBB44_14
; %bb.13:                               ;   in Loop: Header=BB44_4 Depth=1
	v_add_co_u32 v47, s4, v19, s12
	s_delay_alu instid0(VALU_DEP_1) | instskip(SKIP_1) | instid1(VALU_DEP_1)
	v_add_co_ci_u32_e64 v48, s4, s13, v20, s4
	v_add_co_u32 v49, s4, v21, s12
	v_add_co_ci_u32_e64 v50, s4, s13, v22, s4
	global_load_u8 v42, v[47:48], off
	global_load_u8 v47, v[49:50], off
.LBB44_14:                              ;   in Loop: Header=BB44_4 Depth=1
	s_or_b32 exec_lo, exec_lo, s5
	v_dual_mov_b32 v45, 0 :: v_dual_mov_b32 v48, 0
	s_and_saveexec_b32 s5, s3
	s_cbranch_execz .LBB44_16
; %bb.15:                               ;   in Loop: Header=BB44_4 Depth=1
	v_add_co_u32 v48, s4, v23, s12
	s_delay_alu instid0(VALU_DEP_1)
	v_add_co_ci_u32_e64 v49, s4, s13, v24, s4
	global_load_u8 v48, v[48:49], off
.LBB44_16:                              ;   in Loop: Header=BB44_4 Depth=1
	s_or_b32 exec_lo, exec_lo, s5
	v_add_co_u32 v49, s4, v17, s12
	s_delay_alu instid0(VALU_DEP_1) | instskip(NEXT) | instid1(VALU_DEP_1)
	v_add_co_ci_u32_e64 v50, s4, s13, v18, s4
	v_cmp_gt_u64_e64 s4, s[10:11], v[49:50]
	v_mov_b32_e32 v49, 0
	s_delay_alu instid0(VALU_DEP_2)
	s_and_saveexec_b32 s15, s4
	s_cbranch_execnz .LBB44_22
; %bb.17:                               ;   in Loop: Header=BB44_4 Depth=1
	s_or_b32 exec_lo, exec_lo, s15
	v_mov_b32_e32 v50, 0
	s_and_saveexec_b32 s15, s4
	s_cbranch_execnz .LBB44_23
.LBB44_18:                              ;   in Loop: Header=BB44_4 Depth=1
	s_or_b32 exec_lo, exec_lo, s15
	s_and_saveexec_b32 s5, vcc_lo
	s_cbranch_execnz .LBB44_24
.LBB44_19:                              ;   in Loop: Header=BB44_4 Depth=1
	s_or_b32 exec_lo, exec_lo, s5
	s_and_saveexec_b32 s5, s2
	s_cbranch_execnz .LBB44_25
.LBB44_20:                              ;   in Loop: Header=BB44_4 Depth=1
	s_or_b32 exec_lo, exec_lo, s5
	s_and_saveexec_b32 s2, s3
	s_cbranch_execnz .LBB44_26
.LBB44_21:                              ;   in Loop: Header=BB44_4 Depth=1
	s_or_b32 exec_lo, exec_lo, s2
	s_and_saveexec_b32 s2, s4
	s_cbranch_execz .LBB44_3
	s_branch .LBB44_27
.LBB44_22:                              ;   in Loop: Header=BB44_4 Depth=1
	v_add_co_u32 v49, s5, v9, s12
	s_delay_alu instid0(VALU_DEP_1) | instskip(SKIP_1) | instid1(VALU_DEP_1)
	v_add_co_ci_u32_e64 v50, s5, s13, v10, s5
	v_add_co_u32 v51, s5, v11, s12
	v_add_co_ci_u32_e64 v52, s5, s13, v12, s5
	global_load_u8 v45, v[49:50], off
	global_load_u8 v49, v[51:52], off
	s_or_b32 exec_lo, exec_lo, s15
	v_mov_b32_e32 v50, 0
	s_and_saveexec_b32 s15, s4
	s_cbranch_execz .LBB44_18
.LBB44_23:                              ;   in Loop: Header=BB44_4 Depth=1
	v_add_co_u32 v50, s5, v13, s12
	s_delay_alu instid0(VALU_DEP_1)
	v_add_co_ci_u32_e64 v51, s5, s13, v14, s5
	global_load_u8 v50, v[50:51], off
	s_or_b32 exec_lo, exec_lo, s15
	s_and_saveexec_b32 s5, vcc_lo
	s_cbranch_execz .LBB44_19
.LBB44_24:                              ;   in Loop: Header=BB44_4 Depth=1
	s_waitcnt vmcnt(0)
	v_cvt_f32_ubyte0_e32 v43, v43
	v_cvt_f32_ubyte0_e32 v41, v41
	s_delay_alu instid0(VALU_DEP_2) | instskip(SKIP_2) | instid1(VALU_DEP_1)
	v_rcp_iflag_f32_e32 v51, v43
	s_waitcnt_depctr 0xfff
	v_mul_f32_e32 v51, v41, v51
	v_trunc_f32_e32 v51, v51
	s_delay_alu instid0(VALU_DEP_1) | instskip(SKIP_1) | instid1(VALU_DEP_2)
	v_fma_f32 v41, -v51, v43, v41
	v_cvt_u32_f32_e32 v51, v51
	v_cmp_ge_f32_e64 vcc_lo, |v41|, v43
	s_delay_alu instid0(VALU_DEP_2) | instskip(SKIP_2) | instid1(VALU_DEP_3)
	v_add_co_ci_u32_e32 v41, vcc_lo, 0, v51, vcc_lo
	v_add_co_u32 v51, vcc_lo, v7, s12
	v_add_co_ci_u32_e32 v52, vcc_lo, s13, v8, vcc_lo
	v_mad_u16 v39, v41, s14, v39
	global_store_b8 v[51:52], v39, off
	s_or_b32 exec_lo, exec_lo, s5
	s_and_saveexec_b32 s5, s2
	s_cbranch_execz .LBB44_20
.LBB44_25:                              ;   in Loop: Header=BB44_4 Depth=1
	s_waitcnt vmcnt(0)
	v_cvt_f32_ubyte0_e32 v39, v46
	v_cvt_f32_ubyte0_e32 v43, v44
	s_delay_alu instid0(VALU_DEP_2) | instskip(SKIP_2) | instid1(VALU_DEP_1)
	v_rcp_iflag_f32_e32 v41, v39
	s_waitcnt_depctr 0xfff
	v_mul_f32_e32 v41, v43, v41
	v_trunc_f32_e32 v41, v41
	s_delay_alu instid0(VALU_DEP_1) | instskip(SKIP_1) | instid1(VALU_DEP_2)
	v_fma_f32 v43, -v41, v39, v43
	v_cvt_u32_f32_e32 v41, v41
	v_cmp_ge_f32_e64 vcc_lo, |v43|, v39
	s_delay_alu instid0(VALU_DEP_2) | instskip(NEXT) | instid1(VALU_DEP_1)
	v_add_co_ci_u32_e32 v39, vcc_lo, 0, v41, vcc_lo
	v_mad_u16 v41, v39, s14, v40
	v_add_co_u32 v39, vcc_lo, v35, s12
	v_add_co_ci_u32_e32 v40, vcc_lo, s13, v36, vcc_lo
	global_store_b8 v[39:40], v41, off
	s_or_b32 exec_lo, exec_lo, s5
	s_and_saveexec_b32 s2, s3
	s_cbranch_execz .LBB44_21
.LBB44_26:                              ;   in Loop: Header=BB44_4 Depth=1
	s_waitcnt vmcnt(0)
	v_cvt_f32_ubyte0_e32 v39, v48
	v_cvt_f32_ubyte0_e32 v41, v47
	s_delay_alu instid0(VALU_DEP_2) | instskip(SKIP_2) | instid1(VALU_DEP_1)
	v_rcp_iflag_f32_e32 v40, v39
	s_waitcnt_depctr 0xfff
	v_mul_f32_e32 v40, v41, v40
	v_trunc_f32_e32 v40, v40
	s_delay_alu instid0(VALU_DEP_1) | instskip(SKIP_1) | instid1(VALU_DEP_2)
	v_fma_f32 v41, -v40, v39, v41
	v_cvt_u32_f32_e32 v40, v40
	v_cmp_ge_f32_e64 vcc_lo, |v41|, v39
	s_delay_alu instid0(VALU_DEP_2) | instskip(NEXT) | instid1(VALU_DEP_1)
	v_add_co_ci_u32_e32 v39, vcc_lo, 0, v40, vcc_lo
	v_mad_u16 v41, v39, s14, v42
	v_add_co_u32 v39, vcc_lo, v25, s12
	v_add_co_ci_u32_e32 v40, vcc_lo, s13, v26, vcc_lo
	global_store_b8 v[39:40], v41, off
	s_or_b32 exec_lo, exec_lo, s2
	s_and_saveexec_b32 s2, s4
	s_cbranch_execz .LBB44_3
.LBB44_27:                              ;   in Loop: Header=BB44_4 Depth=1
	s_waitcnt vmcnt(0)
	v_cvt_f32_ubyte0_e32 v39, v50
	v_cvt_f32_ubyte0_e32 v41, v49
	s_delay_alu instid0(VALU_DEP_2) | instskip(SKIP_2) | instid1(VALU_DEP_1)
	v_rcp_iflag_f32_e32 v40, v39
	s_waitcnt_depctr 0xfff
	v_mul_f32_e32 v40, v41, v40
	v_trunc_f32_e32 v40, v40
	s_delay_alu instid0(VALU_DEP_1) | instskip(SKIP_1) | instid1(VALU_DEP_2)
	v_fma_f32 v41, -v40, v39, v41
	v_cvt_u32_f32_e32 v40, v40
	v_cmp_ge_f32_e64 vcc_lo, |v41|, v39
	s_delay_alu instid0(VALU_DEP_2) | instskip(NEXT) | instid1(VALU_DEP_1)
	v_add_co_ci_u32_e32 v39, vcc_lo, 0, v40, vcc_lo
	v_mad_u16 v41, v39, s14, v45
	v_add_co_u32 v39, vcc_lo, v15, s12
	v_add_co_ci_u32_e32 v40, vcc_lo, s13, v16, vcc_lo
	global_store_b8 v[39:40], v41, off
	s_branch .LBB44_3
.LBB44_28:
	s_mov_b32 s10, 0
.LBB44_29:
	s_delay_alu instid0(SALU_CYCLE_1)
	s_and_not1_b32 vcc_lo, exec_lo, s10
	s_cbranch_vccnz .LBB44_33
; %bb.30:
	v_dual_mov_b32 v1, 0 :: v_dual_lshlrev_b32 v0, 2, v0
	s_mov_b32 s2, exec_lo
	s_delay_alu instid0(VALU_DEP_1)
	v_cmpx_gt_i64_e64 s[8:9], v[0:1]
	s_cbranch_execz .LBB44_33
; %bb.31:
	s_load_b32 s0, s[0:1], 0xbfc
	s_mov_b32 s1, 0
	s_lshr_b32 s3, s24, 16
	s_waitcnt lgkmcnt(0)
	s_and_b32 s0, s0, 0xffff
	s_delay_alu instid0(SALU_CYCLE_1)
	s_lshl_b32 s2, s0, 2
.LBB44_32:                              ; =>This Inner Loop Header: Depth=1
	v_add_co_u32 v2, vcc_lo, s18, v0
	v_add_co_ci_u32_e32 v3, vcc_lo, s19, v1, vcc_lo
	v_add_co_u32 v4, vcc_lo, s20, v0
	v_add_co_ci_u32_e32 v5, vcc_lo, s21, v1, vcc_lo
	;; [unrolled: 2-line block ×3, first 2 shown]
	global_load_b32 v8, v[2:3], off
	global_load_b32 v4, v[4:5], off
	;; [unrolled: 1-line block ×3, first 2 shown]
	v_add_co_u32 v2, vcc_lo, s22, v0
	v_add_co_ci_u32_e32 v3, vcc_lo, s23, v1, vcc_lo
	v_add_co_u32 v0, vcc_lo, s2, v0
	v_add_co_ci_u32_e32 v1, vcc_lo, 0, v1, vcc_lo
	s_delay_alu instid0(VALU_DEP_1)
	v_cmp_le_i64_e32 vcc_lo, s[8:9], v[0:1]
	s_waitcnt vmcnt(2)
	v_cvt_f32_ubyte0_e32 v6, v8
	s_waitcnt vmcnt(1)
	v_cvt_f32_ubyte0_e32 v7, v4
	v_cvt_f32_ubyte1_e32 v11, v4
	v_cvt_f32_ubyte2_e32 v14, v4
	v_cvt_f32_ubyte3_e32 v4, v4
	v_cvt_f32_ubyte1_e32 v10, v8
	v_rcp_iflag_f32_e32 v16, v7
	v_rcp_iflag_f32_e32 v17, v11
	v_cvt_f32_ubyte2_e32 v13, v8
	v_rcp_iflag_f32_e32 v19, v4
	v_cvt_f32_ubyte3_e32 v8, v8
	v_rcp_iflag_f32_e32 v18, v14
	s_waitcnt vmcnt(0)
	v_lshrrev_b32_e32 v9, 8, v5
	v_lshrrev_b32_e32 v12, 16, v5
	;; [unrolled: 1-line block ×3, first 2 shown]
	v_mul_f32_e32 v16, v6, v16
	v_mul_f32_e32 v17, v10, v17
	s_waitcnt_depctr 0xfff
	v_dual_mul_f32 v19, v8, v19 :: v_dual_mul_f32 v18, v13, v18
	v_trunc_f32_e32 v16, v16
	v_trunc_f32_e32 v17, v17
	s_delay_alu instid0(VALU_DEP_3) | instskip(NEXT) | instid1(VALU_DEP_4)
	v_trunc_f32_e32 v19, v19
	v_trunc_f32_e32 v18, v18
	s_delay_alu instid0(VALU_DEP_4)
	v_fma_f32 v6, -v16, v7, v6
	v_cvt_u32_f32_e32 v16, v16
	v_fma_f32 v10, -v17, v11, v10
	v_cvt_u32_f32_e32 v17, v17
	v_fma_f32 v13, -v18, v14, v13
	v_cmp_ge_f32_e64 s0, |v6|, v7
	v_cvt_u32_f32_e32 v18, v18
	v_fma_f32 v8, -v19, v4, v8
	v_cvt_u32_f32_e32 v19, v19
	s_delay_alu instid0(VALU_DEP_4) | instskip(SKIP_1) | instid1(VALU_DEP_2)
	v_add_co_ci_u32_e64 v6, s0, 0, v16, s0
	v_cmp_ge_f32_e64 s0, |v10|, v11
	v_mad_u16 v5, v6, s3, v5
	s_delay_alu instid0(VALU_DEP_2) | instskip(SKIP_1) | instid1(VALU_DEP_2)
	v_add_co_ci_u32_e64 v7, s0, 0, v17, s0
	v_cmp_ge_f32_e64 s0, |v13|, v14
	v_mad_u16 v7, v7, s3, v9
	s_delay_alu instid0(VALU_DEP_2) | instskip(SKIP_1) | instid1(VALU_DEP_3)
	v_add_co_ci_u32_e64 v10, s0, 0, v18, s0
	v_cmp_ge_f32_e64 s0, |v8|, v4
	v_and_b32_e32 v6, 0xff, v7
	s_delay_alu instid0(VALU_DEP_3) | instskip(NEXT) | instid1(VALU_DEP_3)
	v_mad_u16 v8, v10, s3, v12
	v_add_co_ci_u32_e64 v4, s0, 0, v19, s0
	v_cmp_lt_u64_e64 s0, 0xffff, v[0:1]
	s_delay_alu instid0(VALU_DEP_3) | instskip(SKIP_1) | instid1(VALU_DEP_4)
	v_and_b32_e32 v7, 0xff, v8
	v_perm_b32 v5, v6, v5, 0x6050400
	v_mad_u16 v4, v4, s3, v15
	s_delay_alu instid0(VALU_DEP_3) | instskip(SKIP_1) | instid1(VALU_DEP_2)
	v_lshlrev_b32_e32 v6, 16, v7
	s_or_b32 s0, vcc_lo, s0
	v_lshlrev_b32_e32 v4, 24, v4
	s_and_b32 s0, exec_lo, s0
	s_delay_alu instid0(SALU_CYCLE_1) | instskip(NEXT) | instid1(VALU_DEP_1)
	s_or_b32 s1, s0, s1
	v_or3_b32 v4, v5, v6, v4
	global_store_b32 v[2:3], v4, off
	s_and_not1_b32 exec_lo, exec_lo, s1
	s_cbranch_execnz .LBB44_32
.LBB44_33:
	s_nop 0
	s_sendmsg sendmsg(MSG_DEALLOC_VGPRS)
	s_endpgm
	.section	.rodata,"a",@progbits
	.p2align	6, 0x0
	.amdhsa_kernel _ZN2at6native12_GLOBAL__N_125multi_tensor_apply_kernelINS1_18TensorListMetadataILi4EEENS1_24PointwiseOpScalarFunctorIhLi4ELi3ELi3EEEJSt7dividesIhEhEEEvT_T0_DpT1_
		.amdhsa_group_segment_fixed_size 0
		.amdhsa_private_segment_fixed_size 0
		.amdhsa_kernarg_size 3312
		.amdhsa_user_sgpr_count 15
		.amdhsa_user_sgpr_dispatch_ptr 0
		.amdhsa_user_sgpr_queue_ptr 0
		.amdhsa_user_sgpr_kernarg_segment_ptr 1
		.amdhsa_user_sgpr_dispatch_id 0
		.amdhsa_user_sgpr_private_segment_size 0
		.amdhsa_wavefront_size32 1
		.amdhsa_uses_dynamic_stack 0
		.amdhsa_enable_private_segment 0
		.amdhsa_system_sgpr_workgroup_id_x 1
		.amdhsa_system_sgpr_workgroup_id_y 0
		.amdhsa_system_sgpr_workgroup_id_z 0
		.amdhsa_system_sgpr_workgroup_info 0
		.amdhsa_system_vgpr_workitem_id 0
		.amdhsa_next_free_vgpr 53
		.amdhsa_next_free_sgpr 31
		.amdhsa_reserve_vcc 1
		.amdhsa_float_round_mode_32 0
		.amdhsa_float_round_mode_16_64 0
		.amdhsa_float_denorm_mode_32 3
		.amdhsa_float_denorm_mode_16_64 3
		.amdhsa_dx10_clamp 1
		.amdhsa_ieee_mode 1
		.amdhsa_fp16_overflow 0
		.amdhsa_workgroup_processor_mode 1
		.amdhsa_memory_ordered 1
		.amdhsa_forward_progress 0
		.amdhsa_shared_vgpr_count 0
		.amdhsa_exception_fp_ieee_invalid_op 0
		.amdhsa_exception_fp_denorm_src 0
		.amdhsa_exception_fp_ieee_div_zero 0
		.amdhsa_exception_fp_ieee_overflow 0
		.amdhsa_exception_fp_ieee_underflow 0
		.amdhsa_exception_fp_ieee_inexact 0
		.amdhsa_exception_int_div_zero 0
	.end_amdhsa_kernel
	.section	.text._ZN2at6native12_GLOBAL__N_125multi_tensor_apply_kernelINS1_18TensorListMetadataILi4EEENS1_24PointwiseOpScalarFunctorIhLi4ELi3ELi3EEEJSt7dividesIhEhEEEvT_T0_DpT1_,"axG",@progbits,_ZN2at6native12_GLOBAL__N_125multi_tensor_apply_kernelINS1_18TensorListMetadataILi4EEENS1_24PointwiseOpScalarFunctorIhLi4ELi3ELi3EEEJSt7dividesIhEhEEEvT_T0_DpT1_,comdat
.Lfunc_end44:
	.size	_ZN2at6native12_GLOBAL__N_125multi_tensor_apply_kernelINS1_18TensorListMetadataILi4EEENS1_24PointwiseOpScalarFunctorIhLi4ELi3ELi3EEEJSt7dividesIhEhEEEvT_T0_DpT1_, .Lfunc_end44-_ZN2at6native12_GLOBAL__N_125multi_tensor_apply_kernelINS1_18TensorListMetadataILi4EEENS1_24PointwiseOpScalarFunctorIhLi4ELi3ELi3EEEJSt7dividesIhEhEEEvT_T0_DpT1_
                                        ; -- End function
	.section	.AMDGPU.csdata,"",@progbits
; Kernel info:
; codeLenInByte = 2372
; NumSgprs: 33
; NumVgprs: 53
; ScratchSize: 0
; MemoryBound: 0
; FloatMode: 240
; IeeeMode: 1
; LDSByteSize: 0 bytes/workgroup (compile time only)
; SGPRBlocks: 4
; VGPRBlocks: 6
; NumSGPRsForWavesPerEU: 33
; NumVGPRsForWavesPerEU: 53
; Occupancy: 16
; WaveLimiterHint : 0
; COMPUTE_PGM_RSRC2:SCRATCH_EN: 0
; COMPUTE_PGM_RSRC2:USER_SGPR: 15
; COMPUTE_PGM_RSRC2:TRAP_HANDLER: 0
; COMPUTE_PGM_RSRC2:TGID_X_EN: 1
; COMPUTE_PGM_RSRC2:TGID_Y_EN: 0
; COMPUTE_PGM_RSRC2:TGID_Z_EN: 0
; COMPUTE_PGM_RSRC2:TIDIG_COMP_CNT: 0
	.section	.text._ZN2at6native12_GLOBAL__N_125multi_tensor_apply_kernelINS1_18TensorListMetadataILi4EEENS1_24PointwiseOpScalarFunctorIaLi4ELi3ELi3EEEJSt7dividesIaEaEEEvT_T0_DpT1_,"axG",@progbits,_ZN2at6native12_GLOBAL__N_125multi_tensor_apply_kernelINS1_18TensorListMetadataILi4EEENS1_24PointwiseOpScalarFunctorIaLi4ELi3ELi3EEEJSt7dividesIaEaEEEvT_T0_DpT1_,comdat
	.globl	_ZN2at6native12_GLOBAL__N_125multi_tensor_apply_kernelINS1_18TensorListMetadataILi4EEENS1_24PointwiseOpScalarFunctorIaLi4ELi3ELi3EEEJSt7dividesIaEaEEEvT_T0_DpT1_ ; -- Begin function _ZN2at6native12_GLOBAL__N_125multi_tensor_apply_kernelINS1_18TensorListMetadataILi4EEENS1_24PointwiseOpScalarFunctorIaLi4ELi3ELi3EEEJSt7dividesIaEaEEEvT_T0_DpT1_
	.p2align	8
	.type	_ZN2at6native12_GLOBAL__N_125multi_tensor_apply_kernelINS1_18TensorListMetadataILi4EEENS1_24PointwiseOpScalarFunctorIaLi4ELi3ELi3EEEJSt7dividesIaEaEEEvT_T0_DpT1_,@function
_ZN2at6native12_GLOBAL__N_125multi_tensor_apply_kernelINS1_18TensorListMetadataILi4EEENS1_24PointwiseOpScalarFunctorIaLi4ELi3ELi3EEEJSt7dividesIaEaEEEvT_T0_DpT1_: ; @_ZN2at6native12_GLOBAL__N_125multi_tensor_apply_kernelINS1_18TensorListMetadataILi4EEENS1_24PointwiseOpScalarFunctorIaLi4ELi3ELi3EEEJSt7dividesIaEaEEEvT_T0_DpT1_
; %bb.0:
	v_mov_b32_e32 v1, s15
	s_add_u32 s2, s0, s15
	s_mul_hi_u32 s3, s15, 3
	s_mul_i32 s15, s15, 3
	s_addc_u32 s4, s1, 0
	global_load_u8 v1, v1, s[0:1] offset:1440
	s_load_b32 s24, s[0:1], 0xbe8
	s_add_u32 s2, s2, s15
	s_addc_u32 s3, s4, s3
	s_mov_b32 s11, 0
	s_load_b32 s6, s[2:3], 0x6e0
	s_waitcnt lgkmcnt(0)
	s_ashr_i32 s7, s6, 31
	s_delay_alu instid0(SALU_CYCLE_1) | instskip(SKIP_2) | instid1(VALU_DEP_1)
	s_lshl_b64 s[16:17], s[6:7], 16
	s_waitcnt vmcnt(0)
	v_readfirstlane_b32 s2, v1
	s_lshl_b32 s8, s2, 3
	s_clause 0x4
	s_load_b64 s[2:3], s[0:1], s8 offset:0x0
	s_load_b64 s[4:5], s[0:1], s8 offset:0x120
	;; [unrolled: 1-line block ×5, first 2 shown]
	s_waitcnt lgkmcnt(0)
	s_add_u32 s6, s2, s16
	s_addc_u32 s7, s3, s17
	s_add_u32 s18, s4, s16
	s_addc_u32 s19, s5, s17
	s_and_b32 s10, s18, 3
	s_delay_alu instid0(SALU_CYCLE_1)
	s_cmp_eq_u64 s[10:11], 0
	s_cselect_b32 s8, -1, 0
	s_add_u32 s20, s12, s16
	s_addc_u32 s21, s13, s17
	s_add_u32 s22, s14, s16
	s_addc_u32 s23, s15, s17
	s_or_b32 s9, s22, s20
	s_delay_alu instid0(SALU_CYCLE_1) | instskip(NEXT) | instid1(SALU_CYCLE_1)
	s_and_b32 s9, s9, 3
	s_cmp_eq_u32 s9, 0
	s_cselect_b32 s9, -1, 0
	s_delay_alu instid0(SALU_CYCLE_1) | instskip(SKIP_3) | instid1(SALU_CYCLE_1)
	s_and_b32 s25, s9, s8
	s_sub_u32 s8, s26, s16
	s_subb_u32 s9, s27, s17
	s_or_b64 s[26:27], s[26:27], s[6:7]
	s_and_b32 s10, s26, 3
	s_delay_alu instid0(SALU_CYCLE_1) | instskip(SKIP_1) | instid1(SALU_CYCLE_1)
	s_cmp_eq_u64 s[10:11], 0
	s_cselect_b32 s10, -1, 0
	s_and_b32 s10, s25, s10
	s_delay_alu instid0(SALU_CYCLE_1)
	s_and_b32 vcc_lo, exec_lo, s10
	s_mov_b32 s10, -1
	s_cbranch_vccnz .LBB45_29
; %bb.1:
	v_cmp_lt_i64_e64 s10, s[8:9], 1
	s_delay_alu instid0(VALU_DEP_1)
	s_and_b32 vcc_lo, exec_lo, s10
	s_cbranch_vccnz .LBB45_28
; %bb.2:
	s_load_b32 s10, s[0:1], 0xbfc
	v_add_co_u32 v27, s11, s16, v0
	s_delay_alu instid0(VALU_DEP_1) | instskip(SKIP_1) | instid1(VALU_DEP_3)
	v_add_co_ci_u32_e64 v28, null, s17, 0, s11
	v_cmp_gt_u64_e64 s11, 0x10000, s[8:9]
	v_add_co_u32 v1, vcc_lo, s2, v27
	s_delay_alu instid0(VALU_DEP_3)
	v_add_co_ci_u32_e32 v2, vcc_lo, s3, v28, vcc_lo
	v_add_co_u32 v3, vcc_lo, s4, v27
	v_add_co_ci_u32_e32 v4, vcc_lo, s5, v28, vcc_lo
	v_add_co_u32 v5, vcc_lo, s12, v27
	v_add_co_ci_u32_e32 v6, vcc_lo, s13, v28, vcc_lo
	v_add_co_u32 v7, vcc_lo, s14, v27
	s_waitcnt lgkmcnt(0)
	s_and_b32 s26, s10, 0xffff
	s_and_b32 s10, s11, exec_lo
	s_mul_i32 s28, s26, 3
	s_cselect_b32 s11, s9, 0
	s_cselect_b32 s10, s8, 0x10000
	s_lshl_b32 s27, s26, 1
	s_lshl_b32 s25, s26, 2
	s_add_u32 s29, s16, s28
	s_addc_u32 s30, s17, 0
	v_add_co_u32 v15, s29, s29, v0
	s_delay_alu instid0(VALU_DEP_1) | instskip(SKIP_1) | instid1(VALU_DEP_3)
	v_add_co_ci_u32_e64 v16, null, s30, 0, s29
	v_add_co_ci_u32_e32 v8, vcc_lo, s15, v28, vcc_lo
	v_add_co_u32 v9, vcc_lo, s2, v15
	s_delay_alu instid0(VALU_DEP_3)
	v_add_co_ci_u32_e32 v10, vcc_lo, s3, v16, vcc_lo
	v_add_co_u32 v11, vcc_lo, s4, v15
	v_add_co_ci_u32_e32 v12, vcc_lo, s5, v16, vcc_lo
	s_add_u32 s16, s16, s27
	v_add_co_u32 v13, vcc_lo, s12, v15
	s_addc_u32 s17, s17, 0
	v_add_co_u32 v25, s16, s16, v0
	v_add_co_ci_u32_e32 v14, vcc_lo, s13, v16, vcc_lo
	v_add_co_u32 v15, vcc_lo, s14, v15
	v_add_co_ci_u32_e64 v26, null, s17, 0, s16
	v_add_co_ci_u32_e32 v16, vcc_lo, s15, v16, vcc_lo
	v_add_co_u32 v19, vcc_lo, s2, v25
	s_delay_alu instid0(VALU_DEP_3)
	v_add_co_ci_u32_e32 v20, vcc_lo, s3, v26, vcc_lo
	v_add_co_u32 v21, vcc_lo, s4, v25
	v_add_co_ci_u32_e32 v22, vcc_lo, s5, v26, vcc_lo
	v_add_co_u32 v23, vcc_lo, s12, v25
	;; [unrolled: 2-line block ×4, first 2 shown]
	v_add_co_ci_u32_e32 v36, vcc_lo, 0, v28, vcc_lo
	v_add_co_u32 v17, s16, s28, v0
	s_delay_alu instid0(VALU_DEP_3) | instskip(NEXT) | instid1(VALU_DEP_3)
	v_add_co_u32 v29, vcc_lo, s2, v35
	v_add_co_ci_u32_e32 v30, vcc_lo, s3, v36, vcc_lo
	v_add_co_u32 v31, vcc_lo, s4, v35
	v_add_co_ci_u32_e32 v32, vcc_lo, s5, v36, vcc_lo
	;; [unrolled: 2-line block ×3, first 2 shown]
	v_add_co_ci_u32_e64 v18, null, 0, 0, s16
	v_add_co_u32 v27, s16, s27, v0
	v_add_co_u32 v35, vcc_lo, s14, v35
	v_add_co_u32 v37, s2, v0, s26
	v_add_co_ci_u32_e64 v28, null, 0, 0, s16
	v_add_co_ci_u32_e32 v36, vcc_lo, s15, v36, vcc_lo
	v_add_co_ci_u32_e64 v38, null, 0, 0, s2
	s_mov_b64 s[12:13], 0
	s_lshr_b32 s14, s24, 16
	s_branch .LBB45_4
.LBB45_3:                               ;   in Loop: Header=BB45_4 Depth=1
	s_or_b32 exec_lo, exec_lo, s2
	s_add_u32 s12, s12, s25
	s_addc_u32 s13, s13, 0
	s_delay_alu instid0(SALU_CYCLE_1) | instskip(SKIP_1) | instid1(VALU_DEP_1)
	v_cmp_lt_i64_e64 s2, s[12:13], s[8:9]
	v_cmp_gt_u64_e64 s3, 0x10000, s[12:13]
	s_and_b32 s2, s2, s3
	s_delay_alu instid0(SALU_CYCLE_1)
	s_and_b32 vcc_lo, exec_lo, s2
	s_cbranch_vccz .LBB45_28
.LBB45_4:                               ; =>This Inner Loop Header: Depth=1
	s_waitcnt vmcnt(1)
	v_add_co_u32 v39, s2, v0, s12
	s_delay_alu instid0(VALU_DEP_1) | instskip(SKIP_2) | instid1(VALU_DEP_2)
	v_add_co_ci_u32_e64 v40, null, 0, s13, s2
	s_waitcnt vmcnt(0)
	v_mov_b32_e32 v42, 0
	v_cmp_gt_u64_e32 vcc_lo, s[10:11], v[39:40]
	v_mov_b32_e32 v40, 0
	s_and_saveexec_b32 s3, vcc_lo
	s_cbranch_execz .LBB45_6
; %bb.5:                                ;   in Loop: Header=BB45_4 Depth=1
	v_add_co_u32 v39, s2, v1, s12
	s_delay_alu instid0(VALU_DEP_1) | instskip(SKIP_1) | instid1(VALU_DEP_1)
	v_add_co_ci_u32_e64 v40, s2, s13, v2, s2
	v_add_co_u32 v41, s2, v3, s12
	v_add_co_ci_u32_e64 v42, s2, s13, v4, s2
	global_load_u8 v40, v[39:40], off
	global_load_u8 v42, v[41:42], off
.LBB45_6:                               ;   in Loop: Header=BB45_4 Depth=1
	s_or_b32 exec_lo, exec_lo, s3
	v_mov_b32_e32 v39, 0
	v_mov_b32_e32 v45, 0
	s_and_saveexec_b32 s3, vcc_lo
	s_cbranch_execz .LBB45_8
; %bb.7:                                ;   in Loop: Header=BB45_4 Depth=1
	v_add_co_u32 v43, s2, v5, s12
	s_delay_alu instid0(VALU_DEP_1)
	v_add_co_ci_u32_e64 v44, s2, s13, v6, s2
	global_load_u8 v45, v[43:44], off
.LBB45_8:                               ;   in Loop: Header=BB45_4 Depth=1
	s_or_b32 exec_lo, exec_lo, s3
	v_add_co_u32 v43, s2, v37, s12
	s_delay_alu instid0(VALU_DEP_1) | instskip(NEXT) | instid1(VALU_DEP_1)
	v_add_co_ci_u32_e64 v44, s2, s13, v38, s2
	v_cmp_gt_u64_e64 s2, s[10:11], v[43:44]
	v_mov_b32_e32 v44, 0
	s_delay_alu instid0(VALU_DEP_2)
	s_and_saveexec_b32 s4, s2
	s_cbranch_execz .LBB45_10
; %bb.9:                                ;   in Loop: Header=BB45_4 Depth=1
	v_add_co_u32 v43, s3, v29, s12
	s_delay_alu instid0(VALU_DEP_1) | instskip(SKIP_1) | instid1(VALU_DEP_1)
	v_add_co_ci_u32_e64 v44, s3, s13, v30, s3
	v_add_co_u32 v46, s3, v31, s12
	v_add_co_ci_u32_e64 v47, s3, s13, v32, s3
	global_load_u8 v39, v[43:44], off
	global_load_u8 v44, v[46:47], off
.LBB45_10:                              ;   in Loop: Header=BB45_4 Depth=1
	s_or_b32 exec_lo, exec_lo, s4
	v_mov_b32_e32 v41, 0
	v_mov_b32_e32 v47, 0
	s_and_saveexec_b32 s4, s2
	s_cbranch_execz .LBB45_12
; %bb.11:                               ;   in Loop: Header=BB45_4 Depth=1
	v_add_co_u32 v46, s3, v33, s12
	s_delay_alu instid0(VALU_DEP_1)
	v_add_co_ci_u32_e64 v47, s3, s13, v34, s3
	global_load_u8 v47, v[46:47], off
.LBB45_12:                              ;   in Loop: Header=BB45_4 Depth=1
	s_or_b32 exec_lo, exec_lo, s4
	v_add_co_u32 v48, s3, v27, s12
	s_delay_alu instid0(VALU_DEP_1) | instskip(SKIP_1) | instid1(VALU_DEP_2)
	v_add_co_ci_u32_e64 v49, s3, s13, v28, s3
	v_mov_b32_e32 v46, 0
	v_cmp_gt_u64_e64 s3, s[10:11], v[48:49]
	s_delay_alu instid0(VALU_DEP_1)
	s_and_saveexec_b32 s5, s3
	s_cbranch_execz .LBB45_14
; %bb.13:                               ;   in Loop: Header=BB45_4 Depth=1
	v_add_co_u32 v48, s4, v19, s12
	s_delay_alu instid0(VALU_DEP_1) | instskip(SKIP_1) | instid1(VALU_DEP_1)
	v_add_co_ci_u32_e64 v49, s4, s13, v20, s4
	v_add_co_u32 v50, s4, v21, s12
	v_add_co_ci_u32_e64 v51, s4, s13, v22, s4
	global_load_u8 v41, v[48:49], off
	global_load_u8 v46, v[50:51], off
.LBB45_14:                              ;   in Loop: Header=BB45_4 Depth=1
	s_or_b32 exec_lo, exec_lo, s5
	v_mov_b32_e32 v43, 0
	v_mov_b32_e32 v49, 0
	s_and_saveexec_b32 s5, s3
	s_cbranch_execz .LBB45_16
; %bb.15:                               ;   in Loop: Header=BB45_4 Depth=1
	v_add_co_u32 v48, s4, v23, s12
	s_delay_alu instid0(VALU_DEP_1)
	v_add_co_ci_u32_e64 v49, s4, s13, v24, s4
	global_load_u8 v49, v[48:49], off
.LBB45_16:                              ;   in Loop: Header=BB45_4 Depth=1
	s_or_b32 exec_lo, exec_lo, s5
	v_add_co_u32 v50, s4, v17, s12
	s_delay_alu instid0(VALU_DEP_1) | instskip(SKIP_1) | instid1(VALU_DEP_2)
	v_add_co_ci_u32_e64 v51, s4, s13, v18, s4
	v_mov_b32_e32 v48, 0
	v_cmp_gt_u64_e64 s4, s[10:11], v[50:51]
	s_delay_alu instid0(VALU_DEP_1)
	s_and_saveexec_b32 s15, s4
	s_cbranch_execnz .LBB45_22
; %bb.17:                               ;   in Loop: Header=BB45_4 Depth=1
	s_or_b32 exec_lo, exec_lo, s15
	v_mov_b32_e32 v50, 0
	s_and_saveexec_b32 s15, s4
	s_cbranch_execnz .LBB45_23
.LBB45_18:                              ;   in Loop: Header=BB45_4 Depth=1
	s_or_b32 exec_lo, exec_lo, s15
	s_and_saveexec_b32 s5, vcc_lo
	s_cbranch_execnz .LBB45_24
.LBB45_19:                              ;   in Loop: Header=BB45_4 Depth=1
	s_or_b32 exec_lo, exec_lo, s5
	s_and_saveexec_b32 s5, s2
	s_cbranch_execnz .LBB45_25
.LBB45_20:                              ;   in Loop: Header=BB45_4 Depth=1
	s_or_b32 exec_lo, exec_lo, s5
	s_and_saveexec_b32 s2, s3
	s_cbranch_execnz .LBB45_26
.LBB45_21:                              ;   in Loop: Header=BB45_4 Depth=1
	s_or_b32 exec_lo, exec_lo, s2
	s_and_saveexec_b32 s2, s4
	s_cbranch_execz .LBB45_3
	s_branch .LBB45_27
.LBB45_22:                              ;   in Loop: Header=BB45_4 Depth=1
	v_add_co_u32 v50, s5, v9, s12
	s_delay_alu instid0(VALU_DEP_1) | instskip(SKIP_1) | instid1(VALU_DEP_1)
	v_add_co_ci_u32_e64 v51, s5, s13, v10, s5
	v_add_co_u32 v52, s5, v11, s12
	v_add_co_ci_u32_e64 v53, s5, s13, v12, s5
	global_load_u8 v43, v[50:51], off
	global_load_u8 v48, v[52:53], off
	s_or_b32 exec_lo, exec_lo, s15
	v_mov_b32_e32 v50, 0
	s_and_saveexec_b32 s15, s4
	s_cbranch_execz .LBB45_18
.LBB45_23:                              ;   in Loop: Header=BB45_4 Depth=1
	v_add_co_u32 v50, s5, v13, s12
	s_delay_alu instid0(VALU_DEP_1)
	v_add_co_ci_u32_e64 v51, s5, s13, v14, s5
	global_load_u8 v50, v[50:51], off
	s_or_b32 exec_lo, exec_lo, s15
	s_and_saveexec_b32 s5, vcc_lo
	s_cbranch_execz .LBB45_19
.LBB45_24:                              ;   in Loop: Header=BB45_4 Depth=1
	s_waitcnt vmcnt(0)
	v_bfe_i32 v45, v45, 0, 8
	v_bfe_i32 v42, v42, 0, 8
	s_delay_alu instid0(VALU_DEP_2) | instskip(NEXT) | instid1(VALU_DEP_2)
	v_cvt_f32_i32_e32 v51, v45
	v_cvt_f32_i32_e32 v53, v42
	v_xor_b32_e32 v42, v42, v45
	s_delay_alu instid0(VALU_DEP_3) | instskip(NEXT) | instid1(VALU_DEP_1)
	v_rcp_iflag_f32_e32 v52, v51
	v_ashrrev_i32_e32 v42, 30, v42
	s_delay_alu instid0(VALU_DEP_1) | instskip(SKIP_2) | instid1(VALU_DEP_1)
	v_or_b32_e32 v42, 1, v42
	s_waitcnt_depctr 0xfff
	v_mul_f32_e32 v52, v53, v52
	v_trunc_f32_e32 v45, v52
	s_delay_alu instid0(VALU_DEP_1) | instskip(SKIP_1) | instid1(VALU_DEP_2)
	v_fma_f32 v52, -v45, v51, v53
	v_cvt_i32_f32_e32 v45, v45
	v_cmp_ge_f32_e64 vcc_lo, |v52|, |v51|
	v_cndmask_b32_e32 v42, 0, v42, vcc_lo
	v_add_co_u32 v51, vcc_lo, v7, s12
	v_add_co_ci_u32_e32 v52, vcc_lo, s13, v8, vcc_lo
	s_delay_alu instid0(VALU_DEP_3) | instskip(NEXT) | instid1(VALU_DEP_1)
	v_add_nc_u32_e32 v42, v45, v42
	v_mad_u16 v40, v42, s14, v40
	global_store_b8 v[51:52], v40, off
	s_or_b32 exec_lo, exec_lo, s5
	s_and_saveexec_b32 s5, s2
	s_cbranch_execz .LBB45_20
.LBB45_25:                              ;   in Loop: Header=BB45_4 Depth=1
	s_waitcnt vmcnt(0)
	v_bfe_i32 v40, v47, 0, 8
	v_bfe_i32 v44, v44, 0, 8
	s_delay_alu instid0(VALU_DEP_2) | instskip(NEXT) | instid1(VALU_DEP_2)
	v_cvt_f32_i32_e32 v42, v40
	v_xor_b32_e32 v40, v44, v40
	v_cvt_f32_i32_e32 v47, v44
	s_delay_alu instid0(VALU_DEP_3) | instskip(NEXT) | instid1(VALU_DEP_2)
	v_rcp_iflag_f32_e32 v45, v42
	v_ashrrev_i32_e32 v40, 30, v40
	s_delay_alu instid0(VALU_DEP_1) | instskip(SKIP_2) | instid1(VALU_DEP_1)
	v_or_b32_e32 v40, 1, v40
	s_waitcnt_depctr 0xfff
	v_mul_f32_e32 v45, v47, v45
	v_trunc_f32_e32 v44, v45
	s_delay_alu instid0(VALU_DEP_1) | instskip(SKIP_1) | instid1(VALU_DEP_2)
	v_fma_f32 v45, -v44, v42, v47
	v_cvt_i32_f32_e32 v44, v44
	v_cmp_ge_f32_e64 vcc_lo, |v45|, |v42|
	v_cndmask_b32_e32 v40, 0, v40, vcc_lo
	s_delay_alu instid0(VALU_DEP_1) | instskip(NEXT) | instid1(VALU_DEP_1)
	v_add_nc_u32_e32 v40, v44, v40
	v_mad_u16 v42, v40, s14, v39
	v_add_co_u32 v39, vcc_lo, v35, s12
	v_add_co_ci_u32_e32 v40, vcc_lo, s13, v36, vcc_lo
	global_store_b8 v[39:40], v42, off
	s_or_b32 exec_lo, exec_lo, s5
	s_and_saveexec_b32 s2, s3
	s_cbranch_execz .LBB45_21
.LBB45_26:                              ;   in Loop: Header=BB45_4 Depth=1
	s_waitcnt vmcnt(0)
	v_bfe_i32 v39, v49, 0, 8
	v_bfe_i32 v42, v46, 0, 8
	s_delay_alu instid0(VALU_DEP_2) | instskip(NEXT) | instid1(VALU_DEP_2)
	v_cvt_f32_i32_e32 v40, v39
	v_xor_b32_e32 v39, v42, v39
	v_cvt_f32_i32_e32 v45, v42
	s_delay_alu instid0(VALU_DEP_3) | instskip(NEXT) | instid1(VALU_DEP_2)
	v_rcp_iflag_f32_e32 v44, v40
	v_ashrrev_i32_e32 v39, 30, v39
	s_delay_alu instid0(VALU_DEP_1) | instskip(SKIP_2) | instid1(VALU_DEP_1)
	v_or_b32_e32 v39, 1, v39
	s_waitcnt_depctr 0xfff
	v_mul_f32_e32 v44, v45, v44
	v_trunc_f32_e32 v42, v44
	s_delay_alu instid0(VALU_DEP_1) | instskip(SKIP_1) | instid1(VALU_DEP_2)
	v_fma_f32 v44, -v42, v40, v45
	v_cvt_i32_f32_e32 v42, v42
	v_cmp_ge_f32_e64 vcc_lo, |v44|, |v40|
	v_cndmask_b32_e32 v39, 0, v39, vcc_lo
	s_delay_alu instid0(VALU_DEP_1) | instskip(NEXT) | instid1(VALU_DEP_1)
	v_add_nc_u32_e32 v39, v42, v39
	v_mad_u16 v41, v39, s14, v41
	v_add_co_u32 v39, vcc_lo, v25, s12
	v_add_co_ci_u32_e32 v40, vcc_lo, s13, v26, vcc_lo
	global_store_b8 v[39:40], v41, off
	s_or_b32 exec_lo, exec_lo, s2
	s_and_saveexec_b32 s2, s4
	s_cbranch_execz .LBB45_3
.LBB45_27:                              ;   in Loop: Header=BB45_4 Depth=1
	s_waitcnt vmcnt(0)
	v_bfe_i32 v39, v50, 0, 8
	v_bfe_i32 v41, v48, 0, 8
	s_delay_alu instid0(VALU_DEP_2) | instskip(NEXT) | instid1(VALU_DEP_2)
	v_cvt_f32_i32_e32 v40, v39
	v_xor_b32_e32 v39, v41, v39
	v_cvt_f32_i32_e32 v44, v41
	s_delay_alu instid0(VALU_DEP_3) | instskip(NEXT) | instid1(VALU_DEP_2)
	v_rcp_iflag_f32_e32 v42, v40
	v_ashrrev_i32_e32 v39, 30, v39
	s_delay_alu instid0(VALU_DEP_1) | instskip(SKIP_2) | instid1(VALU_DEP_1)
	v_or_b32_e32 v39, 1, v39
	s_waitcnt_depctr 0xfff
	v_mul_f32_e32 v42, v44, v42
	v_trunc_f32_e32 v41, v42
	s_delay_alu instid0(VALU_DEP_1) | instskip(SKIP_1) | instid1(VALU_DEP_2)
	v_fma_f32 v42, -v41, v40, v44
	v_cvt_i32_f32_e32 v41, v41
	v_cmp_ge_f32_e64 vcc_lo, |v42|, |v40|
	v_cndmask_b32_e32 v39, 0, v39, vcc_lo
	s_delay_alu instid0(VALU_DEP_1) | instskip(NEXT) | instid1(VALU_DEP_1)
	v_add_nc_u32_e32 v39, v41, v39
	v_mad_u16 v41, v39, s14, v43
	v_add_co_u32 v39, vcc_lo, v15, s12
	v_add_co_ci_u32_e32 v40, vcc_lo, s13, v16, vcc_lo
	global_store_b8 v[39:40], v41, off
	s_branch .LBB45_3
.LBB45_28:
	s_mov_b32 s10, 0
.LBB45_29:
	s_delay_alu instid0(SALU_CYCLE_1)
	s_and_not1_b32 vcc_lo, exec_lo, s10
	s_cbranch_vccnz .LBB45_33
; %bb.30:
	v_dual_mov_b32 v1, 0 :: v_dual_lshlrev_b32 v0, 2, v0
	s_mov_b32 s2, exec_lo
	s_delay_alu instid0(VALU_DEP_1)
	v_cmpx_gt_i64_e64 s[8:9], v[0:1]
	s_cbranch_execz .LBB45_33
; %bb.31:
	s_load_b32 s0, s[0:1], 0xbfc
	s_mov_b32 s1, 0
	s_lshr_b32 s3, s24, 16
	s_waitcnt lgkmcnt(0)
	s_and_b32 s0, s0, 0xffff
	s_delay_alu instid0(SALU_CYCLE_1)
	s_lshl_b32 s2, s0, 2
.LBB45_32:                              ; =>This Inner Loop Header: Depth=1
	v_add_co_u32 v2, vcc_lo, s18, v0
	v_add_co_ci_u32_e32 v3, vcc_lo, s19, v1, vcc_lo
	v_add_co_u32 v4, vcc_lo, s20, v0
	v_add_co_ci_u32_e32 v5, vcc_lo, s21, v1, vcc_lo
	;; [unrolled: 2-line block ×3, first 2 shown]
	global_load_b32 v8, v[2:3], off
	global_load_b32 v4, v[4:5], off
	;; [unrolled: 1-line block ×3, first 2 shown]
	v_add_co_u32 v2, vcc_lo, s22, v0
	v_add_co_ci_u32_e32 v3, vcc_lo, s23, v1, vcc_lo
	v_add_co_u32 v0, vcc_lo, s2, v0
	v_add_co_ci_u32_e32 v1, vcc_lo, 0, v1, vcc_lo
	s_delay_alu instid0(VALU_DEP_1)
	v_cmp_le_i64_e32 vcc_lo, s[8:9], v[0:1]
	s_waitcnt vmcnt(2)
	v_bfe_i32 v10, v8, 8, 8
	s_waitcnt vmcnt(1)
	v_bfe_i32 v11, v4, 8, 8
	v_bfe_i32 v13, v8, 16, 8
	;; [unrolled: 1-line block ×5, first 2 shown]
	v_xor_b32_e32 v17, v10, v11
	v_cvt_f32_i32_e32 v11, v11
	v_xor_b32_e32 v18, v13, v14
	v_cvt_f32_i32_e32 v14, v14
	v_ashrrev_i32_e32 v8, 24, v8
	v_ashrrev_i32_e32 v4, 24, v4
	v_rcp_iflag_f32_e32 v21, v11
	v_xor_b32_e32 v16, v6, v7
	v_cvt_f32_i32_e32 v7, v7
	v_cvt_f32_i32_e32 v10, v10
	v_rcp_iflag_f32_e32 v22, v14
	v_cvt_f32_i32_e32 v13, v13
	v_xor_b32_e32 v19, v8, v4
	v_cvt_f32_i32_e32 v4, v4
	v_rcp_iflag_f32_e32 v20, v7
	v_cvt_f32_i32_e32 v6, v6
	v_mul_f32_e32 v21, v10, v21
	v_cvt_f32_i32_e32 v8, v8
	v_rcp_iflag_f32_e32 v23, v4
	v_ashrrev_i32_e32 v17, 30, v17
	v_mul_f32_e32 v22, v13, v22
	v_trunc_f32_e32 v21, v21
	v_ashrrev_i32_e32 v18, 30, v18
	v_ashrrev_i32_e32 v16, 30, v16
	v_mul_f32_e32 v20, v6, v20
	v_trunc_f32_e32 v22, v22
	v_fma_f32 v10, -v21, v11, v10
	v_or_b32_e32 v17, 1, v17
	v_mul_f32_e32 v23, v8, v23
	v_trunc_f32_e32 v20, v20
	v_fma_f32 v13, -v22, v14, v13
	v_cmp_ge_f32_e64 s0, |v10|, |v11|
	v_or_b32_e32 v18, 1, v18
	v_trunc_f32_e32 v23, v23
	v_fma_f32 v6, -v20, v7, v6
	v_ashrrev_i32_e32 v19, 30, v19
	v_cndmask_b32_e64 v10, 0, v17, s0
	v_cmp_ge_f32_e64 s0, |v13|, |v14|
	v_or_b32_e32 v16, 1, v16
	v_fma_f32 v8, -v23, v4, v8
	v_or_b32_e32 v19, 1, v19
	v_cvt_i32_f32_e32 v21, v21
	v_cndmask_b32_e64 v11, 0, v18, s0
	v_cmp_ge_f32_e64 s0, |v6|, |v7|
	v_cvt_i32_f32_e32 v22, v22
	s_waitcnt vmcnt(0)
	v_lshrrev_b32_e32 v9, 8, v5
	v_lshrrev_b32_e32 v12, 16, v5
	v_cvt_i32_f32_e32 v20, v20
	v_cndmask_b32_e64 v6, 0, v16, s0
	v_cmp_ge_f32_e64 s0, |v8|, |v4|
	v_cvt_i32_f32_e32 v23, v23
	v_add_nc_u32_e32 v7, v21, v10
	v_add_nc_u32_e32 v8, v22, v11
	v_lshrrev_b32_e32 v15, 24, v5
	v_cndmask_b32_e64 v4, 0, v19, s0
	v_add_nc_u32_e32 v6, v20, v6
	v_mad_u16 v7, v7, s3, v9
	v_mad_u16 v8, v8, s3, v12
	v_cmp_lt_u64_e64 s0, 0xffff, v[0:1]
	v_add_nc_u32_e32 v4, v23, v4
	v_mad_u16 v5, v6, s3, v5
	v_and_b32_e32 v6, 0xff, v7
	v_and_b32_e32 v7, 0xff, v8
	s_delay_alu instid0(VALU_DEP_4) | instskip(SKIP_1) | instid1(VALU_DEP_3)
	v_mad_u16 v4, v4, s3, v15
	s_or_b32 s0, vcc_lo, s0
	v_perm_b32 v5, v6, v5, 0x6050400
	s_delay_alu instid0(VALU_DEP_3) | instskip(SKIP_3) | instid1(VALU_DEP_1)
	v_lshlrev_b32_e32 v6, 16, v7
	s_and_b32 s0, exec_lo, s0
	v_lshlrev_b32_e32 v4, 24, v4
	s_or_b32 s1, s0, s1
	v_or3_b32 v4, v5, v6, v4
	global_store_b32 v[2:3], v4, off
	s_and_not1_b32 exec_lo, exec_lo, s1
	s_cbranch_execnz .LBB45_32
.LBB45_33:
	s_nop 0
	s_sendmsg sendmsg(MSG_DEALLOC_VGPRS)
	s_endpgm
	.section	.rodata,"a",@progbits
	.p2align	6, 0x0
	.amdhsa_kernel _ZN2at6native12_GLOBAL__N_125multi_tensor_apply_kernelINS1_18TensorListMetadataILi4EEENS1_24PointwiseOpScalarFunctorIaLi4ELi3ELi3EEEJSt7dividesIaEaEEEvT_T0_DpT1_
		.amdhsa_group_segment_fixed_size 0
		.amdhsa_private_segment_fixed_size 0
		.amdhsa_kernarg_size 3312
		.amdhsa_user_sgpr_count 15
		.amdhsa_user_sgpr_dispatch_ptr 0
		.amdhsa_user_sgpr_queue_ptr 0
		.amdhsa_user_sgpr_kernarg_segment_ptr 1
		.amdhsa_user_sgpr_dispatch_id 0
		.amdhsa_user_sgpr_private_segment_size 0
		.amdhsa_wavefront_size32 1
		.amdhsa_uses_dynamic_stack 0
		.amdhsa_enable_private_segment 0
		.amdhsa_system_sgpr_workgroup_id_x 1
		.amdhsa_system_sgpr_workgroup_id_y 0
		.amdhsa_system_sgpr_workgroup_id_z 0
		.amdhsa_system_sgpr_workgroup_info 0
		.amdhsa_system_vgpr_workitem_id 0
		.amdhsa_next_free_vgpr 54
		.amdhsa_next_free_sgpr 31
		.amdhsa_reserve_vcc 1
		.amdhsa_float_round_mode_32 0
		.amdhsa_float_round_mode_16_64 0
		.amdhsa_float_denorm_mode_32 3
		.amdhsa_float_denorm_mode_16_64 3
		.amdhsa_dx10_clamp 1
		.amdhsa_ieee_mode 1
		.amdhsa_fp16_overflow 0
		.amdhsa_workgroup_processor_mode 1
		.amdhsa_memory_ordered 1
		.amdhsa_forward_progress 0
		.amdhsa_shared_vgpr_count 0
		.amdhsa_exception_fp_ieee_invalid_op 0
		.amdhsa_exception_fp_denorm_src 0
		.amdhsa_exception_fp_ieee_div_zero 0
		.amdhsa_exception_fp_ieee_overflow 0
		.amdhsa_exception_fp_ieee_underflow 0
		.amdhsa_exception_fp_ieee_inexact 0
		.amdhsa_exception_int_div_zero 0
	.end_amdhsa_kernel
	.section	.text._ZN2at6native12_GLOBAL__N_125multi_tensor_apply_kernelINS1_18TensorListMetadataILi4EEENS1_24PointwiseOpScalarFunctorIaLi4ELi3ELi3EEEJSt7dividesIaEaEEEvT_T0_DpT1_,"axG",@progbits,_ZN2at6native12_GLOBAL__N_125multi_tensor_apply_kernelINS1_18TensorListMetadataILi4EEENS1_24PointwiseOpScalarFunctorIaLi4ELi3ELi3EEEJSt7dividesIaEaEEEvT_T0_DpT1_,comdat
.Lfunc_end45:
	.size	_ZN2at6native12_GLOBAL__N_125multi_tensor_apply_kernelINS1_18TensorListMetadataILi4EEENS1_24PointwiseOpScalarFunctorIaLi4ELi3ELi3EEEJSt7dividesIaEaEEEvT_T0_DpT1_, .Lfunc_end45-_ZN2at6native12_GLOBAL__N_125multi_tensor_apply_kernelINS1_18TensorListMetadataILi4EEENS1_24PointwiseOpScalarFunctorIaLi4ELi3ELi3EEEJSt7dividesIaEaEEEvT_T0_DpT1_
                                        ; -- End function
	.section	.AMDGPU.csdata,"",@progbits
; Kernel info:
; codeLenInByte = 2620
; NumSgprs: 33
; NumVgprs: 54
; ScratchSize: 0
; MemoryBound: 0
; FloatMode: 240
; IeeeMode: 1
; LDSByteSize: 0 bytes/workgroup (compile time only)
; SGPRBlocks: 4
; VGPRBlocks: 6
; NumSGPRsForWavesPerEU: 33
; NumVGPRsForWavesPerEU: 54
; Occupancy: 16
; WaveLimiterHint : 0
; COMPUTE_PGM_RSRC2:SCRATCH_EN: 0
; COMPUTE_PGM_RSRC2:USER_SGPR: 15
; COMPUTE_PGM_RSRC2:TRAP_HANDLER: 0
; COMPUTE_PGM_RSRC2:TGID_X_EN: 1
; COMPUTE_PGM_RSRC2:TGID_Y_EN: 0
; COMPUTE_PGM_RSRC2:TGID_Z_EN: 0
; COMPUTE_PGM_RSRC2:TIDIG_COMP_CNT: 0
	.section	.text._ZN2at6native12_GLOBAL__N_125multi_tensor_apply_kernelINS1_18TensorListMetadataILi4EEENS1_24PointwiseOpScalarFunctorIiLi4ELi3ELi3EEEJSt7dividesIiEiEEEvT_T0_DpT1_,"axG",@progbits,_ZN2at6native12_GLOBAL__N_125multi_tensor_apply_kernelINS1_18TensorListMetadataILi4EEENS1_24PointwiseOpScalarFunctorIiLi4ELi3ELi3EEEJSt7dividesIiEiEEEvT_T0_DpT1_,comdat
	.globl	_ZN2at6native12_GLOBAL__N_125multi_tensor_apply_kernelINS1_18TensorListMetadataILi4EEENS1_24PointwiseOpScalarFunctorIiLi4ELi3ELi3EEEJSt7dividesIiEiEEEvT_T0_DpT1_ ; -- Begin function _ZN2at6native12_GLOBAL__N_125multi_tensor_apply_kernelINS1_18TensorListMetadataILi4EEENS1_24PointwiseOpScalarFunctorIiLi4ELi3ELi3EEEJSt7dividesIiEiEEEvT_T0_DpT1_
	.p2align	8
	.type	_ZN2at6native12_GLOBAL__N_125multi_tensor_apply_kernelINS1_18TensorListMetadataILi4EEENS1_24PointwiseOpScalarFunctorIiLi4ELi3ELi3EEEJSt7dividesIiEiEEEvT_T0_DpT1_,@function
_ZN2at6native12_GLOBAL__N_125multi_tensor_apply_kernelINS1_18TensorListMetadataILi4EEENS1_24PointwiseOpScalarFunctorIiLi4ELi3ELi3EEEJSt7dividesIiEiEEEvT_T0_DpT1_: ; @_ZN2at6native12_GLOBAL__N_125multi_tensor_apply_kernelINS1_18TensorListMetadataILi4EEENS1_24PointwiseOpScalarFunctorIiLi4ELi3ELi3EEEJSt7dividesIiEiEEEvT_T0_DpT1_
; %bb.0:
	v_mov_b32_e32 v1, s15
	s_add_u32 s2, s0, s15
	s_mul_hi_u32 s3, s15, 3
	s_mul_i32 s15, s15, 3
	s_addc_u32 s4, s1, 0
	global_load_u8 v1, v1, s[0:1] offset:1440
	s_add_u32 s2, s2, s15
	s_addc_u32 s3, s4, s3
	s_mov_b32 s11, 0
	s_load_b32 s6, s[2:3], 0x6e0
	s_mov_b32 s21, s11
	s_waitcnt lgkmcnt(0)
	s_ashr_i32 s7, s6, 31
	s_delay_alu instid0(SALU_CYCLE_1) | instskip(SKIP_2) | instid1(VALU_DEP_1)
	s_lshl_b64 s[8:9], s[6:7], 18
	s_waitcnt vmcnt(0)
	v_readfirstlane_b32 s2, v1
	s_lshl_b32 s10, s2, 3
	s_clause 0x4
	s_load_b64 s[2:3], s[0:1], s10 offset:0x0
	s_load_b64 s[4:5], s[0:1], s10 offset:0x120
	;; [unrolled: 1-line block ×5, first 2 shown]
	s_waitcnt lgkmcnt(0)
	s_add_u32 s16, s2, s8
	s_addc_u32 s17, s3, s9
	s_and_b32 s10, s16, 15
	s_add_u32 s18, s4, s8
	s_addc_u32 s19, s5, s9
	s_and_b32 s20, s18, 15
	s_delay_alu instid0(SALU_CYCLE_1)
	s_cmp_eq_u64 s[20:21], 0
	s_cselect_b32 s25, -1, 0
	s_add_u32 s20, s12, s8
	s_addc_u32 s21, s13, s9
	s_add_u32 s22, s14, s8
	s_addc_u32 s23, s15, s9
	s_or_b32 s24, s22, s20
	s_delay_alu instid0(SALU_CYCLE_1) | instskip(NEXT) | instid1(SALU_CYCLE_1)
	s_and_b32 s24, s24, 15
	s_cmp_eq_u32 s24, 0
	s_load_b32 s24, s[0:1], 0xbec
	s_cselect_b32 s28, -1, 0
	s_lshl_b64 s[6:7], s[6:7], 16
	s_and_b32 s25, s28, s25
	s_sub_u32 s6, s26, s6
	s_subb_u32 s7, s27, s7
	s_and_b32 s26, s26, 3
	s_mov_b32 s27, s11
	s_delay_alu instid0(SALU_CYCLE_1) | instskip(NEXT) | instid1(SALU_CYCLE_1)
	s_or_b64 s[10:11], s[10:11], s[26:27]
	s_cmp_eq_u64 s[10:11], 0
	s_cselect_b32 s10, -1, 0
	s_delay_alu instid0(SALU_CYCLE_1) | instskip(NEXT) | instid1(SALU_CYCLE_1)
	s_and_b32 s10, s25, s10
	s_and_b32 vcc_lo, exec_lo, s10
	s_mov_b32 s10, -1
	s_cbranch_vccnz .LBB46_29
; %bb.1:
	v_cmp_lt_i64_e64 s10, s[6:7], 1
	s_delay_alu instid0(VALU_DEP_1)
	s_and_b32 vcc_lo, exec_lo, s10
	s_cbranch_vccnz .LBB46_28
; %bb.2:
	s_load_b32 s10, s[0:1], 0xbfc
	v_dual_mov_b32 v2, 0 :: v_dual_lshlrev_b32 v1, 2, v0
	v_cmp_gt_u64_e64 s11, 0x10000, s[6:7]
	s_delay_alu instid0(VALU_DEP_2) | instskip(NEXT) | instid1(VALU_DEP_1)
	v_add_co_u32 v5, s25, s2, v1
	v_add_co_ci_u32_e64 v6, null, s3, 0, s25
	v_add_co_u32 v7, s25, s4, v1
	s_delay_alu instid0(VALU_DEP_1) | instskip(SKIP_1) | instid1(VALU_DEP_1)
	v_add_co_ci_u32_e64 v8, null, s5, 0, s25
	v_add_co_u32 v9, s25, s12, v1
	v_add_co_ci_u32_e64 v10, null, s13, 0, s25
	s_waitcnt lgkmcnt(0)
	s_and_b32 s25, s10, 0xffff
	v_add_co_u32 v11, s10, s14, v1
	v_mad_u64_u32 v[3:4], null, s25, 12, v[1:2]
	v_add_co_ci_u32_e64 v12, null, s15, 0, s10
	s_and_b32 s10, s11, exec_lo
	s_cselect_b32 s11, s7, 0
	s_cselect_b32 s10, s6, 0x10000
	s_lshl_b32 s28, s25, 3
	s_delay_alu instid0(VALU_DEP_2) | instskip(NEXT) | instid1(VALU_DEP_3)
	v_add_co_u32 v13, vcc_lo, s2, v3
	v_add_co_ci_u32_e32 v14, vcc_lo, s3, v4, vcc_lo
	v_add_co_u32 v15, vcc_lo, s4, v3
	v_add_co_ci_u32_e32 v16, vcc_lo, s5, v4, vcc_lo
	v_add_co_u32 v17, vcc_lo, s12, v3
	v_add_co_u32 v1, s28, s28, v1
	v_add_co_ci_u32_e32 v18, vcc_lo, s13, v4, vcc_lo
	v_add_co_u32 v19, vcc_lo, s14, v3
	v_add_co_ci_u32_e64 v2, null, 0, 0, s28
	v_add_co_ci_u32_e32 v20, vcc_lo, s15, v4, vcc_lo
	s_mul_i32 s27, s25, 3
	v_add_co_u32 v23, vcc_lo, s2, v1
	v_add_co_u32 v21, s27, s27, v0
	v_add_co_ci_u32_e32 v24, vcc_lo, s3, v2, vcc_lo
	v_add_co_u32 v25, vcc_lo, s4, v1
	v_add_co_ci_u32_e64 v22, null, 0, 0, s27
	v_add_co_u32 v29, s27, v0, s25
	v_add_co_ci_u32_e32 v26, vcc_lo, s5, v2, vcc_lo
	v_add_co_u32 v27, vcc_lo, s12, v1
	v_add_co_ci_u32_e32 v28, vcc_lo, s13, v2, vcc_lo
	v_add_co_u32 v30, vcc_lo, s14, v1
	v_lshlrev_b32_e32 v1, 2, v29
	s_lshl_b32 s26, s25, 1
	v_add_co_ci_u32_e32 v31, vcc_lo, s15, v2, vcc_lo
	v_add_co_u32 v33, s26, s26, v0
	s_delay_alu instid0(VALU_DEP_3) | instskip(NEXT) | instid1(VALU_DEP_1)
	v_add_co_u32 v35, s2, s2, v1
	v_add_co_ci_u32_e64 v36, null, s3, 0, s2
	v_add_co_u32 v37, s2, s4, v1
	s_delay_alu instid0(VALU_DEP_1) | instskip(SKIP_1) | instid1(VALU_DEP_1)
	v_add_co_ci_u32_e64 v38, null, s5, 0, s2
	v_add_co_u32 v39, s2, s12, v1
	v_add_co_ci_u32_e64 v40, null, s13, 0, s2
	v_add_co_u32 v41, s2, s14, v1
	v_add_co_ci_u32_e64 v32, null, 0, 0, s27
	v_add_co_ci_u32_e64 v34, null, 0, 0, s26
	;; [unrolled: 1-line block ×3, first 2 shown]
	s_lshl_b32 s14, s25, 2
	s_lshl_b32 s15, s25, 4
	s_mov_b64 s[12:13], 0
	s_branch .LBB46_4
.LBB46_3:                               ;   in Loop: Header=BB46_4 Depth=1
	s_or_b32 exec_lo, exec_lo, s2
	v_add_co_u32 v5, vcc_lo, v5, s15
	v_add_co_ci_u32_e32 v6, vcc_lo, 0, v6, vcc_lo
	v_add_co_u32 v7, vcc_lo, v7, s15
	v_add_co_ci_u32_e32 v8, vcc_lo, 0, v8, vcc_lo
	;; [unrolled: 2-line block ×13, first 2 shown]
	s_add_u32 s12, s12, s14
	v_add_co_u32 v37, vcc_lo, v37, s15
	s_addc_u32 s13, s13, 0
	v_add_co_ci_u32_e32 v38, vcc_lo, 0, v38, vcc_lo
	v_cmp_lt_i64_e64 s2, s[12:13], s[6:7]
	v_cmp_gt_u64_e64 s3, 0x10000, s[12:13]
	v_add_co_u32 v39, vcc_lo, v39, s15
	v_add_co_ci_u32_e32 v40, vcc_lo, 0, v40, vcc_lo
	v_add_co_u32 v41, vcc_lo, v41, s15
	v_add_co_ci_u32_e32 v42, vcc_lo, 0, v42, vcc_lo
	s_and_b32 s2, s2, s3
	s_delay_alu instid0(SALU_CYCLE_1)
	s_and_b32 vcc_lo, exec_lo, s2
	s_cbranch_vccz .LBB46_28
.LBB46_4:                               ; =>This Inner Loop Header: Depth=1
	s_waitcnt vmcnt(1)
	v_add_co_u32 v1, s2, v0, s12
	s_delay_alu instid0(VALU_DEP_1) | instskip(SKIP_3) | instid1(VALU_DEP_3)
	v_add_co_ci_u32_e64 v2, null, 0, s13, s2
	v_mov_b32_e32 v4, 0
	s_waitcnt vmcnt(0)
	v_mov_b32_e32 v46, 0
	v_cmp_gt_u64_e64 s4, s[10:11], v[1:2]
	s_delay_alu instid0(VALU_DEP_1)
	s_and_saveexec_b32 s2, s4
	s_cbranch_execz .LBB46_6
; %bb.5:                                ;   in Loop: Header=BB46_4 Depth=1
	v_add_co_u32 v1, vcc_lo, v5, s8
	v_add_co_ci_u32_e32 v2, vcc_lo, s9, v6, vcc_lo
	v_add_co_u32 v43, vcc_lo, v7, s8
	v_add_co_ci_u32_e32 v44, vcc_lo, s9, v8, vcc_lo
	global_load_b32 v4, v[1:2], off
	global_load_b32 v46, v[43:44], off
.LBB46_6:                               ;   in Loop: Header=BB46_4 Depth=1
	s_or_b32 exec_lo, exec_lo, s2
	v_dual_mov_b32 v3, 0 :: v_dual_mov_b32 v50, 0
	s_and_saveexec_b32 s2, s4
	s_cbranch_execz .LBB46_8
; %bb.7:                                ;   in Loop: Header=BB46_4 Depth=1
	v_add_co_u32 v1, vcc_lo, v9, s8
	v_add_co_ci_u32_e32 v2, vcc_lo, s9, v10, vcc_lo
	global_load_b32 v50, v[1:2], off
.LBB46_8:                               ;   in Loop: Header=BB46_4 Depth=1
	s_or_b32 exec_lo, exec_lo, s2
	v_add_co_u32 v1, vcc_lo, v29, s12
	v_add_co_ci_u32_e32 v2, vcc_lo, s13, v32, vcc_lo
	v_mov_b32_e32 v45, 0
	s_delay_alu instid0(VALU_DEP_2) | instskip(NEXT) | instid1(VALU_DEP_1)
	v_cmp_gt_u64_e64 s3, s[10:11], v[1:2]
	s_and_saveexec_b32 s2, s3
	s_cbranch_execz .LBB46_10
; %bb.9:                                ;   in Loop: Header=BB46_4 Depth=1
	v_add_co_u32 v1, vcc_lo, v35, s8
	v_add_co_ci_u32_e32 v2, vcc_lo, s9, v36, vcc_lo
	v_add_co_u32 v43, vcc_lo, v37, s8
	v_add_co_ci_u32_e32 v44, vcc_lo, s9, v38, vcc_lo
	global_load_b32 v3, v[1:2], off
	global_load_b32 v45, v[43:44], off
.LBB46_10:                              ;   in Loop: Header=BB46_4 Depth=1
	s_or_b32 exec_lo, exec_lo, s2
	v_dual_mov_b32 v2, 0 :: v_dual_mov_b32 v49, 0
	s_and_saveexec_b32 s2, s3
	s_cbranch_execz .LBB46_12
; %bb.11:                               ;   in Loop: Header=BB46_4 Depth=1
	v_add_co_u32 v43, vcc_lo, v39, s8
	v_add_co_ci_u32_e32 v44, vcc_lo, s9, v40, vcc_lo
	global_load_b32 v49, v[43:44], off
.LBB46_12:                              ;   in Loop: Header=BB46_4 Depth=1
	s_or_b32 exec_lo, exec_lo, s2
	v_add_co_u32 v43, vcc_lo, v33, s12
	v_add_co_ci_u32_e32 v44, vcc_lo, s13, v34, vcc_lo
	s_delay_alu instid0(VALU_DEP_1) | instskip(SKIP_1) | instid1(VALU_DEP_2)
	v_cmp_gt_u64_e64 s2, s[10:11], v[43:44]
	v_mov_b32_e32 v44, 0
	s_and_saveexec_b32 s5, s2
	s_cbranch_execz .LBB46_14
; %bb.13:                               ;   in Loop: Header=BB46_4 Depth=1
	v_add_co_u32 v1, vcc_lo, v23, s8
	v_add_co_ci_u32_e32 v2, vcc_lo, s9, v24, vcc_lo
	v_add_co_u32 v43, vcc_lo, v25, s8
	v_add_co_ci_u32_e32 v44, vcc_lo, s9, v26, vcc_lo
	global_load_b32 v2, v[1:2], off
	global_load_b32 v44, v[43:44], off
.LBB46_14:                              ;   in Loop: Header=BB46_4 Depth=1
	s_or_b32 exec_lo, exec_lo, s5
	v_dual_mov_b32 v1, 0 :: v_dual_mov_b32 v48, 0
	s_and_saveexec_b32 s5, s2
	s_cbranch_execz .LBB46_16
; %bb.15:                               ;   in Loop: Header=BB46_4 Depth=1
	v_add_co_u32 v47, vcc_lo, v27, s8
	v_add_co_ci_u32_e32 v48, vcc_lo, s9, v28, vcc_lo
	global_load_b32 v48, v[47:48], off
.LBB46_16:                              ;   in Loop: Header=BB46_4 Depth=1
	s_or_b32 exec_lo, exec_lo, s5
	v_add_co_u32 v51, vcc_lo, v21, s12
	v_add_co_ci_u32_e32 v52, vcc_lo, s13, v22, vcc_lo
	v_mov_b32_e32 v43, 0
	s_delay_alu instid0(VALU_DEP_2)
	v_cmp_gt_u64_e32 vcc_lo, s[10:11], v[51:52]
	s_and_saveexec_b32 s25, vcc_lo
	s_cbranch_execnz .LBB46_22
; %bb.17:                               ;   in Loop: Header=BB46_4 Depth=1
	s_or_b32 exec_lo, exec_lo, s25
	v_mov_b32_e32 v47, 0
	s_and_saveexec_b32 s25, vcc_lo
	s_cbranch_execnz .LBB46_23
.LBB46_18:                              ;   in Loop: Header=BB46_4 Depth=1
	s_or_b32 exec_lo, exec_lo, s25
	s_and_saveexec_b32 s5, s4
	s_cbranch_execnz .LBB46_24
.LBB46_19:                              ;   in Loop: Header=BB46_4 Depth=1
	s_or_b32 exec_lo, exec_lo, s5
	s_and_saveexec_b32 s4, s3
	s_cbranch_execnz .LBB46_25
.LBB46_20:                              ;   in Loop: Header=BB46_4 Depth=1
	s_or_b32 exec_lo, exec_lo, s4
	s_and_saveexec_b32 s3, s2
	s_cbranch_execnz .LBB46_26
.LBB46_21:                              ;   in Loop: Header=BB46_4 Depth=1
	s_or_b32 exec_lo, exec_lo, s3
	s_and_saveexec_b32 s2, vcc_lo
	s_cbranch_execz .LBB46_3
	s_branch .LBB46_27
.LBB46_22:                              ;   in Loop: Header=BB46_4 Depth=1
	v_add_co_u32 v51, s5, v13, s8
	s_delay_alu instid0(VALU_DEP_1) | instskip(SKIP_1) | instid1(VALU_DEP_1)
	v_add_co_ci_u32_e64 v52, s5, s9, v14, s5
	v_add_co_u32 v53, s5, v15, s8
	v_add_co_ci_u32_e64 v54, s5, s9, v16, s5
	global_load_b32 v1, v[51:52], off
	global_load_b32 v43, v[53:54], off
	s_or_b32 exec_lo, exec_lo, s25
	v_mov_b32_e32 v47, 0
	s_and_saveexec_b32 s25, vcc_lo
	s_cbranch_execz .LBB46_18
.LBB46_23:                              ;   in Loop: Header=BB46_4 Depth=1
	v_add_co_u32 v51, s5, v17, s8
	s_delay_alu instid0(VALU_DEP_1)
	v_add_co_ci_u32_e64 v52, s5, s9, v18, s5
	global_load_b32 v47, v[51:52], off
	s_or_b32 exec_lo, exec_lo, s25
	s_and_saveexec_b32 s5, s4
	s_cbranch_execz .LBB46_19
.LBB46_24:                              ;   in Loop: Header=BB46_4 Depth=1
	s_waitcnt vmcnt(0)
	v_sub_nc_u32_e32 v51, 0, v50
	v_sub_nc_u32_e32 v54, 0, v46
	s_delay_alu instid0(VALU_DEP_2) | instskip(NEXT) | instid1(VALU_DEP_2)
	v_max_i32_e32 v51, v50, v51
	v_max_i32_e32 v54, v46, v54
	v_xor_b32_e32 v46, v46, v50
	s_delay_alu instid0(VALU_DEP_3) | instskip(SKIP_1) | instid1(VALU_DEP_3)
	v_cvt_f32_u32_e32 v52, v51
	v_sub_nc_u32_e32 v53, 0, v51
	v_ashrrev_i32_e32 v46, 31, v46
	s_delay_alu instid0(VALU_DEP_3) | instskip(SKIP_2) | instid1(VALU_DEP_1)
	v_rcp_iflag_f32_e32 v52, v52
	s_waitcnt_depctr 0xfff
	v_mul_f32_e32 v52, 0x4f7ffffe, v52
	v_cvt_u32_f32_e32 v52, v52
	s_delay_alu instid0(VALU_DEP_1) | instskip(NEXT) | instid1(VALU_DEP_1)
	v_mul_lo_u32 v53, v53, v52
	v_mul_hi_u32 v53, v52, v53
	s_delay_alu instid0(VALU_DEP_1) | instskip(NEXT) | instid1(VALU_DEP_1)
	v_add_nc_u32_e32 v52, v52, v53
	v_mul_hi_u32 v52, v54, v52
	s_delay_alu instid0(VALU_DEP_1) | instskip(NEXT) | instid1(VALU_DEP_1)
	v_mul_lo_u32 v53, v52, v51
	v_sub_nc_u32_e32 v53, v54, v53
	v_add_nc_u32_e32 v54, 1, v52
	s_delay_alu instid0(VALU_DEP_2) | instskip(SKIP_1) | instid1(VALU_DEP_1)
	v_sub_nc_u32_e32 v55, v53, v51
	v_cmp_ge_u32_e64 s4, v53, v51
	v_cndmask_b32_e64 v52, v52, v54, s4
	s_delay_alu instid0(VALU_DEP_3) | instskip(NEXT) | instid1(VALU_DEP_2)
	v_cndmask_b32_e64 v50, v53, v55, s4
	v_add_nc_u32_e32 v53, 1, v52
	s_delay_alu instid0(VALU_DEP_2) | instskip(NEXT) | instid1(VALU_DEP_1)
	v_cmp_ge_u32_e64 s4, v50, v51
	v_cndmask_b32_e64 v50, v52, v53, s4
	s_delay_alu instid0(VALU_DEP_1) | instskip(NEXT) | instid1(VALU_DEP_1)
	v_xor_b32_e32 v50, v50, v46
	v_sub_nc_u32_e32 v46, v50, v46
	s_delay_alu instid0(VALU_DEP_1) | instskip(SKIP_1) | instid1(VALU_DEP_1)
	v_mad_u64_u32 v[50:51], null, v46, s24, v[4:5]
	v_add_co_u32 v51, s4, v11, s8
	v_add_co_ci_u32_e64 v52, s4, s9, v12, s4
	global_store_b32 v[51:52], v50, off
	s_or_b32 exec_lo, exec_lo, s5
	s_and_saveexec_b32 s4, s3
	s_cbranch_execz .LBB46_20
.LBB46_25:                              ;   in Loop: Header=BB46_4 Depth=1
	s_waitcnt vmcnt(0)
	v_sub_nc_u32_e32 v4, 0, v49
	v_sub_nc_u32_e32 v51, 0, v45
	s_delay_alu instid0(VALU_DEP_2) | instskip(NEXT) | instid1(VALU_DEP_2)
	v_max_i32_e32 v4, v49, v4
	v_max_i32_e32 v51, v45, v51
	v_xor_b32_e32 v45, v45, v49
	s_delay_alu instid0(VALU_DEP_3) | instskip(SKIP_1) | instid1(VALU_DEP_3)
	v_cvt_f32_u32_e32 v46, v4
	v_sub_nc_u32_e32 v50, 0, v4
	v_ashrrev_i32_e32 v45, 31, v45
	s_delay_alu instid0(VALU_DEP_3) | instskip(SKIP_2) | instid1(VALU_DEP_1)
	v_rcp_iflag_f32_e32 v46, v46
	s_waitcnt_depctr 0xfff
	v_mul_f32_e32 v46, 0x4f7ffffe, v46
	v_cvt_u32_f32_e32 v46, v46
	s_delay_alu instid0(VALU_DEP_1) | instskip(NEXT) | instid1(VALU_DEP_1)
	v_mul_lo_u32 v50, v50, v46
	v_mul_hi_u32 v50, v46, v50
	s_delay_alu instid0(VALU_DEP_1) | instskip(NEXT) | instid1(VALU_DEP_1)
	v_add_nc_u32_e32 v46, v46, v50
	v_mul_hi_u32 v46, v51, v46
	s_delay_alu instid0(VALU_DEP_1) | instskip(NEXT) | instid1(VALU_DEP_1)
	v_mul_lo_u32 v50, v46, v4
	v_sub_nc_u32_e32 v50, v51, v50
	v_add_nc_u32_e32 v51, 1, v46
	s_delay_alu instid0(VALU_DEP_2) | instskip(SKIP_1) | instid1(VALU_DEP_1)
	v_sub_nc_u32_e32 v52, v50, v4
	v_cmp_ge_u32_e64 s3, v50, v4
	v_cndmask_b32_e64 v46, v46, v51, s3
	s_delay_alu instid0(VALU_DEP_3) | instskip(NEXT) | instid1(VALU_DEP_2)
	v_cndmask_b32_e64 v49, v50, v52, s3
	v_add_nc_u32_e32 v50, 1, v46
	s_delay_alu instid0(VALU_DEP_2) | instskip(NEXT) | instid1(VALU_DEP_1)
	v_cmp_ge_u32_e64 s3, v49, v4
	v_cndmask_b32_e64 v4, v46, v50, s3
	s_delay_alu instid0(VALU_DEP_1) | instskip(NEXT) | instid1(VALU_DEP_1)
	v_xor_b32_e32 v4, v4, v45
	v_sub_nc_u32_e32 v4, v4, v45
	s_delay_alu instid0(VALU_DEP_1) | instskip(SKIP_1) | instid1(VALU_DEP_1)
	v_mad_u64_u32 v[45:46], null, v4, s24, v[3:4]
	v_add_co_u32 v3, s3, v41, s8
	v_add_co_ci_u32_e64 v4, s3, s9, v42, s3
	global_store_b32 v[3:4], v45, off
	s_or_b32 exec_lo, exec_lo, s4
	s_and_saveexec_b32 s3, s2
	s_cbranch_execz .LBB46_21
.LBB46_26:                              ;   in Loop: Header=BB46_4 Depth=1
	s_waitcnt vmcnt(0)
	v_sub_nc_u32_e32 v3, 0, v48
	v_sub_nc_u32_e32 v46, 0, v44
	s_delay_alu instid0(VALU_DEP_2) | instskip(NEXT) | instid1(VALU_DEP_2)
	v_max_i32_e32 v3, v48, v3
	v_max_i32_e32 v46, v44, v46
	v_xor_b32_e32 v44, v44, v48
	s_delay_alu instid0(VALU_DEP_3) | instskip(SKIP_1) | instid1(VALU_DEP_3)
	v_cvt_f32_u32_e32 v4, v3
	v_sub_nc_u32_e32 v45, 0, v3
	v_ashrrev_i32_e32 v44, 31, v44
	s_delay_alu instid0(VALU_DEP_3) | instskip(SKIP_2) | instid1(VALU_DEP_1)
	v_rcp_iflag_f32_e32 v4, v4
	s_waitcnt_depctr 0xfff
	v_mul_f32_e32 v4, 0x4f7ffffe, v4
	v_cvt_u32_f32_e32 v4, v4
	s_delay_alu instid0(VALU_DEP_1) | instskip(NEXT) | instid1(VALU_DEP_1)
	v_mul_lo_u32 v45, v45, v4
	v_mul_hi_u32 v45, v4, v45
	s_delay_alu instid0(VALU_DEP_1) | instskip(NEXT) | instid1(VALU_DEP_1)
	v_add_nc_u32_e32 v4, v4, v45
	v_mul_hi_u32 v4, v46, v4
	s_delay_alu instid0(VALU_DEP_1) | instskip(NEXT) | instid1(VALU_DEP_1)
	v_mul_lo_u32 v45, v4, v3
	v_sub_nc_u32_e32 v45, v46, v45
	v_add_nc_u32_e32 v46, 1, v4
	s_delay_alu instid0(VALU_DEP_2) | instskip(SKIP_1) | instid1(VALU_DEP_1)
	v_sub_nc_u32_e32 v49, v45, v3
	v_cmp_ge_u32_e64 s2, v45, v3
	v_cndmask_b32_e64 v4, v4, v46, s2
	s_delay_alu instid0(VALU_DEP_3) | instskip(NEXT) | instid1(VALU_DEP_2)
	v_cndmask_b32_e64 v45, v45, v49, s2
	v_add_nc_u32_e32 v46, 1, v4
	s_delay_alu instid0(VALU_DEP_2) | instskip(NEXT) | instid1(VALU_DEP_1)
	v_cmp_ge_u32_e64 s2, v45, v3
	v_cndmask_b32_e64 v3, v4, v46, s2
	s_delay_alu instid0(VALU_DEP_1) | instskip(NEXT) | instid1(VALU_DEP_1)
	v_xor_b32_e32 v3, v3, v44
	v_sub_nc_u32_e32 v44, v3, v44
	s_delay_alu instid0(VALU_DEP_1) | instskip(SKIP_1) | instid1(VALU_DEP_1)
	v_mad_u64_u32 v[3:4], null, v44, s24, v[2:3]
	v_add_co_u32 v44, s2, v30, s8
	v_add_co_ci_u32_e64 v45, s2, s9, v31, s2
	global_store_b32 v[44:45], v3, off
	s_or_b32 exec_lo, exec_lo, s3
	s_and_saveexec_b32 s2, vcc_lo
	s_cbranch_execz .LBB46_3
.LBB46_27:                              ;   in Loop: Header=BB46_4 Depth=1
	s_waitcnt vmcnt(0)
	v_sub_nc_u32_e32 v2, 0, v47
	v_sub_nc_u32_e32 v44, 0, v43
	s_delay_alu instid0(VALU_DEP_2) | instskip(NEXT) | instid1(VALU_DEP_2)
	v_max_i32_e32 v2, v47, v2
	v_max_i32_e32 v44, v43, v44
	v_xor_b32_e32 v43, v43, v47
	s_delay_alu instid0(VALU_DEP_3) | instskip(SKIP_1) | instid1(VALU_DEP_3)
	v_cvt_f32_u32_e32 v3, v2
	v_sub_nc_u32_e32 v4, 0, v2
	v_ashrrev_i32_e32 v43, 31, v43
	s_delay_alu instid0(VALU_DEP_3) | instskip(SKIP_2) | instid1(VALU_DEP_1)
	v_rcp_iflag_f32_e32 v3, v3
	s_waitcnt_depctr 0xfff
	v_mul_f32_e32 v3, 0x4f7ffffe, v3
	v_cvt_u32_f32_e32 v3, v3
	s_delay_alu instid0(VALU_DEP_1) | instskip(NEXT) | instid1(VALU_DEP_1)
	v_mul_lo_u32 v4, v4, v3
	v_mul_hi_u32 v4, v3, v4
	s_delay_alu instid0(VALU_DEP_1) | instskip(NEXT) | instid1(VALU_DEP_1)
	v_add_nc_u32_e32 v3, v3, v4
	v_mul_hi_u32 v3, v44, v3
	s_delay_alu instid0(VALU_DEP_1) | instskip(NEXT) | instid1(VALU_DEP_1)
	v_mul_lo_u32 v4, v3, v2
	v_sub_nc_u32_e32 v4, v44, v4
	v_add_nc_u32_e32 v44, 1, v3
	s_delay_alu instid0(VALU_DEP_2) | instskip(SKIP_1) | instid1(VALU_DEP_2)
	v_sub_nc_u32_e32 v45, v4, v2
	v_cmp_ge_u32_e32 vcc_lo, v4, v2
	v_dual_cndmask_b32 v4, v4, v45 :: v_dual_cndmask_b32 v3, v3, v44
	s_delay_alu instid0(VALU_DEP_1) | instskip(NEXT) | instid1(VALU_DEP_2)
	v_cmp_ge_u32_e32 vcc_lo, v4, v2
	v_add_nc_u32_e32 v44, 1, v3
	s_delay_alu instid0(VALU_DEP_1) | instskip(NEXT) | instid1(VALU_DEP_1)
	v_cndmask_b32_e32 v2, v3, v44, vcc_lo
	v_xor_b32_e32 v2, v2, v43
	s_delay_alu instid0(VALU_DEP_1) | instskip(NEXT) | instid1(VALU_DEP_1)
	v_sub_nc_u32_e32 v4, v2, v43
	v_mad_u64_u32 v[2:3], null, v4, s24, v[1:2]
	v_add_co_u32 v3, vcc_lo, v19, s8
	v_add_co_ci_u32_e32 v4, vcc_lo, s9, v20, vcc_lo
	global_store_b32 v[3:4], v2, off
	s_branch .LBB46_3
.LBB46_28:
	s_mov_b32 s10, 0
.LBB46_29:
	s_delay_alu instid0(SALU_CYCLE_1)
	s_and_not1_b32 vcc_lo, exec_lo, s10
	s_cbranch_vccnz .LBB46_33
; %bb.30:
	s_waitcnt vmcnt(1)
	v_dual_mov_b32 v2, 0 :: v_dual_lshlrev_b32 v1, 2, v0
	s_mov_b32 s3, 0
	s_mov_b32 s2, exec_lo
	s_delay_alu instid0(VALU_DEP_1)
	v_cmpx_gt_i64_e64 s[6:7], v[1:2]
	s_cbranch_execz .LBB46_33
; %bb.31:
	s_load_b32 s0, s[0:1], 0xbfc
	s_waitcnt lgkmcnt(0)
	s_and_b32 s0, s0, 0xffff
	s_delay_alu instid0(SALU_CYCLE_1)
	v_add_lshl_u32 v1, v0, s0, 2
	v_lshlrev_b32_e32 v0, 4, v0
	s_lshl_b32 s4, s0, 2
	s_lshl_b32 s5, s0, 4
.LBB46_32:                              ; =>This Inner Loop Header: Depth=1
	s_delay_alu instid0(VALU_DEP_1) | instskip(NEXT) | instid1(VALU_DEP_1)
	v_add_co_u32 v3, s0, s18, v0
	v_add_co_ci_u32_e64 v4, null, s19, 0, s0
	v_add_co_u32 v7, s0, s20, v0
	s_delay_alu instid0(VALU_DEP_1) | instskip(SKIP_1) | instid1(VALU_DEP_1)
	v_add_co_ci_u32_e64 v8, null, s21, 0, s0
	v_add_co_u32 v11, s0, s16, v0
	v_add_co_ci_u32_e64 v12, null, s17, 0, s0
	global_load_b128 v[3:6], v[3:4], off
	global_load_b128 v[7:10], v[7:8], off
	;; [unrolled: 1-line block ×3, first 2 shown]
	v_cmp_le_i64_e32 vcc_lo, s[6:7], v[1:2]
	v_cmp_lt_u64_e64 s0, 0xffff, v[1:2]
	v_add_co_u32 v15, s1, s22, v0
	s_delay_alu instid0(VALU_DEP_1) | instskip(SKIP_1) | instid1(VALU_DEP_4)
	v_add_co_ci_u32_e64 v16, null, s23, 0, s1
	v_add_co_u32 v1, s1, v1, s4
	s_or_b32 s8, vcc_lo, s0
	v_add_co_ci_u32_e64 v2, s1, 0, v2, s1
	s_add_u32 s16, s16, s5
	s_addc_u32 s17, s17, 0
	s_add_u32 s22, s22, s5
	s_addc_u32 s23, s23, 0
	;; [unrolled: 2-line block ×4, first 2 shown]
	s_waitcnt vmcnt(2)
	v_sub_nc_u32_e32 v22, 0, v4
	s_waitcnt vmcnt(1)
	v_sub_nc_u32_e32 v20, 0, v7
	v_xor_b32_e32 v18, v3, v7
	v_xor_b32_e32 v21, v4, v8
	v_sub_nc_u32_e32 v23, 0, v8
	v_max_i32_e32 v4, v4, v22
	v_max_i32_e32 v7, v7, v20
	v_sub_nc_u32_e32 v29, 0, v10
	v_xor_b32_e32 v27, v6, v10
	v_max_i32_e32 v8, v8, v23
	v_sub_nc_u32_e32 v28, 0, v6
	v_cvt_f32_u32_e32 v22, v7
	v_sub_nc_u32_e32 v23, 0, v7
	v_max_i32_e32 v10, v10, v29
	v_sub_nc_u32_e32 v19, 0, v3
	v_max_i32_e32 v6, v6, v28
	v_rcp_iflag_f32_e32 v22, v22
	s_waitcnt vmcnt(0)
	v_mov_b32_e32 v17, v14
	v_cvt_f32_u32_e32 v28, v10
	v_max_i32_e32 v3, v3, v19
	v_xor_b32_e32 v24, v5, v9
	v_sub_nc_u32_e32 v29, 0, v10
	v_sub_nc_u32_e32 v26, 0, v9
	v_rcp_iflag_f32_e32 v28, v28
	v_sub_nc_u32_e32 v25, 0, v5
	v_ashrrev_i32_e32 v20, 31, v24
	v_mul_f32_e32 v22, 0x4f7ffffe, v22
	v_cvt_f32_u32_e32 v24, v8
	v_max_i32_e32 v9, v9, v26
	v_max_i32_e32 v5, v5, v25
	v_sub_nc_u32_e32 v25, 0, v8
	v_cvt_u32_f32_e32 v22, v22
	v_rcp_iflag_f32_e32 v24, v24
	v_cvt_f32_u32_e32 v26, v9
	v_ashrrev_i32_e32 v19, 31, v21
	v_ashrrev_i32_e32 v21, 31, v27
	v_mul_lo_u32 v23, v23, v22
	v_sub_nc_u32_e32 v27, 0, v9
	v_rcp_iflag_f32_e32 v26, v26
	v_ashrrev_i32_e32 v18, 31, v18
	s_delay_alu instid0(VALU_DEP_3) | instskip(NEXT) | instid1(VALU_DEP_1)
	v_mul_hi_u32 v23, v22, v23
	v_add_nc_u32_e32 v22, v22, v23
	s_delay_alu instid0(VALU_DEP_1) | instskip(SKIP_1) | instid1(VALU_DEP_1)
	v_mul_hi_u32 v22, v3, v22
	v_mul_f32_e32 v28, 0x4f7ffffe, v28
	v_cvt_u32_f32_e32 v28, v28
	s_delay_alu instid0(VALU_DEP_1) | instskip(NEXT) | instid1(VALU_DEP_1)
	v_mul_lo_u32 v29, v29, v28
	v_mul_hi_u32 v29, v28, v29
	v_mul_f32_e32 v24, 0x4f7ffffe, v24
	s_delay_alu instid0(VALU_DEP_1) | instskip(NEXT) | instid1(VALU_DEP_1)
	v_cvt_u32_f32_e32 v24, v24
	v_mul_lo_u32 v25, v25, v24
	s_delay_alu instid0(VALU_DEP_1) | instskip(NEXT) | instid1(VALU_DEP_1)
	v_mul_hi_u32 v25, v24, v25
	v_dual_mul_f32 v26, 0x4f7ffffe, v26 :: v_dual_add_nc_u32 v23, v24, v25
	s_delay_alu instid0(VALU_DEP_1) | instskip(SKIP_1) | instid1(VALU_DEP_3)
	v_cvt_u32_f32_e32 v26, v26
	v_add_nc_u32_e32 v25, v28, v29
	v_mul_hi_u32 v23, v4, v23
	s_delay_alu instid0(VALU_DEP_3) | instskip(NEXT) | instid1(VALU_DEP_3)
	v_mul_lo_u32 v27, v27, v26
	v_mul_hi_u32 v25, v6, v25
	s_delay_alu instid0(VALU_DEP_3) | instskip(NEXT) | instid1(VALU_DEP_3)
	v_mul_lo_u32 v28, v23, v8
	;; [unrolled: 3-line block ×3, first 2 shown]
	v_sub_nc_u32_e32 v4, v4, v28
	s_delay_alu instid0(VALU_DEP_3)
	v_add_nc_u32_e32 v24, v26, v27
	v_mul_lo_u32 v26, v22, v7
	v_add_nc_u32_e32 v27, 1, v22
	v_sub_nc_u32_e32 v6, v6, v30
	v_cmp_ge_u32_e64 s0, v4, v8
	v_mul_hi_u32 v24, v5, v24
	s_delay_alu instid0(VALU_DEP_3) | instskip(SKIP_1) | instid1(VALU_DEP_3)
	v_cmp_ge_u32_e64 s2, v6, v10
	v_sub_nc_u32_e32 v3, v3, v26
	v_mul_lo_u32 v29, v24, v9
	s_delay_alu instid0(VALU_DEP_2) | instskip(SKIP_2) | instid1(VALU_DEP_2)
	v_cmp_ge_u32_e32 vcc_lo, v3, v7
	v_sub_nc_u32_e32 v26, v3, v7
	v_dual_cndmask_b32 v22, v22, v27 :: v_dual_add_nc_u32 v33, 1, v25
	v_cndmask_b32_e32 v3, v3, v26, vcc_lo
	v_sub_nc_u32_e32 v5, v5, v29
	v_sub_nc_u32_e32 v29, v6, v10
	s_delay_alu instid0(VALU_DEP_4)
	v_cndmask_b32_e64 v25, v25, v33, s2
	v_add_nc_u32_e32 v26, 1, v22
	v_cmp_ge_u32_e32 vcc_lo, v3, v7
	v_cmp_ge_u32_e64 s1, v5, v9
	v_sub_nc_u32_e32 v28, v5, v9
	v_cndmask_b32_e64 v6, v6, v29, s2
	v_dual_cndmask_b32 v3, v22, v26 :: v_dual_add_nc_u32 v32, 1, v24
	v_sub_nc_u32_e32 v27, v4, v8
	s_delay_alu instid0(VALU_DEP_4)
	v_cndmask_b32_e64 v5, v5, v28, s1
	v_add_nc_u32_e32 v28, 1, v25
	v_cmp_ge_u32_e32 vcc_lo, v6, v10
	v_add_nc_u32_e32 v31, 1, v23
	v_cndmask_b32_e64 v4, v4, v27, s0
	v_cndmask_b32_e64 v24, v24, v32, s1
	v_xor_b32_e32 v3, v3, v18
	v_cndmask_b32_e32 v6, v25, v28, vcc_lo
	v_cndmask_b32_e64 v23, v23, v31, s0
	v_cmp_ge_u32_e32 vcc_lo, v4, v8
	s_and_b32 s0, exec_lo, s8
	s_delay_alu instid0(VALU_DEP_3) | instskip(NEXT) | instid1(VALU_DEP_3)
	v_xor_b32_e32 v6, v6, v21
	v_add_nc_u32_e32 v27, 1, v23
	v_add_nc_u32_e32 v29, 1, v24
	s_or_b32 s3, s0, s3
	s_delay_alu instid0(VALU_DEP_3) | instskip(NEXT) | instid1(VALU_DEP_3)
	v_sub_nc_u32_e32 v6, v6, v21
	v_cndmask_b32_e32 v4, v23, v27, vcc_lo
	v_cmp_ge_u32_e32 vcc_lo, v5, v9
	v_sub_nc_u32_e32 v9, v3, v18
	s_delay_alu instid0(VALU_DEP_3) | instskip(SKIP_1) | instid1(VALU_DEP_2)
	v_xor_b32_e32 v4, v4, v19
	v_cndmask_b32_e32 v5, v24, v29, vcc_lo
	v_sub_nc_u32_e32 v10, v4, v19
	s_delay_alu instid0(VALU_DEP_2) | instskip(SKIP_1) | instid1(VALU_DEP_2)
	v_xor_b32_e32 v5, v5, v20
	v_mad_u64_u32 v[3:4], null, v9, s24, v[11:12]
	v_sub_nc_u32_e32 v18, v5, v20
	s_delay_alu instid0(VALU_DEP_4) | instskip(NEXT) | instid1(VALU_DEP_2)
	v_mad_u64_u32 v[4:5], null, v10, s24, v[12:13]
	v_mad_u64_u32 v[7:8], null, v6, s24, v[17:18]
	;; [unrolled: 1-line block ×3, first 2 shown]
	s_delay_alu instid0(VALU_DEP_2)
	v_mov_b32_e32 v6, v7
	global_store_b128 v[15:16], v[3:6], off
	s_and_not1_b32 exec_lo, exec_lo, s3
	s_cbranch_execnz .LBB46_32
.LBB46_33:
	s_nop 0
	s_sendmsg sendmsg(MSG_DEALLOC_VGPRS)
	s_endpgm
	.section	.rodata,"a",@progbits
	.p2align	6, 0x0
	.amdhsa_kernel _ZN2at6native12_GLOBAL__N_125multi_tensor_apply_kernelINS1_18TensorListMetadataILi4EEENS1_24PointwiseOpScalarFunctorIiLi4ELi3ELi3EEEJSt7dividesIiEiEEEvT_T0_DpT1_
		.amdhsa_group_segment_fixed_size 0
		.amdhsa_private_segment_fixed_size 0
		.amdhsa_kernarg_size 3312
		.amdhsa_user_sgpr_count 15
		.amdhsa_user_sgpr_dispatch_ptr 0
		.amdhsa_user_sgpr_queue_ptr 0
		.amdhsa_user_sgpr_kernarg_segment_ptr 1
		.amdhsa_user_sgpr_dispatch_id 0
		.amdhsa_user_sgpr_private_segment_size 0
		.amdhsa_wavefront_size32 1
		.amdhsa_uses_dynamic_stack 0
		.amdhsa_enable_private_segment 0
		.amdhsa_system_sgpr_workgroup_id_x 1
		.amdhsa_system_sgpr_workgroup_id_y 0
		.amdhsa_system_sgpr_workgroup_id_z 0
		.amdhsa_system_sgpr_workgroup_info 0
		.amdhsa_system_vgpr_workitem_id 0
		.amdhsa_next_free_vgpr 56
		.amdhsa_next_free_sgpr 29
		.amdhsa_reserve_vcc 1
		.amdhsa_float_round_mode_32 0
		.amdhsa_float_round_mode_16_64 0
		.amdhsa_float_denorm_mode_32 3
		.amdhsa_float_denorm_mode_16_64 3
		.amdhsa_dx10_clamp 1
		.amdhsa_ieee_mode 1
		.amdhsa_fp16_overflow 0
		.amdhsa_workgroup_processor_mode 1
		.amdhsa_memory_ordered 1
		.amdhsa_forward_progress 0
		.amdhsa_shared_vgpr_count 0
		.amdhsa_exception_fp_ieee_invalid_op 0
		.amdhsa_exception_fp_denorm_src 0
		.amdhsa_exception_fp_ieee_div_zero 0
		.amdhsa_exception_fp_ieee_overflow 0
		.amdhsa_exception_fp_ieee_underflow 0
		.amdhsa_exception_fp_ieee_inexact 0
		.amdhsa_exception_int_div_zero 0
	.end_amdhsa_kernel
	.section	.text._ZN2at6native12_GLOBAL__N_125multi_tensor_apply_kernelINS1_18TensorListMetadataILi4EEENS1_24PointwiseOpScalarFunctorIiLi4ELi3ELi3EEEJSt7dividesIiEiEEEvT_T0_DpT1_,"axG",@progbits,_ZN2at6native12_GLOBAL__N_125multi_tensor_apply_kernelINS1_18TensorListMetadataILi4EEENS1_24PointwiseOpScalarFunctorIiLi4ELi3ELi3EEEJSt7dividesIiEiEEEvT_T0_DpT1_,comdat
.Lfunc_end46:
	.size	_ZN2at6native12_GLOBAL__N_125multi_tensor_apply_kernelINS1_18TensorListMetadataILi4EEENS1_24PointwiseOpScalarFunctorIiLi4ELi3ELi3EEEJSt7dividesIiEiEEEvT_T0_DpT1_, .Lfunc_end46-_ZN2at6native12_GLOBAL__N_125multi_tensor_apply_kernelINS1_18TensorListMetadataILi4EEENS1_24PointwiseOpScalarFunctorIiLi4ELi3ELi3EEEJSt7dividesIiEiEEEvT_T0_DpT1_
                                        ; -- End function
	.section	.AMDGPU.csdata,"",@progbits
; Kernel info:
; codeLenInByte = 3440
; NumSgprs: 31
; NumVgprs: 56
; ScratchSize: 0
; MemoryBound: 0
; FloatMode: 240
; IeeeMode: 1
; LDSByteSize: 0 bytes/workgroup (compile time only)
; SGPRBlocks: 3
; VGPRBlocks: 6
; NumSGPRsForWavesPerEU: 31
; NumVGPRsForWavesPerEU: 56
; Occupancy: 16
; WaveLimiterHint : 0
; COMPUTE_PGM_RSRC2:SCRATCH_EN: 0
; COMPUTE_PGM_RSRC2:USER_SGPR: 15
; COMPUTE_PGM_RSRC2:TRAP_HANDLER: 0
; COMPUTE_PGM_RSRC2:TGID_X_EN: 1
; COMPUTE_PGM_RSRC2:TGID_Y_EN: 0
; COMPUTE_PGM_RSRC2:TGID_Z_EN: 0
; COMPUTE_PGM_RSRC2:TIDIG_COMP_CNT: 0
	.section	.text._ZN2at6native12_GLOBAL__N_125multi_tensor_apply_kernelINS1_18TensorListMetadataILi4EEENS1_24PointwiseOpScalarFunctorIlLi4ELi3ELi3EEEJSt7dividesIlElEEEvT_T0_DpT1_,"axG",@progbits,_ZN2at6native12_GLOBAL__N_125multi_tensor_apply_kernelINS1_18TensorListMetadataILi4EEENS1_24PointwiseOpScalarFunctorIlLi4ELi3ELi3EEEJSt7dividesIlElEEEvT_T0_DpT1_,comdat
	.globl	_ZN2at6native12_GLOBAL__N_125multi_tensor_apply_kernelINS1_18TensorListMetadataILi4EEENS1_24PointwiseOpScalarFunctorIlLi4ELi3ELi3EEEJSt7dividesIlElEEEvT_T0_DpT1_ ; -- Begin function _ZN2at6native12_GLOBAL__N_125multi_tensor_apply_kernelINS1_18TensorListMetadataILi4EEENS1_24PointwiseOpScalarFunctorIlLi4ELi3ELi3EEEJSt7dividesIlElEEEvT_T0_DpT1_
	.p2align	8
	.type	_ZN2at6native12_GLOBAL__N_125multi_tensor_apply_kernelINS1_18TensorListMetadataILi4EEENS1_24PointwiseOpScalarFunctorIlLi4ELi3ELi3EEEJSt7dividesIlElEEEvT_T0_DpT1_,@function
_ZN2at6native12_GLOBAL__N_125multi_tensor_apply_kernelINS1_18TensorListMetadataILi4EEENS1_24PointwiseOpScalarFunctorIlLi4ELi3ELi3EEEJSt7dividesIlElEEEvT_T0_DpT1_: ; @_ZN2at6native12_GLOBAL__N_125multi_tensor_apply_kernelINS1_18TensorListMetadataILi4EEENS1_24PointwiseOpScalarFunctorIlLi4ELi3ELi3EEEJSt7dividesIlElEEEvT_T0_DpT1_
; %bb.0:
	v_mov_b32_e32 v1, s15
	s_add_u32 s2, s0, s15
	s_mul_hi_u32 s3, s15, 3
	s_mul_i32 s15, s15, 3
	s_addc_u32 s4, s1, 0
	global_load_u8 v1, v1, s[0:1] offset:1440
	s_add_u32 s2, s2, s15
	s_addc_u32 s3, s4, s3
	s_mov_b32 s15, 0
	s_load_b32 s10, s[2:3], 0x6e0
	s_mov_b32 s9, s15
	s_waitcnt lgkmcnt(0)
	s_ashr_i32 s11, s10, 31
	s_delay_alu instid0(SALU_CYCLE_1) | instskip(SKIP_2) | instid1(VALU_DEP_1)
	s_lshl_b64 s[12:13], s[10:11], 19
	s_waitcnt vmcnt(0)
	v_readfirstlane_b32 s2, v1
	s_lshl_b32 s8, s2, 3
	s_clause 0x4
	s_load_b64 s[2:3], s[0:1], s8 offset:0x0
	s_load_b64 s[4:5], s[0:1], s8 offset:0x120
	;; [unrolled: 1-line block ×5, first 2 shown]
	s_waitcnt lgkmcnt(0)
	s_add_u32 s18, s2, s12
	s_addc_u32 s19, s3, s13
	s_and_b32 s14, s18, 31
	s_add_u32 s20, s4, s12
	s_addc_u32 s21, s5, s13
	s_and_b32 s8, s20, 31
	s_delay_alu instid0(SALU_CYCLE_1)
	s_cmp_eq_u64 s[8:9], 0
	s_cselect_b32 s28, -1, 0
	s_add_u32 s22, s6, s12
	s_addc_u32 s23, s7, s13
	s_add_u32 s24, s16, s12
	s_addc_u32 s25, s17, s13
	s_or_b32 s8, s24, s22
	s_delay_alu instid0(SALU_CYCLE_1) | instskip(NEXT) | instid1(SALU_CYCLE_1)
	s_and_b32 s8, s8, 31
	s_cmp_eq_u32 s8, 0
	s_load_b64 s[8:9], s[0:1], 0xbf0
	s_cselect_b32 s29, -1, 0
	s_lshl_b64 s[10:11], s[10:11], 16
	s_and_b32 s28, s29, s28
	s_sub_u32 s10, s26, s10
	s_subb_u32 s11, s27, s11
	s_and_b32 s26, s26, 3
	s_mov_b32 s27, s15
	s_delay_alu instid0(SALU_CYCLE_1) | instskip(NEXT) | instid1(SALU_CYCLE_1)
	s_or_b64 s[14:15], s[14:15], s[26:27]
	s_cmp_eq_u64 s[14:15], 0
	s_cselect_b32 s14, -1, 0
	s_delay_alu instid0(SALU_CYCLE_1) | instskip(NEXT) | instid1(SALU_CYCLE_1)
	s_and_b32 s14, s28, s14
	s_and_b32 vcc_lo, exec_lo, s14
	s_mov_b32 s14, -1
	s_cbranch_vccnz .LBB47_45
; %bb.1:
	v_cmp_lt_i64_e64 s14, s[10:11], 1
	s_delay_alu instid0(VALU_DEP_1)
	s_and_b32 vcc_lo, exec_lo, s14
	s_cbranch_vccnz .LBB47_44
; %bb.2:
	s_load_b32 s14, s[0:1], 0xc04
	v_dual_mov_b32 v1, 0 :: v_dual_lshlrev_b32 v2, 3, v0
	v_cmp_gt_u64_e64 s15, 0x10000, s[10:11]
	s_delay_alu instid0(VALU_DEP_2) | instskip(NEXT) | instid1(VALU_DEP_1)
	v_add_co_u32 v29, s26, s2, v2
	v_add_co_ci_u32_e64 v30, null, s3, 0, s26
	v_add_co_u32 v31, s26, s4, v2
	s_delay_alu instid0(VALU_DEP_1) | instskip(SKIP_1) | instid1(VALU_DEP_1)
	v_add_co_ci_u32_e64 v32, null, s5, 0, s26
	v_add_co_u32 v33, s26, s6, v2
	v_add_co_ci_u32_e64 v34, null, s7, 0, s26
	s_waitcnt lgkmcnt(0)
	s_and_b32 s26, s14, 0xffff
	v_add_co_u32 v35, s14, s16, v2
	s_mul_i32 s28, s26, 3
	v_add_co_ci_u32_e64 v36, null, s17, 0, s14
	v_add_co_u32 v45, s28, s28, v0
	s_delay_alu instid0(VALU_DEP_1)
	v_add_co_ci_u32_e64 v46, null, 0, 0, s28
	v_add_co_u32 v53, s28, v0, s26
	v_mov_b32_e32 v3, v1
	s_and_b32 s14, s15, exec_lo
	s_cselect_b32 s15, s11, 0
	s_cselect_b32 s14, s10, 0x10000
	s_lshl_b32 s29, s26, 4
	v_mad_u64_u32 v[4:5], null, s26, 24, v[2:3]
	v_add_co_u32 v2, s29, s29, v2
	s_delay_alu instid0(VALU_DEP_1) | instskip(SKIP_2) | instid1(VALU_DEP_4)
	v_add_co_ci_u32_e64 v3, null, 0, 0, s29
	s_lshl_b32 s27, s26, 1
	v_add_co_ci_u32_e64 v56, null, 0, 0, s28
	v_add_co_u32 v37, vcc_lo, s2, v4
	v_add_co_ci_u32_e32 v38, vcc_lo, s3, v5, vcc_lo
	v_add_co_u32 v39, vcc_lo, s4, v4
	v_add_co_ci_u32_e32 v40, vcc_lo, s5, v5, vcc_lo
	;; [unrolled: 2-line block ×7, first 2 shown]
	v_add_co_u32 v54, vcc_lo, s16, v2
	v_lshlrev_b32_e32 v2, 3, v53
	v_add_co_u32 v57, s27, s27, v0
	v_add_co_ci_u32_e32 v55, vcc_lo, s17, v3, vcc_lo
	s_delay_alu instid0(VALU_DEP_3) | instskip(NEXT) | instid1(VALU_DEP_1)
	v_add_co_u32 v59, s2, s2, v2
	v_add_co_ci_u32_e64 v60, null, s3, 0, s2
	v_add_co_u32 v61, s2, s4, v2
	s_delay_alu instid0(VALU_DEP_1) | instskip(SKIP_1) | instid1(VALU_DEP_1)
	v_add_co_ci_u32_e64 v62, null, s5, 0, s2
	v_add_co_u32 v63, s2, s6, v2
	v_add_co_ci_u32_e64 v64, null, s7, 0, s2
	v_add_co_u32 v65, s2, s16, v2
	v_add_co_ci_u32_e64 v58, null, 0, 0, s27
	v_add_co_ci_u32_e64 v66, null, s17, 0, s2
	s_lshl_b32 s7, s26, 2
	s_lshl_b32 s26, s26, 5
	s_mov_b64 s[16:17], 0
	s_branch .LBB47_4
.LBB47_3:                               ;   in Loop: Header=BB47_4 Depth=1
	s_or_b32 exec_lo, exec_lo, s2
	v_add_co_u32 v29, vcc_lo, v29, s26
	v_add_co_ci_u32_e32 v30, vcc_lo, 0, v30, vcc_lo
	v_add_co_u32 v31, vcc_lo, v31, s26
	v_add_co_ci_u32_e32 v32, vcc_lo, 0, v32, vcc_lo
	;; [unrolled: 2-line block ×13, first 2 shown]
	s_add_u32 s16, s16, s7
	v_add_co_u32 v61, vcc_lo, v61, s26
	s_addc_u32 s17, s17, 0
	v_add_co_ci_u32_e32 v62, vcc_lo, 0, v62, vcc_lo
	v_cmp_lt_i64_e64 s2, s[16:17], s[10:11]
	v_cmp_gt_u64_e64 s3, 0x10000, s[16:17]
	v_add_co_u32 v63, vcc_lo, v63, s26
	v_add_co_ci_u32_e32 v64, vcc_lo, 0, v64, vcc_lo
	v_add_co_u32 v65, vcc_lo, v65, s26
	v_add_co_ci_u32_e32 v66, vcc_lo, 0, v66, vcc_lo
	s_and_b32 s2, s2, s3
	s_delay_alu instid0(SALU_CYCLE_1)
	s_and_b32 vcc_lo, exec_lo, s2
	s_cbranch_vccz .LBB47_44
.LBB47_4:                               ; =>This Inner Loop Header: Depth=1
	v_add_co_u32 v2, s2, v0, s16
	s_delay_alu instid0(VALU_DEP_1) | instskip(SKIP_2) | instid1(VALU_DEP_2)
	v_add_co_ci_u32_e64 v3, null, 0, s17, s2
	v_mov_b32_e32 v13, 0
	v_mov_b32_e32 v14, 0
	;; [unrolled: 1-line block ×3, first 2 shown]
	s_delay_alu instid0(VALU_DEP_4) | instskip(NEXT) | instid1(VALU_DEP_3)
	v_cmp_gt_u64_e64 s5, s[14:15], v[2:3]
	v_dual_mov_b32 v3, v13 :: v_dual_mov_b32 v4, v14
	v_mov_b32_e32 v12, v14
	s_delay_alu instid0(VALU_DEP_3)
	s_and_saveexec_b32 s2, s5
	s_cbranch_execz .LBB47_6
; %bb.5:                                ;   in Loop: Header=BB47_4 Depth=1
	v_add_co_u32 v2, vcc_lo, v29, s12
	v_add_co_ci_u32_e32 v3, vcc_lo, s13, v30, vcc_lo
	v_add_co_u32 v5, vcc_lo, v31, s12
	v_add_co_ci_u32_e32 v6, vcc_lo, s13, v32, vcc_lo
	global_load_b64 v[3:4], v[2:3], off
	global_load_b64 v[11:12], v[5:6], off
.LBB47_6:                               ;   in Loop: Header=BB47_4 Depth=1
	s_or_b32 exec_lo, exec_lo, s2
	s_and_saveexec_b32 s2, s5
	s_cbranch_execz .LBB47_8
; %bb.7:                                ;   in Loop: Header=BB47_4 Depth=1
	v_add_co_u32 v5, vcc_lo, v33, s12
	v_add_co_ci_u32_e32 v6, vcc_lo, s13, v34, vcc_lo
	global_load_b64 v[13:14], v[5:6], off
.LBB47_8:                               ;   in Loop: Header=BB47_4 Depth=1
	s_or_b32 exec_lo, exec_lo, s2
	v_add_co_u32 v5, vcc_lo, v53, s16
	v_add_co_ci_u32_e32 v6, vcc_lo, s17, v56, vcc_lo
	v_mov_b32_e32 v27, 0
	v_mov_b32_e32 v28, 0
	s_delay_alu instid0(VALU_DEP_2) | instskip(NEXT) | instid1(VALU_DEP_4)
	v_mov_b32_e32 v21, v27
	v_cmp_gt_u64_e64 s2, s[14:15], v[5:6]
	s_delay_alu instid0(VALU_DEP_3) | instskip(SKIP_1) | instid1(VALU_DEP_3)
	v_dual_mov_b32 v5, v27 :: v_dual_mov_b32 v6, v28
	v_mov_b32_e32 v22, v28
	s_and_saveexec_b32 s3, s2
	s_cbranch_execz .LBB47_10
; %bb.9:                                ;   in Loop: Header=BB47_4 Depth=1
	v_add_co_u32 v5, vcc_lo, v59, s12
	v_add_co_ci_u32_e32 v6, vcc_lo, s13, v60, vcc_lo
	v_add_co_u32 v7, vcc_lo, v61, s12
	v_add_co_ci_u32_e32 v8, vcc_lo, s13, v62, vcc_lo
	global_load_b64 v[5:6], v[5:6], off
	global_load_b64 v[21:22], v[7:8], off
.LBB47_10:                              ;   in Loop: Header=BB47_4 Depth=1
	s_or_b32 exec_lo, exec_lo, s3
	s_and_saveexec_b32 s3, s2
	s_cbranch_execz .LBB47_12
; %bb.11:                               ;   in Loop: Header=BB47_4 Depth=1
	v_add_co_u32 v7, vcc_lo, v63, s12
	v_add_co_ci_u32_e32 v8, vcc_lo, s13, v64, vcc_lo
	global_load_b64 v[27:28], v[7:8], off
.LBB47_12:                              ;   in Loop: Header=BB47_4 Depth=1
	s_or_b32 exec_lo, exec_lo, s3
	v_add_co_u32 v7, vcc_lo, v57, s16
	v_add_co_ci_u32_e32 v8, vcc_lo, s17, v58, vcc_lo
	v_mov_b32_e32 v25, 0
	v_mov_b32_e32 v26, 0
	s_delay_alu instid0(VALU_DEP_2) | instskip(NEXT) | instid1(VALU_DEP_4)
	v_mov_b32_e32 v23, v25
	v_cmp_gt_u64_e64 s3, s[14:15], v[7:8]
	s_delay_alu instid0(VALU_DEP_3) | instskip(SKIP_1) | instid1(VALU_DEP_3)
	v_dual_mov_b32 v7, v25 :: v_dual_mov_b32 v8, v26
	v_mov_b32_e32 v24, v26
	s_and_saveexec_b32 s4, s3
	s_cbranch_execz .LBB47_14
; %bb.13:                               ;   in Loop: Header=BB47_4 Depth=1
	v_add_co_u32 v7, vcc_lo, v47, s12
	v_add_co_ci_u32_e32 v8, vcc_lo, s13, v48, vcc_lo
	v_add_co_u32 v9, vcc_lo, v49, s12
	v_add_co_ci_u32_e32 v10, vcc_lo, s13, v50, vcc_lo
	global_load_b64 v[7:8], v[7:8], off
	global_load_b64 v[23:24], v[9:10], off
.LBB47_14:                              ;   in Loop: Header=BB47_4 Depth=1
	s_or_b32 exec_lo, exec_lo, s4
	s_and_saveexec_b32 s4, s3
	s_cbranch_execz .LBB47_16
; %bb.15:                               ;   in Loop: Header=BB47_4 Depth=1
	v_add_co_u32 v9, vcc_lo, v51, s12
	v_add_co_ci_u32_e32 v10, vcc_lo, s13, v52, vcc_lo
	global_load_b64 v[25:26], v[9:10], off
.LBB47_16:                              ;   in Loop: Header=BB47_4 Depth=1
	s_or_b32 exec_lo, exec_lo, s4
	v_add_co_u32 v9, vcc_lo, v45, s16
	v_add_co_ci_u32_e32 v10, vcc_lo, s17, v46, vcc_lo
	v_mov_b32_e32 v19, 0
	v_mov_b32_e32 v20, 0
	s_delay_alu instid0(VALU_DEP_2) | instskip(NEXT) | instid1(VALU_DEP_4)
	v_mov_b32_e32 v17, v19
	v_cmp_gt_u64_e64 s4, s[14:15], v[9:10]
	s_delay_alu instid0(VALU_DEP_3) | instskip(SKIP_1) | instid1(VALU_DEP_3)
	v_dual_mov_b32 v9, v19 :: v_dual_mov_b32 v10, v20
	v_mov_b32_e32 v18, v20
	s_and_saveexec_b32 s6, s4
	s_cbranch_execz .LBB47_18
; %bb.17:                               ;   in Loop: Header=BB47_4 Depth=1
	v_add_co_u32 v9, vcc_lo, v37, s12
	v_add_co_ci_u32_e32 v10, vcc_lo, s13, v38, vcc_lo
	v_add_co_u32 v15, vcc_lo, v39, s12
	v_add_co_ci_u32_e32 v16, vcc_lo, s13, v40, vcc_lo
	global_load_b64 v[9:10], v[9:10], off
	global_load_b64 v[17:18], v[15:16], off
.LBB47_18:                              ;   in Loop: Header=BB47_4 Depth=1
	s_or_b32 exec_lo, exec_lo, s6
	s_and_saveexec_b32 s6, s4
	s_cbranch_execz .LBB47_20
; %bb.19:                               ;   in Loop: Header=BB47_4 Depth=1
	v_add_co_u32 v15, vcc_lo, v41, s12
	v_add_co_ci_u32_e32 v16, vcc_lo, s13, v42, vcc_lo
	global_load_b64 v[19:20], v[15:16], off
.LBB47_20:                              ;   in Loop: Header=BB47_4 Depth=1
	s_or_b32 exec_lo, exec_lo, s6
	s_waitcnt vmcnt(0)
	v_or_b32_e32 v2, v22, v28
                                        ; implicit-def: $vgpr15_vgpr16
	s_mov_b32 s6, exec_lo
	s_delay_alu instid0(VALU_DEP_1)
	v_cmpx_ne_u64_e32 0, v[1:2]
	s_xor_b32 s27, exec_lo, s6
	s_cbranch_execz .LBB47_22
; %bb.21:                               ;   in Loop: Header=BB47_4 Depth=1
	v_ashrrev_i32_e32 v2, 31, v28
	s_delay_alu instid0(VALU_DEP_1) | instskip(SKIP_1) | instid1(VALU_DEP_2)
	v_add_co_u32 v15, vcc_lo, v27, v2
	v_add_co_ci_u32_e32 v16, vcc_lo, v28, v2, vcc_lo
	v_xor_b32_e32 v69, v15, v2
	s_delay_alu instid0(VALU_DEP_2) | instskip(NEXT) | instid1(VALU_DEP_2)
	v_xor_b32_e32 v70, v16, v2
	v_cvt_f32_u32_e32 v15, v69
	v_sub_co_u32 v71, vcc_lo, 0, v69
	s_delay_alu instid0(VALU_DEP_3) | instskip(SKIP_1) | instid1(VALU_DEP_2)
	v_cvt_f32_u32_e32 v16, v70
	v_sub_co_ci_u32_e32 v72, vcc_lo, 0, v70, vcc_lo
	v_fmac_f32_e32 v15, 0x4f800000, v16
	s_delay_alu instid0(VALU_DEP_1) | instskip(SKIP_2) | instid1(VALU_DEP_1)
	v_rcp_f32_e32 v15, v15
	s_waitcnt_depctr 0xfff
	v_mul_f32_e32 v15, 0x5f7ffffc, v15
	v_mul_f32_e32 v16, 0x2f800000, v15
	s_delay_alu instid0(VALU_DEP_1) | instskip(NEXT) | instid1(VALU_DEP_1)
	v_trunc_f32_e32 v16, v16
	v_fmac_f32_e32 v15, 0xcf800000, v16
	v_cvt_u32_f32_e32 v73, v16
	s_delay_alu instid0(VALU_DEP_2) | instskip(NEXT) | instid1(VALU_DEP_2)
	v_cvt_u32_f32_e32 v74, v15
	v_mul_lo_u32 v27, v71, v73
	s_delay_alu instid0(VALU_DEP_2) | instskip(SKIP_1) | instid1(VALU_DEP_1)
	v_mul_lo_u32 v28, v72, v74
	v_mad_u64_u32 v[15:16], null, v71, v74, 0
	v_add3_u32 v75, v16, v27, v28
	s_delay_alu instid0(VALU_DEP_2) | instskip(SKIP_1) | instid1(VALU_DEP_3)
	v_mul_hi_u32 v76, v74, v15
	v_mad_u64_u32 v[67:68], null, v73, v15, 0
	v_mad_u64_u32 v[27:28], null, v74, v75, 0
	;; [unrolled: 1-line block ×3, first 2 shown]
	s_delay_alu instid0(VALU_DEP_2) | instskip(NEXT) | instid1(VALU_DEP_3)
	v_add_co_u32 v27, vcc_lo, v76, v27
	v_add_co_ci_u32_e32 v28, vcc_lo, 0, v28, vcc_lo
	s_delay_alu instid0(VALU_DEP_2) | instskip(NEXT) | instid1(VALU_DEP_2)
	v_add_co_u32 v27, vcc_lo, v27, v67
	v_add_co_ci_u32_e32 v27, vcc_lo, v28, v68, vcc_lo
	v_add_co_ci_u32_e32 v16, vcc_lo, 0, v16, vcc_lo
	s_delay_alu instid0(VALU_DEP_2) | instskip(NEXT) | instid1(VALU_DEP_2)
	v_add_co_u32 v15, vcc_lo, v27, v15
	v_add_co_ci_u32_e32 v16, vcc_lo, 0, v16, vcc_lo
	s_delay_alu instid0(VALU_DEP_2) | instskip(NEXT) | instid1(VALU_DEP_2)
	v_add_co_u32 v74, vcc_lo, v74, v15
	v_add_co_ci_u32_e32 v73, vcc_lo, v73, v16, vcc_lo
	s_delay_alu instid0(VALU_DEP_2) | instskip(SKIP_1) | instid1(VALU_DEP_3)
	v_mul_lo_u32 v27, v72, v74
	v_mad_u64_u32 v[15:16], null, v71, v74, 0
	v_mul_lo_u32 v28, v71, v73
	s_delay_alu instid0(VALU_DEP_2) | instskip(SKIP_1) | instid1(VALU_DEP_3)
	v_mul_hi_u32 v72, v74, v15
	v_mad_u64_u32 v[67:68], null, v73, v15, 0
	v_add3_u32 v71, v16, v28, v27
	s_delay_alu instid0(VALU_DEP_1) | instskip(SKIP_2) | instid1(VALU_DEP_3)
	v_mad_u64_u32 v[27:28], null, v74, v71, 0
	v_mad_u64_u32 v[15:16], null, v73, v71, 0
	v_ashrrev_i32_e32 v71, 31, v22
	v_add_co_u32 v27, vcc_lo, v72, v27
	s_delay_alu instid0(VALU_DEP_4) | instskip(NEXT) | instid1(VALU_DEP_3)
	v_add_co_ci_u32_e32 v28, vcc_lo, 0, v28, vcc_lo
	v_xor_b32_e32 v2, v71, v2
	s_delay_alu instid0(VALU_DEP_3) | instskip(NEXT) | instid1(VALU_DEP_3)
	v_add_co_u32 v27, vcc_lo, v27, v67
	v_add_co_ci_u32_e32 v27, vcc_lo, v28, v68, vcc_lo
	v_add_co_ci_u32_e32 v16, vcc_lo, 0, v16, vcc_lo
	v_add_co_u32 v21, vcc_lo, v21, v71
	v_add_co_ci_u32_e32 v22, vcc_lo, v22, v71, vcc_lo
	s_delay_alu instid0(VALU_DEP_4) | instskip(NEXT) | instid1(VALU_DEP_4)
	v_add_co_u32 v15, vcc_lo, v27, v15
	v_add_co_ci_u32_e32 v16, vcc_lo, 0, v16, vcc_lo
	s_delay_alu instid0(VALU_DEP_4) | instskip(NEXT) | instid1(VALU_DEP_3)
	v_xor_b32_e32 v67, v21, v71
	v_add_co_u32 v27, vcc_lo, v74, v15
	s_delay_alu instid0(VALU_DEP_3) | instskip(SKIP_1) | instid1(VALU_DEP_3)
	v_add_co_ci_u32_e32 v68, vcc_lo, v73, v16, vcc_lo
	v_xor_b32_e32 v72, v22, v71
	v_mul_hi_u32 v73, v67, v27
	s_delay_alu instid0(VALU_DEP_3) | instskip(NEXT) | instid1(VALU_DEP_3)
	v_mad_u64_u32 v[15:16], null, v67, v68, 0
	v_mad_u64_u32 v[21:22], null, v72, v27, 0
	v_mad_u64_u32 v[27:28], null, v72, v68, 0
	s_delay_alu instid0(VALU_DEP_3) | instskip(NEXT) | instid1(VALU_DEP_4)
	v_add_co_u32 v15, vcc_lo, v73, v15
	v_add_co_ci_u32_e32 v16, vcc_lo, 0, v16, vcc_lo
	s_delay_alu instid0(VALU_DEP_2) | instskip(NEXT) | instid1(VALU_DEP_2)
	v_add_co_u32 v15, vcc_lo, v15, v21
	v_add_co_ci_u32_e32 v15, vcc_lo, v16, v22, vcc_lo
	v_add_co_ci_u32_e32 v16, vcc_lo, 0, v28, vcc_lo
	s_delay_alu instid0(VALU_DEP_2) | instskip(NEXT) | instid1(VALU_DEP_2)
	v_add_co_u32 v21, vcc_lo, v15, v27
	v_add_co_ci_u32_e32 v22, vcc_lo, 0, v16, vcc_lo
	s_delay_alu instid0(VALU_DEP_2) | instskip(SKIP_1) | instid1(VALU_DEP_3)
	v_mul_lo_u32 v27, v70, v21
	v_mad_u64_u32 v[15:16], null, v69, v21, 0
	v_mul_lo_u32 v28, v69, v22
	s_delay_alu instid0(VALU_DEP_2) | instskip(NEXT) | instid1(VALU_DEP_2)
	v_sub_co_u32 v15, vcc_lo, v67, v15
	v_add3_u32 v16, v16, v28, v27
	s_delay_alu instid0(VALU_DEP_1) | instskip(NEXT) | instid1(VALU_DEP_1)
	v_sub_nc_u32_e32 v27, v72, v16
	v_sub_co_ci_u32_e64 v27, s6, v27, v70, vcc_lo
	v_add_co_u32 v28, s6, v21, 2
	s_delay_alu instid0(VALU_DEP_1) | instskip(SKIP_3) | instid1(VALU_DEP_3)
	v_add_co_ci_u32_e64 v67, s6, 0, v22, s6
	v_sub_co_u32 v68, s6, v15, v69
	v_sub_co_ci_u32_e32 v16, vcc_lo, v72, v16, vcc_lo
	v_subrev_co_ci_u32_e64 v27, s6, 0, v27, s6
	v_cmp_ge_u32_e32 vcc_lo, v68, v69
	s_delay_alu instid0(VALU_DEP_3) | instskip(SKIP_1) | instid1(VALU_DEP_4)
	v_cmp_eq_u32_e64 s6, v16, v70
	v_cndmask_b32_e64 v68, 0, -1, vcc_lo
	v_cmp_ge_u32_e32 vcc_lo, v27, v70
	v_cndmask_b32_e64 v72, 0, -1, vcc_lo
	v_cmp_ge_u32_e32 vcc_lo, v15, v69
	v_cndmask_b32_e64 v15, 0, -1, vcc_lo
	v_cmp_ge_u32_e32 vcc_lo, v16, v70
	v_cndmask_b32_e64 v69, 0, -1, vcc_lo
	v_cmp_eq_u32_e32 vcc_lo, v27, v70
	s_delay_alu instid0(VALU_DEP_2) | instskip(SKIP_3) | instid1(VALU_DEP_3)
	v_cndmask_b32_e64 v15, v69, v15, s6
	v_cndmask_b32_e32 v27, v72, v68, vcc_lo
	v_add_co_u32 v68, vcc_lo, v21, 1
	v_add_co_ci_u32_e32 v72, vcc_lo, 0, v22, vcc_lo
	v_cmp_ne_u32_e32 vcc_lo, 0, v27
	s_delay_alu instid0(VALU_DEP_2) | instskip(NEXT) | instid1(VALU_DEP_4)
	v_cndmask_b32_e32 v16, v72, v67, vcc_lo
	v_cndmask_b32_e32 v27, v68, v28, vcc_lo
	v_cmp_ne_u32_e32 vcc_lo, 0, v15
	s_delay_alu instid0(VALU_DEP_2) | instskip(NEXT) | instid1(VALU_DEP_1)
	v_dual_cndmask_b32 v15, v22, v16 :: v_dual_cndmask_b32 v16, v21, v27
                                        ; implicit-def: $vgpr27_vgpr28
	v_xor_b32_e32 v21, v15, v2
	s_delay_alu instid0(VALU_DEP_2) | instskip(NEXT) | instid1(VALU_DEP_1)
	v_xor_b32_e32 v16, v16, v2
	v_sub_co_u32 v15, vcc_lo, v16, v2
	s_delay_alu instid0(VALU_DEP_3)
	v_sub_co_ci_u32_e32 v16, vcc_lo, v21, v2, vcc_lo
                                        ; implicit-def: $vgpr21_vgpr22
.LBB47_22:                              ;   in Loop: Header=BB47_4 Depth=1
	s_and_not1_saveexec_b32 s6, s27
	s_cbranch_execz .LBB47_24
; %bb.23:                               ;   in Loop: Header=BB47_4 Depth=1
	v_cvt_f32_u32_e32 v2, v27
	v_sub_nc_u32_e32 v15, 0, v27
	s_delay_alu instid0(VALU_DEP_2) | instskip(SKIP_2) | instid1(VALU_DEP_1)
	v_rcp_iflag_f32_e32 v2, v2
	s_waitcnt_depctr 0xfff
	v_mul_f32_e32 v2, 0x4f7ffffe, v2
	v_cvt_u32_f32_e32 v2, v2
	s_delay_alu instid0(VALU_DEP_1) | instskip(NEXT) | instid1(VALU_DEP_1)
	v_mul_lo_u32 v15, v15, v2
	v_mul_hi_u32 v15, v2, v15
	s_delay_alu instid0(VALU_DEP_1) | instskip(NEXT) | instid1(VALU_DEP_1)
	v_add_nc_u32_e32 v2, v2, v15
	v_mul_hi_u32 v2, v21, v2
	s_delay_alu instid0(VALU_DEP_1) | instskip(SKIP_1) | instid1(VALU_DEP_2)
	v_mul_lo_u32 v15, v2, v27
	v_add_nc_u32_e32 v16, 1, v2
	v_sub_nc_u32_e32 v15, v21, v15
	s_delay_alu instid0(VALU_DEP_1) | instskip(SKIP_1) | instid1(VALU_DEP_2)
	v_sub_nc_u32_e32 v21, v15, v27
	v_cmp_ge_u32_e32 vcc_lo, v15, v27
	v_dual_cndmask_b32 v15, v15, v21 :: v_dual_cndmask_b32 v2, v2, v16
	s_delay_alu instid0(VALU_DEP_1) | instskip(NEXT) | instid1(VALU_DEP_2)
	v_cmp_ge_u32_e32 vcc_lo, v15, v27
	v_add_nc_u32_e32 v16, 1, v2
	s_delay_alu instid0(VALU_DEP_1)
	v_dual_cndmask_b32 v15, v2, v16 :: v_dual_mov_b32 v16, v1
.LBB47_24:                              ;   in Loop: Header=BB47_4 Depth=1
	s_or_b32 exec_lo, exec_lo, s6
	v_or_b32_e32 v2, v24, v26
                                        ; implicit-def: $vgpr21_vgpr22
	s_mov_b32 s6, exec_lo
	s_delay_alu instid0(VALU_DEP_1)
	v_cmpx_ne_u64_e32 0, v[1:2]
	s_xor_b32 s27, exec_lo, s6
	s_cbranch_execz .LBB47_26
; %bb.25:                               ;   in Loop: Header=BB47_4 Depth=1
	v_ashrrev_i32_e32 v2, 31, v26
	s_delay_alu instid0(VALU_DEP_1) | instskip(SKIP_1) | instid1(VALU_DEP_2)
	v_add_co_u32 v21, vcc_lo, v25, v2
	v_add_co_ci_u32_e32 v22, vcc_lo, v26, v2, vcc_lo
	v_xor_b32_e32 v67, v21, v2
	s_delay_alu instid0(VALU_DEP_2) | instskip(NEXT) | instid1(VALU_DEP_2)
	v_xor_b32_e32 v68, v22, v2
	v_cvt_f32_u32_e32 v21, v67
	v_sub_co_u32 v69, vcc_lo, 0, v67
	s_delay_alu instid0(VALU_DEP_3) | instskip(SKIP_1) | instid1(VALU_DEP_2)
	v_cvt_f32_u32_e32 v22, v68
	v_sub_co_ci_u32_e32 v70, vcc_lo, 0, v68, vcc_lo
	v_fmac_f32_e32 v21, 0x4f800000, v22
	s_delay_alu instid0(VALU_DEP_1) | instskip(SKIP_2) | instid1(VALU_DEP_1)
	v_rcp_f32_e32 v21, v21
	s_waitcnt_depctr 0xfff
	v_mul_f32_e32 v21, 0x5f7ffffc, v21
	v_mul_f32_e32 v22, 0x2f800000, v21
	s_delay_alu instid0(VALU_DEP_1) | instskip(NEXT) | instid1(VALU_DEP_1)
	v_trunc_f32_e32 v22, v22
	v_fmac_f32_e32 v21, 0xcf800000, v22
	v_cvt_u32_f32_e32 v71, v22
	s_delay_alu instid0(VALU_DEP_2) | instskip(NEXT) | instid1(VALU_DEP_2)
	v_cvt_u32_f32_e32 v72, v21
	v_mul_lo_u32 v25, v69, v71
	s_delay_alu instid0(VALU_DEP_2) | instskip(SKIP_1) | instid1(VALU_DEP_1)
	v_mul_lo_u32 v26, v70, v72
	v_mad_u64_u32 v[21:22], null, v69, v72, 0
	v_add3_u32 v73, v22, v25, v26
	s_delay_alu instid0(VALU_DEP_2) | instskip(SKIP_1) | instid1(VALU_DEP_3)
	v_mul_hi_u32 v74, v72, v21
	v_mad_u64_u32 v[27:28], null, v71, v21, 0
	v_mad_u64_u32 v[25:26], null, v72, v73, 0
	;; [unrolled: 1-line block ×3, first 2 shown]
	s_delay_alu instid0(VALU_DEP_2) | instskip(NEXT) | instid1(VALU_DEP_3)
	v_add_co_u32 v25, vcc_lo, v74, v25
	v_add_co_ci_u32_e32 v26, vcc_lo, 0, v26, vcc_lo
	s_delay_alu instid0(VALU_DEP_2) | instskip(NEXT) | instid1(VALU_DEP_2)
	v_add_co_u32 v25, vcc_lo, v25, v27
	v_add_co_ci_u32_e32 v25, vcc_lo, v26, v28, vcc_lo
	v_add_co_ci_u32_e32 v22, vcc_lo, 0, v22, vcc_lo
	s_delay_alu instid0(VALU_DEP_2) | instskip(NEXT) | instid1(VALU_DEP_2)
	v_add_co_u32 v21, vcc_lo, v25, v21
	v_add_co_ci_u32_e32 v22, vcc_lo, 0, v22, vcc_lo
	s_delay_alu instid0(VALU_DEP_2) | instskip(NEXT) | instid1(VALU_DEP_2)
	v_add_co_u32 v72, vcc_lo, v72, v21
	v_add_co_ci_u32_e32 v71, vcc_lo, v71, v22, vcc_lo
	s_delay_alu instid0(VALU_DEP_2) | instskip(SKIP_1) | instid1(VALU_DEP_3)
	v_mul_lo_u32 v25, v70, v72
	v_mad_u64_u32 v[21:22], null, v69, v72, 0
	v_mul_lo_u32 v26, v69, v71
	s_delay_alu instid0(VALU_DEP_2) | instskip(SKIP_1) | instid1(VALU_DEP_3)
	v_mul_hi_u32 v70, v72, v21
	v_mad_u64_u32 v[27:28], null, v71, v21, 0
	v_add3_u32 v69, v22, v26, v25
	s_delay_alu instid0(VALU_DEP_1) | instskip(SKIP_2) | instid1(VALU_DEP_3)
	v_mad_u64_u32 v[25:26], null, v72, v69, 0
	v_mad_u64_u32 v[21:22], null, v71, v69, 0
	v_ashrrev_i32_e32 v69, 31, v24
	v_add_co_u32 v25, vcc_lo, v70, v25
	s_delay_alu instid0(VALU_DEP_4) | instskip(NEXT) | instid1(VALU_DEP_3)
	v_add_co_ci_u32_e32 v26, vcc_lo, 0, v26, vcc_lo
	v_xor_b32_e32 v2, v69, v2
	s_delay_alu instid0(VALU_DEP_3) | instskip(NEXT) | instid1(VALU_DEP_3)
	v_add_co_u32 v25, vcc_lo, v25, v27
	v_add_co_ci_u32_e32 v25, vcc_lo, v26, v28, vcc_lo
	v_add_co_ci_u32_e32 v22, vcc_lo, 0, v22, vcc_lo
	v_add_co_u32 v23, vcc_lo, v23, v69
	v_add_co_ci_u32_e32 v24, vcc_lo, v24, v69, vcc_lo
	s_delay_alu instid0(VALU_DEP_4) | instskip(NEXT) | instid1(VALU_DEP_4)
	v_add_co_u32 v21, vcc_lo, v25, v21
	v_add_co_ci_u32_e32 v22, vcc_lo, 0, v22, vcc_lo
	s_delay_alu instid0(VALU_DEP_4) | instskip(NEXT) | instid1(VALU_DEP_3)
	v_xor_b32_e32 v27, v23, v69
	v_add_co_u32 v25, vcc_lo, v72, v21
	s_delay_alu instid0(VALU_DEP_3) | instskip(SKIP_1) | instid1(VALU_DEP_3)
	v_add_co_ci_u32_e32 v28, vcc_lo, v71, v22, vcc_lo
	v_xor_b32_e32 v70, v24, v69
	v_mul_hi_u32 v71, v27, v25
	s_delay_alu instid0(VALU_DEP_3) | instskip(NEXT) | instid1(VALU_DEP_3)
	v_mad_u64_u32 v[21:22], null, v27, v28, 0
	v_mad_u64_u32 v[23:24], null, v70, v25, 0
	;; [unrolled: 1-line block ×3, first 2 shown]
	s_delay_alu instid0(VALU_DEP_3) | instskip(NEXT) | instid1(VALU_DEP_4)
	v_add_co_u32 v21, vcc_lo, v71, v21
	v_add_co_ci_u32_e32 v22, vcc_lo, 0, v22, vcc_lo
	s_delay_alu instid0(VALU_DEP_2) | instskip(NEXT) | instid1(VALU_DEP_2)
	v_add_co_u32 v21, vcc_lo, v21, v23
	v_add_co_ci_u32_e32 v21, vcc_lo, v22, v24, vcc_lo
	v_add_co_ci_u32_e32 v22, vcc_lo, 0, v26, vcc_lo
	s_delay_alu instid0(VALU_DEP_2) | instskip(NEXT) | instid1(VALU_DEP_2)
	v_add_co_u32 v23, vcc_lo, v21, v25
	v_add_co_ci_u32_e32 v24, vcc_lo, 0, v22, vcc_lo
	s_delay_alu instid0(VALU_DEP_2) | instskip(SKIP_1) | instid1(VALU_DEP_3)
	v_mul_lo_u32 v25, v68, v23
	v_mad_u64_u32 v[21:22], null, v67, v23, 0
	v_mul_lo_u32 v26, v67, v24
	s_delay_alu instid0(VALU_DEP_2) | instskip(NEXT) | instid1(VALU_DEP_2)
	v_sub_co_u32 v21, vcc_lo, v27, v21
	v_add3_u32 v22, v22, v26, v25
	s_delay_alu instid0(VALU_DEP_1) | instskip(NEXT) | instid1(VALU_DEP_1)
	v_sub_nc_u32_e32 v25, v70, v22
	v_sub_co_ci_u32_e64 v25, s6, v25, v68, vcc_lo
	v_add_co_u32 v26, s6, v23, 2
	s_delay_alu instid0(VALU_DEP_1) | instskip(SKIP_3) | instid1(VALU_DEP_3)
	v_add_co_ci_u32_e64 v27, s6, 0, v24, s6
	v_sub_co_u32 v28, s6, v21, v67
	v_sub_co_ci_u32_e32 v22, vcc_lo, v70, v22, vcc_lo
	v_subrev_co_ci_u32_e64 v25, s6, 0, v25, s6
	v_cmp_ge_u32_e32 vcc_lo, v28, v67
	s_delay_alu instid0(VALU_DEP_3) | instskip(SKIP_1) | instid1(VALU_DEP_4)
	v_cmp_eq_u32_e64 s6, v22, v68
	v_cndmask_b32_e64 v28, 0, -1, vcc_lo
	v_cmp_ge_u32_e32 vcc_lo, v25, v68
	v_cndmask_b32_e64 v70, 0, -1, vcc_lo
	v_cmp_ge_u32_e32 vcc_lo, v21, v67
	;; [unrolled: 2-line block ×3, first 2 shown]
	v_cndmask_b32_e64 v67, 0, -1, vcc_lo
	v_cmp_eq_u32_e32 vcc_lo, v25, v68
	s_delay_alu instid0(VALU_DEP_2) | instskip(SKIP_3) | instid1(VALU_DEP_3)
	v_cndmask_b32_e64 v21, v67, v21, s6
	v_cndmask_b32_e32 v25, v70, v28, vcc_lo
	v_add_co_u32 v28, vcc_lo, v23, 1
	v_add_co_ci_u32_e32 v70, vcc_lo, 0, v24, vcc_lo
	v_cmp_ne_u32_e32 vcc_lo, 0, v25
	s_delay_alu instid0(VALU_DEP_2) | instskip(SKIP_1) | instid1(VALU_DEP_2)
	v_dual_cndmask_b32 v22, v70, v27 :: v_dual_cndmask_b32 v25, v28, v26
	v_cmp_ne_u32_e32 vcc_lo, 0, v21
	v_dual_cndmask_b32 v21, v24, v22 :: v_dual_cndmask_b32 v22, v23, v25
                                        ; implicit-def: $vgpr25_vgpr26
	s_delay_alu instid0(VALU_DEP_1) | instskip(NEXT) | instid1(VALU_DEP_2)
	v_xor_b32_e32 v23, v21, v2
	v_xor_b32_e32 v22, v22, v2
	s_delay_alu instid0(VALU_DEP_1) | instskip(NEXT) | instid1(VALU_DEP_3)
	v_sub_co_u32 v21, vcc_lo, v22, v2
	v_sub_co_ci_u32_e32 v22, vcc_lo, v23, v2, vcc_lo
                                        ; implicit-def: $vgpr23_vgpr24
.LBB47_26:                              ;   in Loop: Header=BB47_4 Depth=1
	s_and_not1_saveexec_b32 s6, s27
	s_cbranch_execz .LBB47_28
; %bb.27:                               ;   in Loop: Header=BB47_4 Depth=1
	v_cvt_f32_u32_e32 v2, v25
	v_sub_nc_u32_e32 v21, 0, v25
	s_delay_alu instid0(VALU_DEP_2) | instskip(SKIP_2) | instid1(VALU_DEP_1)
	v_rcp_iflag_f32_e32 v2, v2
	s_waitcnt_depctr 0xfff
	v_mul_f32_e32 v2, 0x4f7ffffe, v2
	v_cvt_u32_f32_e32 v2, v2
	s_delay_alu instid0(VALU_DEP_1) | instskip(NEXT) | instid1(VALU_DEP_1)
	v_mul_lo_u32 v21, v21, v2
	v_mul_hi_u32 v21, v2, v21
	s_delay_alu instid0(VALU_DEP_1) | instskip(NEXT) | instid1(VALU_DEP_1)
	v_add_nc_u32_e32 v2, v2, v21
	v_mul_hi_u32 v2, v23, v2
	s_delay_alu instid0(VALU_DEP_1) | instskip(SKIP_1) | instid1(VALU_DEP_2)
	v_mul_lo_u32 v21, v2, v25
	v_add_nc_u32_e32 v22, 1, v2
	v_sub_nc_u32_e32 v21, v23, v21
	s_delay_alu instid0(VALU_DEP_1) | instskip(SKIP_1) | instid1(VALU_DEP_2)
	v_sub_nc_u32_e32 v23, v21, v25
	v_cmp_ge_u32_e32 vcc_lo, v21, v25
	v_dual_cndmask_b32 v21, v21, v23 :: v_dual_cndmask_b32 v2, v2, v22
	s_delay_alu instid0(VALU_DEP_1) | instskip(NEXT) | instid1(VALU_DEP_2)
	v_cmp_ge_u32_e32 vcc_lo, v21, v25
	v_add_nc_u32_e32 v22, 1, v2
	s_delay_alu instid0(VALU_DEP_1)
	v_dual_cndmask_b32 v21, v2, v22 :: v_dual_mov_b32 v22, v1
.LBB47_28:                              ;   in Loop: Header=BB47_4 Depth=1
	s_or_b32 exec_lo, exec_lo, s6
	v_or_b32_e32 v2, v18, v20
                                        ; implicit-def: $vgpr23_vgpr24
	s_mov_b32 s6, exec_lo
	s_delay_alu instid0(VALU_DEP_1)
	v_cmpx_ne_u64_e32 0, v[1:2]
	s_xor_b32 s27, exec_lo, s6
	s_cbranch_execnz .LBB47_34
; %bb.29:                               ;   in Loop: Header=BB47_4 Depth=1
	s_and_not1_saveexec_b32 s6, s27
	s_cbranch_execnz .LBB47_35
.LBB47_30:                              ;   in Loop: Header=BB47_4 Depth=1
	s_or_b32 exec_lo, exec_lo, s6
	s_and_saveexec_b32 s6, s5
	s_cbranch_execnz .LBB47_36
.LBB47_31:                              ;   in Loop: Header=BB47_4 Depth=1
	s_or_b32 exec_lo, exec_lo, s6
	s_and_saveexec_b32 s5, s2
	s_cbranch_execnz .LBB47_41
.LBB47_32:                              ;   in Loop: Header=BB47_4 Depth=1
	s_or_b32 exec_lo, exec_lo, s5
	s_and_saveexec_b32 s2, s3
	s_cbranch_execnz .LBB47_42
.LBB47_33:                              ;   in Loop: Header=BB47_4 Depth=1
	s_or_b32 exec_lo, exec_lo, s2
	s_and_saveexec_b32 s2, s4
	s_cbranch_execz .LBB47_3
	s_branch .LBB47_43
.LBB47_34:                              ;   in Loop: Header=BB47_4 Depth=1
	v_ashrrev_i32_e32 v2, 31, v20
	s_delay_alu instid0(VALU_DEP_1) | instskip(SKIP_1) | instid1(VALU_DEP_2)
	v_add_co_u32 v19, vcc_lo, v19, v2
	v_add_co_ci_u32_e32 v20, vcc_lo, v20, v2, vcc_lo
	v_xor_b32_e32 v27, v19, v2
	s_delay_alu instid0(VALU_DEP_2) | instskip(NEXT) | instid1(VALU_DEP_2)
	v_xor_b32_e32 v28, v20, v2
	v_cvt_f32_u32_e32 v19, v27
	v_sub_co_u32 v67, vcc_lo, 0, v27
	s_delay_alu instid0(VALU_DEP_3) | instskip(SKIP_1) | instid1(VALU_DEP_2)
	v_cvt_f32_u32_e32 v20, v28
	v_sub_co_ci_u32_e32 v68, vcc_lo, 0, v28, vcc_lo
	v_fmac_f32_e32 v19, 0x4f800000, v20
	s_delay_alu instid0(VALU_DEP_1) | instskip(SKIP_2) | instid1(VALU_DEP_1)
	v_rcp_f32_e32 v19, v19
	s_waitcnt_depctr 0xfff
	v_mul_f32_e32 v19, 0x5f7ffffc, v19
	v_mul_f32_e32 v20, 0x2f800000, v19
	s_delay_alu instid0(VALU_DEP_1) | instskip(NEXT) | instid1(VALU_DEP_1)
	v_trunc_f32_e32 v20, v20
	v_fmac_f32_e32 v19, 0xcf800000, v20
	v_cvt_u32_f32_e32 v69, v20
	s_delay_alu instid0(VALU_DEP_2) | instskip(NEXT) | instid1(VALU_DEP_2)
	v_cvt_u32_f32_e32 v70, v19
	v_mul_lo_u32 v23, v67, v69
	s_delay_alu instid0(VALU_DEP_2) | instskip(SKIP_1) | instid1(VALU_DEP_1)
	v_mul_lo_u32 v24, v68, v70
	v_mad_u64_u32 v[19:20], null, v67, v70, 0
	v_add3_u32 v71, v20, v23, v24
	s_delay_alu instid0(VALU_DEP_2) | instskip(SKIP_1) | instid1(VALU_DEP_3)
	v_mul_hi_u32 v72, v70, v19
	v_mad_u64_u32 v[25:26], null, v69, v19, 0
	v_mad_u64_u32 v[23:24], null, v70, v71, 0
	;; [unrolled: 1-line block ×3, first 2 shown]
	s_delay_alu instid0(VALU_DEP_2) | instskip(NEXT) | instid1(VALU_DEP_3)
	v_add_co_u32 v23, vcc_lo, v72, v23
	v_add_co_ci_u32_e32 v24, vcc_lo, 0, v24, vcc_lo
	s_delay_alu instid0(VALU_DEP_2) | instskip(NEXT) | instid1(VALU_DEP_2)
	v_add_co_u32 v23, vcc_lo, v23, v25
	v_add_co_ci_u32_e32 v23, vcc_lo, v24, v26, vcc_lo
	v_add_co_ci_u32_e32 v20, vcc_lo, 0, v20, vcc_lo
	s_delay_alu instid0(VALU_DEP_2) | instskip(NEXT) | instid1(VALU_DEP_2)
	v_add_co_u32 v19, vcc_lo, v23, v19
	v_add_co_ci_u32_e32 v20, vcc_lo, 0, v20, vcc_lo
	s_delay_alu instid0(VALU_DEP_2) | instskip(NEXT) | instid1(VALU_DEP_2)
	v_add_co_u32 v70, vcc_lo, v70, v19
	v_add_co_ci_u32_e32 v69, vcc_lo, v69, v20, vcc_lo
	s_delay_alu instid0(VALU_DEP_2) | instskip(SKIP_1) | instid1(VALU_DEP_3)
	v_mul_lo_u32 v23, v68, v70
	v_mad_u64_u32 v[19:20], null, v67, v70, 0
	v_mul_lo_u32 v24, v67, v69
	s_delay_alu instid0(VALU_DEP_2) | instskip(SKIP_1) | instid1(VALU_DEP_3)
	v_mul_hi_u32 v68, v70, v19
	v_mad_u64_u32 v[25:26], null, v69, v19, 0
	v_add3_u32 v67, v20, v24, v23
	s_delay_alu instid0(VALU_DEP_1) | instskip(SKIP_2) | instid1(VALU_DEP_3)
	v_mad_u64_u32 v[23:24], null, v70, v67, 0
	v_mad_u64_u32 v[19:20], null, v69, v67, 0
	v_ashrrev_i32_e32 v67, 31, v18
	v_add_co_u32 v23, vcc_lo, v68, v23
	s_delay_alu instid0(VALU_DEP_4) | instskip(NEXT) | instid1(VALU_DEP_3)
	v_add_co_ci_u32_e32 v24, vcc_lo, 0, v24, vcc_lo
	v_xor_b32_e32 v2, v67, v2
	s_delay_alu instid0(VALU_DEP_3) | instskip(NEXT) | instid1(VALU_DEP_3)
	v_add_co_u32 v23, vcc_lo, v23, v25
	v_add_co_ci_u32_e32 v23, vcc_lo, v24, v26, vcc_lo
	v_add_co_ci_u32_e32 v20, vcc_lo, 0, v20, vcc_lo
	v_add_co_u32 v17, vcc_lo, v17, v67
	v_add_co_ci_u32_e32 v18, vcc_lo, v18, v67, vcc_lo
	s_delay_alu instid0(VALU_DEP_4) | instskip(NEXT) | instid1(VALU_DEP_4)
	v_add_co_u32 v19, vcc_lo, v23, v19
	v_add_co_ci_u32_e32 v20, vcc_lo, 0, v20, vcc_lo
	s_delay_alu instid0(VALU_DEP_4) | instskip(NEXT) | instid1(VALU_DEP_3)
	v_xor_b32_e32 v25, v17, v67
	v_add_co_u32 v23, vcc_lo, v70, v19
	s_delay_alu instid0(VALU_DEP_3) | instskip(SKIP_1) | instid1(VALU_DEP_3)
	v_add_co_ci_u32_e32 v26, vcc_lo, v69, v20, vcc_lo
	v_xor_b32_e32 v68, v18, v67
	v_mul_hi_u32 v69, v25, v23
	s_delay_alu instid0(VALU_DEP_3) | instskip(NEXT) | instid1(VALU_DEP_3)
	v_mad_u64_u32 v[17:18], null, v25, v26, 0
	v_mad_u64_u32 v[19:20], null, v68, v23, 0
	;; [unrolled: 1-line block ×3, first 2 shown]
	s_delay_alu instid0(VALU_DEP_3) | instskip(NEXT) | instid1(VALU_DEP_4)
	v_add_co_u32 v17, vcc_lo, v69, v17
	v_add_co_ci_u32_e32 v18, vcc_lo, 0, v18, vcc_lo
	s_delay_alu instid0(VALU_DEP_2) | instskip(NEXT) | instid1(VALU_DEP_2)
	v_add_co_u32 v17, vcc_lo, v17, v19
	v_add_co_ci_u32_e32 v17, vcc_lo, v18, v20, vcc_lo
	v_add_co_ci_u32_e32 v18, vcc_lo, 0, v24, vcc_lo
	s_delay_alu instid0(VALU_DEP_2) | instskip(NEXT) | instid1(VALU_DEP_2)
	v_add_co_u32 v19, vcc_lo, v17, v23
	v_add_co_ci_u32_e32 v20, vcc_lo, 0, v18, vcc_lo
	s_delay_alu instid0(VALU_DEP_2) | instskip(SKIP_1) | instid1(VALU_DEP_3)
	v_mul_lo_u32 v23, v28, v19
	v_mad_u64_u32 v[17:18], null, v27, v19, 0
	v_mul_lo_u32 v24, v27, v20
	s_delay_alu instid0(VALU_DEP_2) | instskip(NEXT) | instid1(VALU_DEP_2)
	v_sub_co_u32 v17, vcc_lo, v25, v17
	v_add3_u32 v18, v18, v24, v23
	s_delay_alu instid0(VALU_DEP_1) | instskip(NEXT) | instid1(VALU_DEP_1)
	v_sub_nc_u32_e32 v23, v68, v18
	v_sub_co_ci_u32_e64 v23, s6, v23, v28, vcc_lo
	v_add_co_u32 v24, s6, v19, 2
	s_delay_alu instid0(VALU_DEP_1) | instskip(SKIP_3) | instid1(VALU_DEP_3)
	v_add_co_ci_u32_e64 v25, s6, 0, v20, s6
	v_sub_co_u32 v26, s6, v17, v27
	v_sub_co_ci_u32_e32 v18, vcc_lo, v68, v18, vcc_lo
	v_subrev_co_ci_u32_e64 v23, s6, 0, v23, s6
	v_cmp_ge_u32_e32 vcc_lo, v26, v27
	s_delay_alu instid0(VALU_DEP_3) | instskip(SKIP_1) | instid1(VALU_DEP_4)
	v_cmp_eq_u32_e64 s6, v18, v28
	v_cndmask_b32_e64 v26, 0, -1, vcc_lo
	v_cmp_ge_u32_e32 vcc_lo, v23, v28
	v_cndmask_b32_e64 v68, 0, -1, vcc_lo
	v_cmp_ge_u32_e32 vcc_lo, v17, v27
	;; [unrolled: 2-line block ×3, first 2 shown]
	v_cndmask_b32_e64 v27, 0, -1, vcc_lo
	v_cmp_eq_u32_e32 vcc_lo, v23, v28
	s_delay_alu instid0(VALU_DEP_2) | instskip(SKIP_3) | instid1(VALU_DEP_3)
	v_cndmask_b32_e64 v17, v27, v17, s6
	v_cndmask_b32_e32 v23, v68, v26, vcc_lo
	v_add_co_u32 v26, vcc_lo, v19, 1
	v_add_co_ci_u32_e32 v68, vcc_lo, 0, v20, vcc_lo
	v_cmp_ne_u32_e32 vcc_lo, 0, v23
	s_delay_alu instid0(VALU_DEP_2) | instskip(SKIP_1) | instid1(VALU_DEP_2)
	v_dual_cndmask_b32 v18, v68, v25 :: v_dual_cndmask_b32 v23, v26, v24
	v_cmp_ne_u32_e32 vcc_lo, 0, v17
	v_dual_cndmask_b32 v17, v20, v18 :: v_dual_cndmask_b32 v18, v19, v23
                                        ; implicit-def: $vgpr19_vgpr20
	s_delay_alu instid0(VALU_DEP_1) | instskip(NEXT) | instid1(VALU_DEP_2)
	v_xor_b32_e32 v17, v17, v2
	v_xor_b32_e32 v18, v18, v2
	s_delay_alu instid0(VALU_DEP_1) | instskip(NEXT) | instid1(VALU_DEP_3)
	v_sub_co_u32 v23, vcc_lo, v18, v2
	v_sub_co_ci_u32_e32 v24, vcc_lo, v17, v2, vcc_lo
                                        ; implicit-def: $vgpr17_vgpr18
	s_and_not1_saveexec_b32 s6, s27
	s_cbranch_execz .LBB47_30
.LBB47_35:                              ;   in Loop: Header=BB47_4 Depth=1
	v_cvt_f32_u32_e32 v2, v19
	v_sub_nc_u32_e32 v18, 0, v19
	v_mov_b32_e32 v24, v1
	s_delay_alu instid0(VALU_DEP_3) | instskip(SKIP_2) | instid1(VALU_DEP_1)
	v_rcp_iflag_f32_e32 v2, v2
	s_waitcnt_depctr 0xfff
	v_mul_f32_e32 v2, 0x4f7ffffe, v2
	v_cvt_u32_f32_e32 v2, v2
	s_delay_alu instid0(VALU_DEP_1) | instskip(NEXT) | instid1(VALU_DEP_1)
	v_mul_lo_u32 v18, v18, v2
	v_mul_hi_u32 v18, v2, v18
	s_delay_alu instid0(VALU_DEP_1) | instskip(NEXT) | instid1(VALU_DEP_1)
	v_add_nc_u32_e32 v2, v2, v18
	v_mul_hi_u32 v2, v17, v2
	s_delay_alu instid0(VALU_DEP_1) | instskip(NEXT) | instid1(VALU_DEP_1)
	v_mul_lo_u32 v18, v2, v19
	v_sub_nc_u32_e32 v17, v17, v18
	v_add_nc_u32_e32 v18, 1, v2
	s_delay_alu instid0(VALU_DEP_2) | instskip(SKIP_1) | instid1(VALU_DEP_2)
	v_sub_nc_u32_e32 v20, v17, v19
	v_cmp_ge_u32_e32 vcc_lo, v17, v19
	v_dual_cndmask_b32 v17, v17, v20 :: v_dual_cndmask_b32 v2, v2, v18
	s_delay_alu instid0(VALU_DEP_1) | instskip(NEXT) | instid1(VALU_DEP_2)
	v_cmp_ge_u32_e32 vcc_lo, v17, v19
	v_add_nc_u32_e32 v18, 1, v2
	s_delay_alu instid0(VALU_DEP_1)
	v_cndmask_b32_e32 v23, v2, v18, vcc_lo
	s_or_b32 exec_lo, exec_lo, s6
	s_and_saveexec_b32 s6, s5
	s_cbranch_execz .LBB47_31
.LBB47_36:                              ;   in Loop: Header=BB47_4 Depth=1
	v_or_b32_e32 v2, v12, v14
                                        ; implicit-def: $vgpr17_vgpr18
	s_mov_b32 s5, exec_lo
	s_delay_alu instid0(VALU_DEP_1)
	v_cmpx_ne_u64_e32 0, v[1:2]
	s_xor_b32 s27, exec_lo, s5
	s_cbranch_execz .LBB47_38
; %bb.37:                               ;   in Loop: Header=BB47_4 Depth=1
	v_ashrrev_i32_e32 v2, 31, v14
	s_delay_alu instid0(VALU_DEP_1) | instskip(SKIP_1) | instid1(VALU_DEP_2)
	v_add_co_u32 v13, vcc_lo, v13, v2
	v_add_co_ci_u32_e32 v14, vcc_lo, v14, v2, vcc_lo
	v_xor_b32_e32 v25, v13, v2
	s_delay_alu instid0(VALU_DEP_2) | instskip(NEXT) | instid1(VALU_DEP_2)
	v_xor_b32_e32 v26, v14, v2
	v_cvt_f32_u32_e32 v13, v25
	v_sub_co_u32 v27, vcc_lo, 0, v25
	s_delay_alu instid0(VALU_DEP_3) | instskip(SKIP_1) | instid1(VALU_DEP_2)
	v_cvt_f32_u32_e32 v14, v26
	v_sub_co_ci_u32_e32 v28, vcc_lo, 0, v26, vcc_lo
	v_fmac_f32_e32 v13, 0x4f800000, v14
	s_delay_alu instid0(VALU_DEP_1) | instskip(SKIP_2) | instid1(VALU_DEP_1)
	v_rcp_f32_e32 v13, v13
	s_waitcnt_depctr 0xfff
	v_mul_f32_e32 v13, 0x5f7ffffc, v13
	v_mul_f32_e32 v14, 0x2f800000, v13
	s_delay_alu instid0(VALU_DEP_1) | instskip(NEXT) | instid1(VALU_DEP_1)
	v_trunc_f32_e32 v14, v14
	v_fmac_f32_e32 v13, 0xcf800000, v14
	v_cvt_u32_f32_e32 v67, v14
	s_delay_alu instid0(VALU_DEP_2) | instskip(NEXT) | instid1(VALU_DEP_2)
	v_cvt_u32_f32_e32 v68, v13
	v_mul_lo_u32 v17, v27, v67
	s_delay_alu instid0(VALU_DEP_2) | instskip(SKIP_1) | instid1(VALU_DEP_1)
	v_mul_lo_u32 v18, v28, v68
	v_mad_u64_u32 v[13:14], null, v27, v68, 0
	v_add3_u32 v69, v14, v17, v18
	s_delay_alu instid0(VALU_DEP_2) | instskip(SKIP_1) | instid1(VALU_DEP_3)
	v_mul_hi_u32 v70, v68, v13
	v_mad_u64_u32 v[19:20], null, v67, v13, 0
	v_mad_u64_u32 v[17:18], null, v68, v69, 0
	;; [unrolled: 1-line block ×3, first 2 shown]
	s_delay_alu instid0(VALU_DEP_2) | instskip(NEXT) | instid1(VALU_DEP_3)
	v_add_co_u32 v17, vcc_lo, v70, v17
	v_add_co_ci_u32_e32 v18, vcc_lo, 0, v18, vcc_lo
	s_delay_alu instid0(VALU_DEP_2) | instskip(NEXT) | instid1(VALU_DEP_2)
	v_add_co_u32 v17, vcc_lo, v17, v19
	v_add_co_ci_u32_e32 v17, vcc_lo, v18, v20, vcc_lo
	v_add_co_ci_u32_e32 v14, vcc_lo, 0, v14, vcc_lo
	s_delay_alu instid0(VALU_DEP_2) | instskip(NEXT) | instid1(VALU_DEP_2)
	v_add_co_u32 v13, vcc_lo, v17, v13
	v_add_co_ci_u32_e32 v14, vcc_lo, 0, v14, vcc_lo
	s_delay_alu instid0(VALU_DEP_2) | instskip(NEXT) | instid1(VALU_DEP_2)
	v_add_co_u32 v68, vcc_lo, v68, v13
	v_add_co_ci_u32_e32 v67, vcc_lo, v67, v14, vcc_lo
	s_delay_alu instid0(VALU_DEP_2) | instskip(SKIP_1) | instid1(VALU_DEP_3)
	v_mul_lo_u32 v17, v28, v68
	v_mad_u64_u32 v[13:14], null, v27, v68, 0
	v_mul_lo_u32 v18, v27, v67
	s_delay_alu instid0(VALU_DEP_2) | instskip(SKIP_1) | instid1(VALU_DEP_3)
	v_mul_hi_u32 v28, v68, v13
	v_mad_u64_u32 v[19:20], null, v67, v13, 0
	v_add3_u32 v27, v14, v18, v17
	s_delay_alu instid0(VALU_DEP_1) | instskip(SKIP_2) | instid1(VALU_DEP_3)
	v_mad_u64_u32 v[17:18], null, v68, v27, 0
	v_mad_u64_u32 v[13:14], null, v67, v27, 0
	v_ashrrev_i32_e32 v27, 31, v12
	v_add_co_u32 v17, vcc_lo, v28, v17
	s_delay_alu instid0(VALU_DEP_4) | instskip(NEXT) | instid1(VALU_DEP_3)
	v_add_co_ci_u32_e32 v18, vcc_lo, 0, v18, vcc_lo
	v_xor_b32_e32 v2, v27, v2
	s_delay_alu instid0(VALU_DEP_3) | instskip(NEXT) | instid1(VALU_DEP_3)
	v_add_co_u32 v17, vcc_lo, v17, v19
	v_add_co_ci_u32_e32 v17, vcc_lo, v18, v20, vcc_lo
	v_add_co_ci_u32_e32 v14, vcc_lo, 0, v14, vcc_lo
	v_add_co_u32 v11, vcc_lo, v11, v27
	v_add_co_ci_u32_e32 v12, vcc_lo, v12, v27, vcc_lo
	s_delay_alu instid0(VALU_DEP_4) | instskip(NEXT) | instid1(VALU_DEP_4)
	v_add_co_u32 v13, vcc_lo, v17, v13
	v_add_co_ci_u32_e32 v14, vcc_lo, 0, v14, vcc_lo
	s_delay_alu instid0(VALU_DEP_4) | instskip(NEXT) | instid1(VALU_DEP_3)
	v_xor_b32_e32 v19, v11, v27
	v_add_co_u32 v17, vcc_lo, v68, v13
	s_delay_alu instid0(VALU_DEP_3) | instskip(SKIP_1) | instid1(VALU_DEP_3)
	v_add_co_ci_u32_e32 v20, vcc_lo, v67, v14, vcc_lo
	v_xor_b32_e32 v28, v12, v27
	v_mul_hi_u32 v67, v19, v17
	s_delay_alu instid0(VALU_DEP_3) | instskip(NEXT) | instid1(VALU_DEP_3)
	v_mad_u64_u32 v[11:12], null, v19, v20, 0
	v_mad_u64_u32 v[13:14], null, v28, v17, 0
	;; [unrolled: 1-line block ×3, first 2 shown]
	s_delay_alu instid0(VALU_DEP_3) | instskip(NEXT) | instid1(VALU_DEP_4)
	v_add_co_u32 v11, vcc_lo, v67, v11
	v_add_co_ci_u32_e32 v12, vcc_lo, 0, v12, vcc_lo
	s_delay_alu instid0(VALU_DEP_2) | instskip(NEXT) | instid1(VALU_DEP_2)
	v_add_co_u32 v11, vcc_lo, v11, v13
	v_add_co_ci_u32_e32 v11, vcc_lo, v12, v14, vcc_lo
	v_add_co_ci_u32_e32 v12, vcc_lo, 0, v18, vcc_lo
	s_delay_alu instid0(VALU_DEP_2) | instskip(NEXT) | instid1(VALU_DEP_2)
	v_add_co_u32 v13, vcc_lo, v11, v17
	v_add_co_ci_u32_e32 v14, vcc_lo, 0, v12, vcc_lo
	s_delay_alu instid0(VALU_DEP_2) | instskip(SKIP_1) | instid1(VALU_DEP_3)
	v_mul_lo_u32 v17, v26, v13
	v_mad_u64_u32 v[11:12], null, v25, v13, 0
	v_mul_lo_u32 v18, v25, v14
	s_delay_alu instid0(VALU_DEP_2) | instskip(NEXT) | instid1(VALU_DEP_2)
	v_sub_co_u32 v11, vcc_lo, v19, v11
	v_add3_u32 v12, v12, v18, v17
	s_delay_alu instid0(VALU_DEP_1) | instskip(NEXT) | instid1(VALU_DEP_1)
	v_sub_nc_u32_e32 v17, v28, v12
	v_sub_co_ci_u32_e64 v17, s5, v17, v26, vcc_lo
	v_add_co_u32 v18, s5, v13, 2
	s_delay_alu instid0(VALU_DEP_1) | instskip(SKIP_3) | instid1(VALU_DEP_3)
	v_add_co_ci_u32_e64 v19, s5, 0, v14, s5
	v_sub_co_u32 v20, s5, v11, v25
	v_sub_co_ci_u32_e32 v12, vcc_lo, v28, v12, vcc_lo
	v_subrev_co_ci_u32_e64 v17, s5, 0, v17, s5
	v_cmp_ge_u32_e32 vcc_lo, v20, v25
	s_delay_alu instid0(VALU_DEP_3) | instskip(SKIP_1) | instid1(VALU_DEP_4)
	v_cmp_eq_u32_e64 s5, v12, v26
	v_cndmask_b32_e64 v20, 0, -1, vcc_lo
	v_cmp_ge_u32_e32 vcc_lo, v17, v26
	v_cndmask_b32_e64 v28, 0, -1, vcc_lo
	v_cmp_ge_u32_e32 vcc_lo, v11, v25
	;; [unrolled: 2-line block ×3, first 2 shown]
	v_cndmask_b32_e64 v25, 0, -1, vcc_lo
	v_cmp_eq_u32_e32 vcc_lo, v17, v26
	s_delay_alu instid0(VALU_DEP_2) | instskip(SKIP_3) | instid1(VALU_DEP_3)
	v_cndmask_b32_e64 v11, v25, v11, s5
	v_cndmask_b32_e32 v17, v28, v20, vcc_lo
	v_add_co_u32 v20, vcc_lo, v13, 1
	v_add_co_ci_u32_e32 v28, vcc_lo, 0, v14, vcc_lo
	v_cmp_ne_u32_e32 vcc_lo, 0, v17
	s_delay_alu instid0(VALU_DEP_2) | instskip(NEXT) | instid1(VALU_DEP_4)
	v_cndmask_b32_e32 v12, v28, v19, vcc_lo
	v_cndmask_b32_e32 v17, v20, v18, vcc_lo
	v_cmp_ne_u32_e32 vcc_lo, 0, v11
	s_delay_alu instid0(VALU_DEP_2) | instskip(NEXT) | instid1(VALU_DEP_1)
	v_dual_cndmask_b32 v11, v14, v12 :: v_dual_cndmask_b32 v12, v13, v17
                                        ; implicit-def: $vgpr13_vgpr14
	v_xor_b32_e32 v11, v11, v2
	s_delay_alu instid0(VALU_DEP_2) | instskip(NEXT) | instid1(VALU_DEP_1)
	v_xor_b32_e32 v12, v12, v2
	v_sub_co_u32 v17, vcc_lo, v12, v2
	s_delay_alu instid0(VALU_DEP_3)
	v_sub_co_ci_u32_e32 v18, vcc_lo, v11, v2, vcc_lo
                                        ; implicit-def: $vgpr11_vgpr12
.LBB47_38:                              ;   in Loop: Header=BB47_4 Depth=1
	s_and_not1_saveexec_b32 s5, s27
	s_cbranch_execz .LBB47_40
; %bb.39:                               ;   in Loop: Header=BB47_4 Depth=1
	v_cvt_f32_u32_e32 v2, v13
	v_sub_nc_u32_e32 v12, 0, v13
	v_mov_b32_e32 v18, v1
	s_delay_alu instid0(VALU_DEP_3) | instskip(SKIP_2) | instid1(VALU_DEP_1)
	v_rcp_iflag_f32_e32 v2, v2
	s_waitcnt_depctr 0xfff
	v_mul_f32_e32 v2, 0x4f7ffffe, v2
	v_cvt_u32_f32_e32 v2, v2
	s_delay_alu instid0(VALU_DEP_1) | instskip(NEXT) | instid1(VALU_DEP_1)
	v_mul_lo_u32 v12, v12, v2
	v_mul_hi_u32 v12, v2, v12
	s_delay_alu instid0(VALU_DEP_1) | instskip(NEXT) | instid1(VALU_DEP_1)
	v_add_nc_u32_e32 v2, v2, v12
	v_mul_hi_u32 v2, v11, v2
	s_delay_alu instid0(VALU_DEP_1) | instskip(NEXT) | instid1(VALU_DEP_1)
	v_mul_lo_u32 v12, v2, v13
	v_sub_nc_u32_e32 v11, v11, v12
	v_add_nc_u32_e32 v12, 1, v2
	s_delay_alu instid0(VALU_DEP_2) | instskip(SKIP_1) | instid1(VALU_DEP_2)
	v_sub_nc_u32_e32 v14, v11, v13
	v_cmp_ge_u32_e32 vcc_lo, v11, v13
	v_dual_cndmask_b32 v11, v11, v14 :: v_dual_cndmask_b32 v2, v2, v12
	s_delay_alu instid0(VALU_DEP_1) | instskip(NEXT) | instid1(VALU_DEP_2)
	v_cmp_ge_u32_e32 vcc_lo, v11, v13
	v_add_nc_u32_e32 v12, 1, v2
	s_delay_alu instid0(VALU_DEP_1)
	v_cndmask_b32_e32 v17, v2, v12, vcc_lo
.LBB47_40:                              ;   in Loop: Header=BB47_4 Depth=1
	s_or_b32 exec_lo, exec_lo, s5
	s_delay_alu instid0(VALU_DEP_1) | instskip(SKIP_4) | instid1(VALU_DEP_3)
	v_mad_u64_u32 v[11:12], null, v17, s8, v[3:4]
	v_mul_lo_u32 v4, v17, s9
	v_mul_lo_u32 v13, v18, s8
	v_add_co_u32 v2, vcc_lo, v35, s12
	v_add_co_ci_u32_e32 v3, vcc_lo, s13, v36, vcc_lo
	v_add3_u32 v12, v13, v12, v4
	global_store_b64 v[2:3], v[11:12], off
	s_or_b32 exec_lo, exec_lo, s6
	s_and_saveexec_b32 s5, s2
	s_cbranch_execz .LBB47_32
.LBB47_41:                              ;   in Loop: Header=BB47_4 Depth=1
	v_mad_u64_u32 v[2:3], null, v15, s8, v[5:6]
	v_mul_lo_u32 v4, v15, s9
	v_mul_lo_u32 v5, v16, s8
	s_delay_alu instid0(VALU_DEP_1)
	v_add3_u32 v3, v5, v3, v4
	v_add_co_u32 v4, vcc_lo, v65, s12
	v_add_co_ci_u32_e32 v5, vcc_lo, s13, v66, vcc_lo
	global_store_b64 v[4:5], v[2:3], off
	s_or_b32 exec_lo, exec_lo, s5
	s_and_saveexec_b32 s2, s3
	s_cbranch_execz .LBB47_33
.LBB47_42:                              ;   in Loop: Header=BB47_4 Depth=1
	v_mad_u64_u32 v[2:3], null, v21, s8, v[7:8]
	v_mul_lo_u32 v4, v21, s9
	v_mul_lo_u32 v5, v22, s8
	s_delay_alu instid0(VALU_DEP_1)
	v_add3_u32 v3, v5, v3, v4
	v_add_co_u32 v4, vcc_lo, v54, s12
	v_add_co_ci_u32_e32 v5, vcc_lo, s13, v55, vcc_lo
	global_store_b64 v[4:5], v[2:3], off
	s_or_b32 exec_lo, exec_lo, s2
	s_and_saveexec_b32 s2, s4
	s_cbranch_execz .LBB47_3
.LBB47_43:                              ;   in Loop: Header=BB47_4 Depth=1
	v_mad_u64_u32 v[2:3], null, v23, s8, v[9:10]
	v_mul_lo_u32 v4, v23, s9
	v_mul_lo_u32 v5, v24, s8
	s_delay_alu instid0(VALU_DEP_1)
	v_add3_u32 v3, v5, v3, v4
	v_add_co_u32 v4, vcc_lo, v43, s12
	v_add_co_ci_u32_e32 v5, vcc_lo, s13, v44, vcc_lo
	global_store_b64 v[4:5], v[2:3], off
	s_branch .LBB47_3
.LBB47_44:
	s_mov_b32 s14, 0
.LBB47_45:
	s_delay_alu instid0(SALU_CYCLE_1)
	s_and_not1_b32 vcc_lo, exec_lo, s14
	s_cbranch_vccnz .LBB47_65
; %bb.46:
	v_dual_mov_b32 v24, 0 :: v_dual_lshlrev_b32 v1, 2, v0
	s_mov_b32 s2, 0
	s_mov_b32 s3, exec_lo
	s_delay_alu instid0(VALU_DEP_1) | instskip(NEXT) | instid1(VALU_DEP_1)
	v_mov_b32_e32 v2, v24
	v_cmpx_gt_i64_e64 s[10:11], v[1:2]
	s_cbranch_execz .LBB47_65
; %bb.47:
	s_load_b32 s0, s[0:1], 0xc04
	v_dual_mov_b32 v27, v24 :: v_dual_lshlrev_b32 v30, 5, v0
	s_waitcnt lgkmcnt(0)
	s_and_b32 s0, s0, 0xffff
	s_delay_alu instid0(SALU_CYCLE_1)
	v_add_lshl_u32 v26, v0, s0, 2
	s_lshl_b32 s1, s0, 2
	s_lshl_b32 s3, s0, 5
	s_branch .LBB47_49
.LBB47_48:                              ;   in Loop: Header=BB47_49 Depth=1
	s_or_b32 exec_lo, exec_lo, s0
	v_mul_lo_u32 v14, v18, s9
	s_waitcnt vmcnt(1)
	v_mad_u64_u32 v[10:11], null, v18, s8, v[0:1]
	v_mul_lo_u32 v0, v16, s9
	v_mul_lo_u32 v1, v17, s8
	s_waitcnt vmcnt(0)
	v_mad_u64_u32 v[17:18], null, v16, s8, v[6:7]
	v_cmp_le_i64_e32 vcc_lo, s[10:11], v[26:27]
	v_cmp_lt_u64_e64 s0, 0xffff, v[26:27]
	v_mul_lo_u32 v6, v28, s9
	v_mul_lo_u32 v7, v29, s8
	v_mad_u64_u32 v[15:16], null, v28, s8, v[4:5]
	v_mul_lo_u32 v19, v19, s8
	s_or_b32 s0, vcc_lo, s0
	v_mul_lo_u32 v4, v8, s9
	v_mul_lo_u32 v5, v9, s8
	v_mad_u64_u32 v[12:13], null, v8, s8, v[2:3]
	s_add_u32 s18, s18, s3
	v_add3_u32 v18, v1, v18, v0
	v_add_co_u32 v0, s4, s24, v30
	s_addc_u32 s19, s19, 0
	s_add_u32 s24, s24, s3
	v_add_co_ci_u32_e64 v1, null, s25, 0, s4
	s_addc_u32 s25, s25, 0
	s_add_u32 s20, s20, s3
	v_add_co_u32 v26, vcc_lo, v26, s1
	s_addc_u32 s21, s21, 0
	s_add_u32 s22, s22, s3
	v_add3_u32 v16, v7, v16, v6
	v_add_co_ci_u32_e32 v27, vcc_lo, 0, v27, vcc_lo
	s_addc_u32 s23, s23, 0
	v_add3_u32 v11, v19, v11, v14
	v_add3_u32 v13, v5, v13, v4
	s_and_b32 s0, exec_lo, s0
	s_clause 0x1
	global_store_b128 v[0:1], v[15:18], off
	global_store_b128 v[0:1], v[10:13], off offset:16
	s_or_b32 s2, s0, s2
	s_delay_alu instid0(SALU_CYCLE_1)
	s_and_not1_b32 exec_lo, exec_lo, s2
	s_cbranch_execz .LBB47_65
.LBB47_49:                              ; =>This Inner Loop Header: Depth=1
	v_add_co_u32 v0, s0, s20, v30
	s_delay_alu instid0(VALU_DEP_1) | instskip(SKIP_1) | instid1(VALU_DEP_1)
	v_add_co_ci_u32_e64 v1, null, s21, 0, s0
	v_add_co_u32 v2, s0, s22, v30
	v_add_co_ci_u32_e64 v3, null, s23, 0, s0
	v_add_co_u32 v4, s0, s18, v30
	global_load_b128 v[16:19], v[0:1], off
	global_load_b128 v[20:23], v[2:3], off
	v_add_co_ci_u32_e64 v5, null, s19, 0, s0
	global_load_b128 v[8:11], v[0:1], off offset:16
	global_load_b128 v[12:15], v[2:3], off offset:16
	s_clause 0x1
	global_load_b128 v[0:3], v[4:5], off offset:16
	global_load_b128 v[4:7], v[4:5], off
                                        ; implicit-def: $vgpr28_vgpr29
	s_mov_b32 s0, exec_lo
	s_waitcnt vmcnt(4)
	v_or_b32_e32 v25, v17, v21
	s_delay_alu instid0(VALU_DEP_1)
	v_cmpx_ne_u64_e32 0, v[24:25]
	s_xor_b32 s4, exec_lo, s0
	s_cbranch_execz .LBB47_51
; %bb.50:                               ;   in Loop: Header=BB47_49 Depth=1
	v_ashrrev_i32_e32 v25, 31, v21
	s_delay_alu instid0(VALU_DEP_1) | instskip(SKIP_1) | instid1(VALU_DEP_2)
	v_add_co_u32 v20, vcc_lo, v20, v25
	v_add_co_ci_u32_e32 v21, vcc_lo, v21, v25, vcc_lo
	v_xor_b32_e32 v33, v20, v25
	s_delay_alu instid0(VALU_DEP_2) | instskip(NEXT) | instid1(VALU_DEP_2)
	v_xor_b32_e32 v34, v21, v25
	v_cvt_f32_u32_e32 v20, v33
	v_sub_co_u32 v35, vcc_lo, 0, v33
	s_delay_alu instid0(VALU_DEP_3) | instskip(SKIP_1) | instid1(VALU_DEP_2)
	v_cvt_f32_u32_e32 v21, v34
	v_sub_co_ci_u32_e32 v36, vcc_lo, 0, v34, vcc_lo
	v_fmac_f32_e32 v20, 0x4f800000, v21
	s_delay_alu instid0(VALU_DEP_1) | instskip(SKIP_2) | instid1(VALU_DEP_1)
	v_rcp_f32_e32 v20, v20
	s_waitcnt_depctr 0xfff
	v_mul_f32_e32 v20, 0x5f7ffffc, v20
	v_mul_f32_e32 v21, 0x2f800000, v20
	s_delay_alu instid0(VALU_DEP_1) | instskip(NEXT) | instid1(VALU_DEP_1)
	v_trunc_f32_e32 v21, v21
	v_fmac_f32_e32 v20, 0xcf800000, v21
	v_cvt_u32_f32_e32 v37, v21
	s_delay_alu instid0(VALU_DEP_2) | instskip(NEXT) | instid1(VALU_DEP_2)
	v_cvt_u32_f32_e32 v38, v20
	v_mul_lo_u32 v28, v35, v37
	s_delay_alu instid0(VALU_DEP_2) | instskip(SKIP_1) | instid1(VALU_DEP_1)
	v_mul_lo_u32 v29, v36, v38
	v_mad_u64_u32 v[20:21], null, v35, v38, 0
	v_add3_u32 v39, v21, v28, v29
	s_delay_alu instid0(VALU_DEP_2) | instskip(SKIP_1) | instid1(VALU_DEP_3)
	v_mul_hi_u32 v40, v38, v20
	v_mad_u64_u32 v[31:32], null, v37, v20, 0
	v_mad_u64_u32 v[28:29], null, v38, v39, 0
	;; [unrolled: 1-line block ×3, first 2 shown]
	s_delay_alu instid0(VALU_DEP_2) | instskip(NEXT) | instid1(VALU_DEP_3)
	v_add_co_u32 v28, vcc_lo, v40, v28
	v_add_co_ci_u32_e32 v29, vcc_lo, 0, v29, vcc_lo
	s_delay_alu instid0(VALU_DEP_2) | instskip(NEXT) | instid1(VALU_DEP_2)
	v_add_co_u32 v28, vcc_lo, v28, v31
	v_add_co_ci_u32_e32 v28, vcc_lo, v29, v32, vcc_lo
	v_add_co_ci_u32_e32 v21, vcc_lo, 0, v21, vcc_lo
	s_delay_alu instid0(VALU_DEP_2) | instskip(NEXT) | instid1(VALU_DEP_2)
	v_add_co_u32 v20, vcc_lo, v28, v20
	v_add_co_ci_u32_e32 v21, vcc_lo, 0, v21, vcc_lo
	s_delay_alu instid0(VALU_DEP_2) | instskip(NEXT) | instid1(VALU_DEP_2)
	v_add_co_u32 v38, vcc_lo, v38, v20
	v_add_co_ci_u32_e32 v37, vcc_lo, v37, v21, vcc_lo
	s_delay_alu instid0(VALU_DEP_2) | instskip(SKIP_1) | instid1(VALU_DEP_3)
	v_mul_lo_u32 v28, v36, v38
	v_mad_u64_u32 v[20:21], null, v35, v38, 0
	v_mul_lo_u32 v29, v35, v37
	s_delay_alu instid0(VALU_DEP_2) | instskip(SKIP_1) | instid1(VALU_DEP_3)
	v_mul_hi_u32 v36, v38, v20
	v_mad_u64_u32 v[31:32], null, v37, v20, 0
	v_add3_u32 v35, v21, v29, v28
	s_delay_alu instid0(VALU_DEP_1) | instskip(SKIP_2) | instid1(VALU_DEP_3)
	v_mad_u64_u32 v[28:29], null, v38, v35, 0
	v_mad_u64_u32 v[20:21], null, v37, v35, 0
	v_ashrrev_i32_e32 v35, 31, v17
	v_add_co_u32 v28, vcc_lo, v36, v28
	s_delay_alu instid0(VALU_DEP_4) | instskip(NEXT) | instid1(VALU_DEP_2)
	v_add_co_ci_u32_e32 v29, vcc_lo, 0, v29, vcc_lo
	v_add_co_u32 v28, vcc_lo, v28, v31
	s_delay_alu instid0(VALU_DEP_2) | instskip(SKIP_3) | instid1(VALU_DEP_4)
	v_add_co_ci_u32_e32 v28, vcc_lo, v29, v32, vcc_lo
	v_add_co_ci_u32_e32 v21, vcc_lo, 0, v21, vcc_lo
	v_add_co_u32 v16, vcc_lo, v16, v35
	v_add_co_ci_u32_e32 v17, vcc_lo, v17, v35, vcc_lo
	v_add_co_u32 v20, vcc_lo, v28, v20
	s_delay_alu instid0(VALU_DEP_4) | instskip(NEXT) | instid1(VALU_DEP_4)
	v_add_co_ci_u32_e32 v21, vcc_lo, 0, v21, vcc_lo
	v_xor_b32_e32 v31, v16, v35
	s_delay_alu instid0(VALU_DEP_3) | instskip(NEXT) | instid1(VALU_DEP_3)
	v_add_co_u32 v28, vcc_lo, v38, v20
	v_add_co_ci_u32_e32 v32, vcc_lo, v37, v21, vcc_lo
	v_xor_b32_e32 v36, v17, v35
	s_delay_alu instid0(VALU_DEP_3) | instskip(NEXT) | instid1(VALU_DEP_3)
	v_mul_hi_u32 v37, v31, v28
	v_mad_u64_u32 v[16:17], null, v31, v32, 0
	s_delay_alu instid0(VALU_DEP_3) | instskip(SKIP_1) | instid1(VALU_DEP_3)
	v_mad_u64_u32 v[20:21], null, v36, v28, 0
	v_mad_u64_u32 v[28:29], null, v36, v32, 0
	v_add_co_u32 v16, vcc_lo, v37, v16
	s_delay_alu instid0(VALU_DEP_4) | instskip(NEXT) | instid1(VALU_DEP_2)
	v_add_co_ci_u32_e32 v17, vcc_lo, 0, v17, vcc_lo
	v_add_co_u32 v16, vcc_lo, v16, v20
	s_delay_alu instid0(VALU_DEP_2) | instskip(SKIP_1) | instid1(VALU_DEP_2)
	v_add_co_ci_u32_e32 v16, vcc_lo, v17, v21, vcc_lo
	v_add_co_ci_u32_e32 v17, vcc_lo, 0, v29, vcc_lo
	v_add_co_u32 v20, vcc_lo, v16, v28
	s_delay_alu instid0(VALU_DEP_2) | instskip(NEXT) | instid1(VALU_DEP_2)
	v_add_co_ci_u32_e32 v21, vcc_lo, 0, v17, vcc_lo
	v_mul_lo_u32 v28, v34, v20
	v_mad_u64_u32 v[16:17], null, v33, v20, 0
	s_delay_alu instid0(VALU_DEP_3) | instskip(NEXT) | instid1(VALU_DEP_2)
	v_mul_lo_u32 v29, v33, v21
	v_sub_co_u32 v16, vcc_lo, v31, v16
	s_delay_alu instid0(VALU_DEP_2) | instskip(NEXT) | instid1(VALU_DEP_1)
	v_add3_u32 v17, v17, v29, v28
	v_sub_nc_u32_e32 v28, v36, v17
	s_delay_alu instid0(VALU_DEP_1) | instskip(SKIP_1) | instid1(VALU_DEP_1)
	v_sub_co_ci_u32_e64 v28, s0, v28, v34, vcc_lo
	v_add_co_u32 v29, s0, v20, 2
	v_add_co_ci_u32_e64 v31, s0, 0, v21, s0
	v_sub_co_u32 v32, s0, v16, v33
	v_sub_co_ci_u32_e32 v17, vcc_lo, v36, v17, vcc_lo
	v_subrev_co_ci_u32_e64 v28, s0, 0, v28, s0
	s_delay_alu instid0(VALU_DEP_3) | instskip(NEXT) | instid1(VALU_DEP_3)
	v_cmp_ge_u32_e32 vcc_lo, v32, v33
	v_cmp_eq_u32_e64 s0, v17, v34
	v_cndmask_b32_e64 v32, 0, -1, vcc_lo
	s_delay_alu instid0(VALU_DEP_4)
	v_cmp_ge_u32_e32 vcc_lo, v28, v34
	v_cndmask_b32_e64 v36, 0, -1, vcc_lo
	v_cmp_ge_u32_e32 vcc_lo, v16, v33
	v_cndmask_b32_e64 v16, 0, -1, vcc_lo
	;; [unrolled: 2-line block ×3, first 2 shown]
	v_cmp_eq_u32_e32 vcc_lo, v28, v34
	s_delay_alu instid0(VALU_DEP_2) | instskip(SKIP_3) | instid1(VALU_DEP_3)
	v_cndmask_b32_e64 v16, v33, v16, s0
	v_cndmask_b32_e32 v28, v36, v32, vcc_lo
	v_add_co_u32 v32, vcc_lo, v20, 1
	v_add_co_ci_u32_e32 v36, vcc_lo, 0, v21, vcc_lo
	v_cmp_ne_u32_e32 vcc_lo, 0, v28
	s_delay_alu instid0(VALU_DEP_3) | instskip(NEXT) | instid1(VALU_DEP_3)
	v_cndmask_b32_e32 v28, v32, v29, vcc_lo
	v_cndmask_b32_e32 v17, v36, v31, vcc_lo
	v_cmp_ne_u32_e32 vcc_lo, 0, v16
	v_xor_b32_e32 v16, v35, v25
	s_delay_alu instid0(VALU_DEP_3) | instskip(NEXT) | instid1(VALU_DEP_1)
	v_dual_cndmask_b32 v20, v20, v28 :: v_dual_cndmask_b32 v17, v21, v17
	v_xor_b32_e32 v20, v20, v16
	s_delay_alu instid0(VALU_DEP_2) | instskip(NEXT) | instid1(VALU_DEP_2)
	v_xor_b32_e32 v17, v17, v16
	v_sub_co_u32 v28, vcc_lo, v20, v16
	s_delay_alu instid0(VALU_DEP_2)
	v_sub_co_ci_u32_e32 v29, vcc_lo, v17, v16, vcc_lo
.LBB47_51:                              ;   in Loop: Header=BB47_49 Depth=1
	s_and_not1_saveexec_b32 s0, s4
	s_cbranch_execz .LBB47_53
; %bb.52:                               ;   in Loop: Header=BB47_49 Depth=1
	v_cvt_f32_u32_e32 v17, v20
	v_sub_nc_u32_e32 v21, 0, v20
	v_mov_b32_e32 v29, v24
	s_delay_alu instid0(VALU_DEP_3) | instskip(SKIP_2) | instid1(VALU_DEP_1)
	v_rcp_iflag_f32_e32 v17, v17
	s_waitcnt_depctr 0xfff
	v_mul_f32_e32 v17, 0x4f7ffffe, v17
	v_cvt_u32_f32_e32 v17, v17
	s_delay_alu instid0(VALU_DEP_1) | instskip(NEXT) | instid1(VALU_DEP_1)
	v_mul_lo_u32 v21, v21, v17
	v_mul_hi_u32 v21, v17, v21
	s_delay_alu instid0(VALU_DEP_1) | instskip(NEXT) | instid1(VALU_DEP_1)
	v_add_nc_u32_e32 v17, v17, v21
	v_mul_hi_u32 v17, v16, v17
	s_delay_alu instid0(VALU_DEP_1) | instskip(NEXT) | instid1(VALU_DEP_1)
	v_mul_lo_u32 v21, v17, v20
	v_sub_nc_u32_e32 v16, v16, v21
	v_add_nc_u32_e32 v21, 1, v17
	s_delay_alu instid0(VALU_DEP_2) | instskip(SKIP_1) | instid1(VALU_DEP_2)
	v_sub_nc_u32_e32 v25, v16, v20
	v_cmp_ge_u32_e32 vcc_lo, v16, v20
	v_cndmask_b32_e32 v16, v16, v25, vcc_lo
	s_delay_alu instid0(VALU_DEP_4) | instskip(NEXT) | instid1(VALU_DEP_2)
	v_cndmask_b32_e32 v17, v17, v21, vcc_lo
	v_cmp_ge_u32_e32 vcc_lo, v16, v20
	s_delay_alu instid0(VALU_DEP_2) | instskip(NEXT) | instid1(VALU_DEP_1)
	v_add_nc_u32_e32 v21, 1, v17
	v_cndmask_b32_e32 v28, v17, v21, vcc_lo
.LBB47_53:                              ;   in Loop: Header=BB47_49 Depth=1
	s_or_b32 exec_lo, exec_lo, s0
	v_or_b32_e32 v25, v19, v23
                                        ; implicit-def: $vgpr16_vgpr17
	s_mov_b32 s0, exec_lo
	s_delay_alu instid0(VALU_DEP_1)
	v_cmpx_ne_u64_e32 0, v[24:25]
	s_xor_b32 s4, exec_lo, s0
	s_cbranch_execz .LBB47_55
; %bb.54:                               ;   in Loop: Header=BB47_49 Depth=1
	v_ashrrev_i32_e32 v25, 31, v23
	s_delay_alu instid0(VALU_DEP_1) | instskip(SKIP_1) | instid1(VALU_DEP_2)
	v_add_co_u32 v16, vcc_lo, v22, v25
	v_add_co_ci_u32_e32 v17, vcc_lo, v23, v25, vcc_lo
	v_xor_b32_e32 v31, v16, v25
	s_delay_alu instid0(VALU_DEP_2) | instskip(NEXT) | instid1(VALU_DEP_2)
	v_xor_b32_e32 v32, v17, v25
	v_cvt_f32_u32_e32 v16, v31
	v_sub_co_u32 v33, vcc_lo, 0, v31
	s_delay_alu instid0(VALU_DEP_3) | instskip(SKIP_1) | instid1(VALU_DEP_2)
	v_cvt_f32_u32_e32 v17, v32
	v_sub_co_ci_u32_e32 v34, vcc_lo, 0, v32, vcc_lo
	v_fmac_f32_e32 v16, 0x4f800000, v17
	s_delay_alu instid0(VALU_DEP_1) | instskip(SKIP_2) | instid1(VALU_DEP_1)
	v_rcp_f32_e32 v16, v16
	s_waitcnt_depctr 0xfff
	v_mul_f32_e32 v16, 0x5f7ffffc, v16
	v_mul_f32_e32 v17, 0x2f800000, v16
	s_delay_alu instid0(VALU_DEP_1) | instskip(NEXT) | instid1(VALU_DEP_1)
	v_trunc_f32_e32 v17, v17
	v_fmac_f32_e32 v16, 0xcf800000, v17
	v_cvt_u32_f32_e32 v35, v17
	s_delay_alu instid0(VALU_DEP_2) | instskip(NEXT) | instid1(VALU_DEP_2)
	v_cvt_u32_f32_e32 v36, v16
	v_mul_lo_u32 v20, v33, v35
	s_delay_alu instid0(VALU_DEP_2) | instskip(SKIP_1) | instid1(VALU_DEP_1)
	v_mul_lo_u32 v21, v34, v36
	v_mad_u64_u32 v[16:17], null, v33, v36, 0
	v_add3_u32 v37, v17, v20, v21
	s_delay_alu instid0(VALU_DEP_2) | instskip(SKIP_1) | instid1(VALU_DEP_3)
	v_mul_hi_u32 v38, v36, v16
	v_mad_u64_u32 v[22:23], null, v35, v16, 0
	v_mad_u64_u32 v[20:21], null, v36, v37, 0
	;; [unrolled: 1-line block ×3, first 2 shown]
	s_delay_alu instid0(VALU_DEP_2) | instskip(NEXT) | instid1(VALU_DEP_3)
	v_add_co_u32 v20, vcc_lo, v38, v20
	v_add_co_ci_u32_e32 v21, vcc_lo, 0, v21, vcc_lo
	s_delay_alu instid0(VALU_DEP_2) | instskip(NEXT) | instid1(VALU_DEP_2)
	v_add_co_u32 v20, vcc_lo, v20, v22
	v_add_co_ci_u32_e32 v20, vcc_lo, v21, v23, vcc_lo
	v_add_co_ci_u32_e32 v17, vcc_lo, 0, v17, vcc_lo
	s_delay_alu instid0(VALU_DEP_2) | instskip(NEXT) | instid1(VALU_DEP_2)
	v_add_co_u32 v16, vcc_lo, v20, v16
	v_add_co_ci_u32_e32 v17, vcc_lo, 0, v17, vcc_lo
	s_delay_alu instid0(VALU_DEP_2) | instskip(NEXT) | instid1(VALU_DEP_2)
	v_add_co_u32 v36, vcc_lo, v36, v16
	v_add_co_ci_u32_e32 v35, vcc_lo, v35, v17, vcc_lo
	s_delay_alu instid0(VALU_DEP_2) | instskip(SKIP_1) | instid1(VALU_DEP_3)
	v_mul_lo_u32 v20, v34, v36
	v_mad_u64_u32 v[16:17], null, v33, v36, 0
	v_mul_lo_u32 v21, v33, v35
	s_delay_alu instid0(VALU_DEP_2) | instskip(SKIP_1) | instid1(VALU_DEP_3)
	v_mul_hi_u32 v34, v36, v16
	v_mad_u64_u32 v[22:23], null, v35, v16, 0
	v_add3_u32 v33, v17, v21, v20
	s_delay_alu instid0(VALU_DEP_1) | instskip(SKIP_2) | instid1(VALU_DEP_3)
	v_mad_u64_u32 v[20:21], null, v36, v33, 0
	v_mad_u64_u32 v[16:17], null, v35, v33, 0
	v_ashrrev_i32_e32 v33, 31, v19
	v_add_co_u32 v20, vcc_lo, v34, v20
	s_delay_alu instid0(VALU_DEP_4) | instskip(NEXT) | instid1(VALU_DEP_2)
	v_add_co_ci_u32_e32 v21, vcc_lo, 0, v21, vcc_lo
	v_add_co_u32 v20, vcc_lo, v20, v22
	s_delay_alu instid0(VALU_DEP_2) | instskip(SKIP_3) | instid1(VALU_DEP_4)
	v_add_co_ci_u32_e32 v20, vcc_lo, v21, v23, vcc_lo
	v_add_co_ci_u32_e32 v17, vcc_lo, 0, v17, vcc_lo
	v_add_co_u32 v18, vcc_lo, v18, v33
	v_add_co_ci_u32_e32 v19, vcc_lo, v19, v33, vcc_lo
	v_add_co_u32 v16, vcc_lo, v20, v16
	s_delay_alu instid0(VALU_DEP_4) | instskip(NEXT) | instid1(VALU_DEP_4)
	v_add_co_ci_u32_e32 v17, vcc_lo, 0, v17, vcc_lo
	v_xor_b32_e32 v22, v18, v33
	s_delay_alu instid0(VALU_DEP_3) | instskip(NEXT) | instid1(VALU_DEP_3)
	v_add_co_u32 v20, vcc_lo, v36, v16
	v_add_co_ci_u32_e32 v23, vcc_lo, v35, v17, vcc_lo
	v_xor_b32_e32 v34, v19, v33
	s_delay_alu instid0(VALU_DEP_3) | instskip(NEXT) | instid1(VALU_DEP_3)
	v_mul_hi_u32 v35, v22, v20
	v_mad_u64_u32 v[16:17], null, v22, v23, 0
	s_delay_alu instid0(VALU_DEP_3) | instskip(SKIP_1) | instid1(VALU_DEP_3)
	v_mad_u64_u32 v[18:19], null, v34, v20, 0
	v_mad_u64_u32 v[20:21], null, v34, v23, 0
	v_add_co_u32 v16, vcc_lo, v35, v16
	s_delay_alu instid0(VALU_DEP_4) | instskip(NEXT) | instid1(VALU_DEP_2)
	v_add_co_ci_u32_e32 v17, vcc_lo, 0, v17, vcc_lo
	v_add_co_u32 v16, vcc_lo, v16, v18
	s_delay_alu instid0(VALU_DEP_2) | instskip(SKIP_1) | instid1(VALU_DEP_2)
	v_add_co_ci_u32_e32 v16, vcc_lo, v17, v19, vcc_lo
	v_add_co_ci_u32_e32 v17, vcc_lo, 0, v21, vcc_lo
	v_add_co_u32 v18, vcc_lo, v16, v20
	s_delay_alu instid0(VALU_DEP_2) | instskip(NEXT) | instid1(VALU_DEP_2)
	v_add_co_ci_u32_e32 v19, vcc_lo, 0, v17, vcc_lo
	v_mul_lo_u32 v20, v32, v18
	v_mad_u64_u32 v[16:17], null, v31, v18, 0
	s_delay_alu instid0(VALU_DEP_3) | instskip(NEXT) | instid1(VALU_DEP_2)
	v_mul_lo_u32 v21, v31, v19
	v_sub_co_u32 v16, vcc_lo, v22, v16
	s_delay_alu instid0(VALU_DEP_2) | instskip(NEXT) | instid1(VALU_DEP_1)
	v_add3_u32 v17, v17, v21, v20
	v_sub_nc_u32_e32 v20, v34, v17
	s_delay_alu instid0(VALU_DEP_1) | instskip(SKIP_1) | instid1(VALU_DEP_1)
	v_sub_co_ci_u32_e64 v20, s0, v20, v32, vcc_lo
	v_add_co_u32 v21, s0, v18, 2
	v_add_co_ci_u32_e64 v22, s0, 0, v19, s0
	v_sub_co_u32 v23, s0, v16, v31
	v_sub_co_ci_u32_e32 v17, vcc_lo, v34, v17, vcc_lo
	v_subrev_co_ci_u32_e64 v20, s0, 0, v20, s0
	s_delay_alu instid0(VALU_DEP_3) | instskip(NEXT) | instid1(VALU_DEP_3)
	v_cmp_ge_u32_e32 vcc_lo, v23, v31
	v_cmp_eq_u32_e64 s0, v17, v32
	v_cndmask_b32_e64 v23, 0, -1, vcc_lo
	s_delay_alu instid0(VALU_DEP_4)
	v_cmp_ge_u32_e32 vcc_lo, v20, v32
	v_cndmask_b32_e64 v34, 0, -1, vcc_lo
	v_cmp_ge_u32_e32 vcc_lo, v16, v31
	v_cndmask_b32_e64 v16, 0, -1, vcc_lo
	;; [unrolled: 2-line block ×3, first 2 shown]
	v_cmp_eq_u32_e32 vcc_lo, v20, v32
	s_delay_alu instid0(VALU_DEP_2) | instskip(SKIP_3) | instid1(VALU_DEP_3)
	v_cndmask_b32_e64 v16, v31, v16, s0
	v_cndmask_b32_e32 v20, v34, v23, vcc_lo
	v_add_co_u32 v23, vcc_lo, v18, 1
	v_add_co_ci_u32_e32 v34, vcc_lo, 0, v19, vcc_lo
	v_cmp_ne_u32_e32 vcc_lo, 0, v20
	s_delay_alu instid0(VALU_DEP_2) | instskip(SKIP_2) | instid1(VALU_DEP_3)
	v_dual_cndmask_b32 v17, v34, v22 :: v_dual_cndmask_b32 v20, v23, v21
	v_cmp_ne_u32_e32 vcc_lo, 0, v16
	v_xor_b32_e32 v21, v33, v25
                                        ; implicit-def: $vgpr22_vgpr23
	v_dual_cndmask_b32 v16, v19, v17 :: v_dual_cndmask_b32 v17, v18, v20
	s_delay_alu instid0(VALU_DEP_1) | instskip(NEXT) | instid1(VALU_DEP_2)
	v_xor_b32_e32 v18, v16, v21
	v_xor_b32_e32 v17, v17, v21
	s_delay_alu instid0(VALU_DEP_1) | instskip(NEXT) | instid1(VALU_DEP_3)
	v_sub_co_u32 v16, vcc_lo, v17, v21
	v_sub_co_ci_u32_e32 v17, vcc_lo, v18, v21, vcc_lo
                                        ; implicit-def: $vgpr18_vgpr19
.LBB47_55:                              ;   in Loop: Header=BB47_49 Depth=1
	s_and_not1_saveexec_b32 s0, s4
	s_cbranch_execz .LBB47_57
; %bb.56:                               ;   in Loop: Header=BB47_49 Depth=1
	v_cvt_f32_u32_e32 v16, v22
	v_sub_nc_u32_e32 v17, 0, v22
	s_delay_alu instid0(VALU_DEP_2) | instskip(SKIP_2) | instid1(VALU_DEP_1)
	v_rcp_iflag_f32_e32 v16, v16
	s_waitcnt_depctr 0xfff
	v_mul_f32_e32 v16, 0x4f7ffffe, v16
	v_cvt_u32_f32_e32 v16, v16
	s_delay_alu instid0(VALU_DEP_1) | instskip(NEXT) | instid1(VALU_DEP_1)
	v_mul_lo_u32 v17, v17, v16
	v_mul_hi_u32 v17, v16, v17
	s_delay_alu instid0(VALU_DEP_1) | instskip(NEXT) | instid1(VALU_DEP_1)
	v_add_nc_u32_e32 v16, v16, v17
	v_mul_hi_u32 v16, v18, v16
	s_delay_alu instid0(VALU_DEP_1) | instskip(NEXT) | instid1(VALU_DEP_1)
	v_mul_lo_u32 v17, v16, v22
	v_sub_nc_u32_e32 v17, v18, v17
	v_add_nc_u32_e32 v18, 1, v16
	s_delay_alu instid0(VALU_DEP_2) | instskip(SKIP_1) | instid1(VALU_DEP_2)
	v_sub_nc_u32_e32 v19, v17, v22
	v_cmp_ge_u32_e32 vcc_lo, v17, v22
	v_dual_cndmask_b32 v17, v17, v19 :: v_dual_cndmask_b32 v16, v16, v18
	s_delay_alu instid0(VALU_DEP_1) | instskip(NEXT) | instid1(VALU_DEP_2)
	v_cmp_ge_u32_e32 vcc_lo, v17, v22
	v_dual_mov_b32 v17, v24 :: v_dual_add_nc_u32 v18, 1, v16
	s_delay_alu instid0(VALU_DEP_1)
	v_cndmask_b32_e32 v16, v16, v18, vcc_lo
.LBB47_57:                              ;   in Loop: Header=BB47_49 Depth=1
	s_or_b32 exec_lo, exec_lo, s0
	s_waitcnt vmcnt(2)
	v_or_b32_e32 v25, v9, v13
                                        ; implicit-def: $vgpr18_vgpr19
	s_mov_b32 s0, exec_lo
	s_delay_alu instid0(VALU_DEP_1)
	v_cmpx_ne_u64_e32 0, v[24:25]
	s_xor_b32 s4, exec_lo, s0
	s_cbranch_execz .LBB47_59
; %bb.58:                               ;   in Loop: Header=BB47_49 Depth=1
	v_ashrrev_i32_e32 v22, 31, v13
	s_delay_alu instid0(VALU_DEP_1) | instskip(SKIP_1) | instid1(VALU_DEP_2)
	v_add_co_u32 v12, vcc_lo, v12, v22
	v_add_co_ci_u32_e32 v13, vcc_lo, v13, v22, vcc_lo
	v_xor_b32_e32 v23, v12, v22
	s_delay_alu instid0(VALU_DEP_2) | instskip(NEXT) | instid1(VALU_DEP_2)
	v_xor_b32_e32 v25, v13, v22
	v_cvt_f32_u32_e32 v12, v23
	v_sub_co_u32 v31, vcc_lo, 0, v23
	s_delay_alu instid0(VALU_DEP_3) | instskip(SKIP_1) | instid1(VALU_DEP_2)
	v_cvt_f32_u32_e32 v13, v25
	v_sub_co_ci_u32_e32 v32, vcc_lo, 0, v25, vcc_lo
	v_fmac_f32_e32 v12, 0x4f800000, v13
	s_delay_alu instid0(VALU_DEP_1) | instskip(SKIP_2) | instid1(VALU_DEP_1)
	v_rcp_f32_e32 v12, v12
	s_waitcnt_depctr 0xfff
	v_mul_f32_e32 v12, 0x5f7ffffc, v12
	v_mul_f32_e32 v13, 0x2f800000, v12
	s_delay_alu instid0(VALU_DEP_1) | instskip(NEXT) | instid1(VALU_DEP_1)
	v_trunc_f32_e32 v13, v13
	v_fmac_f32_e32 v12, 0xcf800000, v13
	v_cvt_u32_f32_e32 v33, v13
	s_delay_alu instid0(VALU_DEP_2) | instskip(NEXT) | instid1(VALU_DEP_2)
	v_cvt_u32_f32_e32 v34, v12
	v_mul_lo_u32 v18, v31, v33
	s_delay_alu instid0(VALU_DEP_2) | instskip(SKIP_1) | instid1(VALU_DEP_1)
	v_mul_lo_u32 v19, v32, v34
	v_mad_u64_u32 v[12:13], null, v31, v34, 0
	v_add3_u32 v35, v13, v18, v19
	s_delay_alu instid0(VALU_DEP_2) | instskip(SKIP_1) | instid1(VALU_DEP_3)
	v_mul_hi_u32 v36, v34, v12
	v_mad_u64_u32 v[20:21], null, v33, v12, 0
	v_mad_u64_u32 v[18:19], null, v34, v35, 0
	;; [unrolled: 1-line block ×3, first 2 shown]
	s_delay_alu instid0(VALU_DEP_2) | instskip(NEXT) | instid1(VALU_DEP_3)
	v_add_co_u32 v18, vcc_lo, v36, v18
	v_add_co_ci_u32_e32 v19, vcc_lo, 0, v19, vcc_lo
	s_delay_alu instid0(VALU_DEP_2) | instskip(NEXT) | instid1(VALU_DEP_2)
	v_add_co_u32 v18, vcc_lo, v18, v20
	v_add_co_ci_u32_e32 v18, vcc_lo, v19, v21, vcc_lo
	v_add_co_ci_u32_e32 v13, vcc_lo, 0, v13, vcc_lo
	s_delay_alu instid0(VALU_DEP_2) | instskip(NEXT) | instid1(VALU_DEP_2)
	v_add_co_u32 v12, vcc_lo, v18, v12
	v_add_co_ci_u32_e32 v13, vcc_lo, 0, v13, vcc_lo
	s_delay_alu instid0(VALU_DEP_2) | instskip(NEXT) | instid1(VALU_DEP_2)
	v_add_co_u32 v34, vcc_lo, v34, v12
	v_add_co_ci_u32_e32 v33, vcc_lo, v33, v13, vcc_lo
	s_delay_alu instid0(VALU_DEP_2) | instskip(SKIP_1) | instid1(VALU_DEP_3)
	v_mul_lo_u32 v18, v32, v34
	v_mad_u64_u32 v[12:13], null, v31, v34, 0
	v_mul_lo_u32 v19, v31, v33
	s_delay_alu instid0(VALU_DEP_2) | instskip(SKIP_1) | instid1(VALU_DEP_3)
	v_mul_hi_u32 v32, v34, v12
	v_mad_u64_u32 v[20:21], null, v33, v12, 0
	v_add3_u32 v31, v13, v19, v18
	s_delay_alu instid0(VALU_DEP_1) | instskip(SKIP_2) | instid1(VALU_DEP_3)
	v_mad_u64_u32 v[18:19], null, v34, v31, 0
	v_mad_u64_u32 v[12:13], null, v33, v31, 0
	v_ashrrev_i32_e32 v31, 31, v9
	v_add_co_u32 v18, vcc_lo, v32, v18
	s_delay_alu instid0(VALU_DEP_4) | instskip(NEXT) | instid1(VALU_DEP_2)
	v_add_co_ci_u32_e32 v19, vcc_lo, 0, v19, vcc_lo
	v_add_co_u32 v18, vcc_lo, v18, v20
	s_delay_alu instid0(VALU_DEP_2) | instskip(SKIP_3) | instid1(VALU_DEP_4)
	v_add_co_ci_u32_e32 v18, vcc_lo, v19, v21, vcc_lo
	v_add_co_ci_u32_e32 v13, vcc_lo, 0, v13, vcc_lo
	v_add_co_u32 v8, vcc_lo, v8, v31
	v_add_co_ci_u32_e32 v9, vcc_lo, v9, v31, vcc_lo
	v_add_co_u32 v12, vcc_lo, v18, v12
	s_delay_alu instid0(VALU_DEP_4) | instskip(NEXT) | instid1(VALU_DEP_4)
	v_add_co_ci_u32_e32 v13, vcc_lo, 0, v13, vcc_lo
	v_xor_b32_e32 v20, v8, v31
	s_delay_alu instid0(VALU_DEP_3) | instskip(NEXT) | instid1(VALU_DEP_3)
	v_add_co_u32 v18, vcc_lo, v34, v12
	v_add_co_ci_u32_e32 v21, vcc_lo, v33, v13, vcc_lo
	v_xor_b32_e32 v32, v9, v31
	s_delay_alu instid0(VALU_DEP_3) | instskip(NEXT) | instid1(VALU_DEP_3)
	v_mul_hi_u32 v33, v20, v18
	v_mad_u64_u32 v[8:9], null, v20, v21, 0
	s_delay_alu instid0(VALU_DEP_3) | instskip(SKIP_1) | instid1(VALU_DEP_3)
	v_mad_u64_u32 v[12:13], null, v32, v18, 0
	v_mad_u64_u32 v[18:19], null, v32, v21, 0
	v_add_co_u32 v8, vcc_lo, v33, v8
	s_delay_alu instid0(VALU_DEP_4) | instskip(NEXT) | instid1(VALU_DEP_2)
	v_add_co_ci_u32_e32 v9, vcc_lo, 0, v9, vcc_lo
	v_add_co_u32 v8, vcc_lo, v8, v12
	s_delay_alu instid0(VALU_DEP_2) | instskip(SKIP_1) | instid1(VALU_DEP_2)
	v_add_co_ci_u32_e32 v8, vcc_lo, v9, v13, vcc_lo
	v_add_co_ci_u32_e32 v9, vcc_lo, 0, v19, vcc_lo
	v_add_co_u32 v12, vcc_lo, v8, v18
	s_delay_alu instid0(VALU_DEP_2) | instskip(NEXT) | instid1(VALU_DEP_2)
	v_add_co_ci_u32_e32 v13, vcc_lo, 0, v9, vcc_lo
	v_mul_lo_u32 v18, v25, v12
	v_mad_u64_u32 v[8:9], null, v23, v12, 0
	s_delay_alu instid0(VALU_DEP_3) | instskip(NEXT) | instid1(VALU_DEP_2)
	v_mul_lo_u32 v19, v23, v13
	v_sub_co_u32 v8, vcc_lo, v20, v8
	s_delay_alu instid0(VALU_DEP_2) | instskip(NEXT) | instid1(VALU_DEP_1)
	v_add3_u32 v9, v9, v19, v18
	v_sub_nc_u32_e32 v18, v32, v9
	s_delay_alu instid0(VALU_DEP_1) | instskip(SKIP_1) | instid1(VALU_DEP_1)
	v_sub_co_ci_u32_e64 v18, s0, v18, v25, vcc_lo
	v_add_co_u32 v19, s0, v12, 2
	v_add_co_ci_u32_e64 v20, s0, 0, v13, s0
	v_sub_co_u32 v21, s0, v8, v23
	v_sub_co_ci_u32_e32 v9, vcc_lo, v32, v9, vcc_lo
	v_subrev_co_ci_u32_e64 v18, s0, 0, v18, s0
	s_delay_alu instid0(VALU_DEP_3) | instskip(NEXT) | instid1(VALU_DEP_3)
	v_cmp_ge_u32_e32 vcc_lo, v21, v23
	v_cmp_eq_u32_e64 s0, v9, v25
	v_cndmask_b32_e64 v21, 0, -1, vcc_lo
	s_delay_alu instid0(VALU_DEP_4)
	v_cmp_ge_u32_e32 vcc_lo, v18, v25
	v_cndmask_b32_e64 v32, 0, -1, vcc_lo
	v_cmp_ge_u32_e32 vcc_lo, v8, v23
	v_cndmask_b32_e64 v8, 0, -1, vcc_lo
	;; [unrolled: 2-line block ×3, first 2 shown]
	v_cmp_eq_u32_e32 vcc_lo, v18, v25
	s_delay_alu instid0(VALU_DEP_2) | instskip(SKIP_3) | instid1(VALU_DEP_3)
	v_cndmask_b32_e64 v8, v23, v8, s0
	v_cndmask_b32_e32 v18, v32, v21, vcc_lo
	v_add_co_u32 v21, vcc_lo, v12, 1
	v_add_co_ci_u32_e32 v32, vcc_lo, 0, v13, vcc_lo
	v_cmp_ne_u32_e32 vcc_lo, 0, v18
	s_delay_alu instid0(VALU_DEP_2) | instskip(SKIP_2) | instid1(VALU_DEP_3)
	v_dual_cndmask_b32 v9, v32, v20 :: v_dual_cndmask_b32 v18, v21, v19
	v_cmp_ne_u32_e32 vcc_lo, 0, v8
	v_xor_b32_e32 v8, v31, v22
	v_dual_cndmask_b32 v12, v12, v18 :: v_dual_cndmask_b32 v9, v13, v9
	s_delay_alu instid0(VALU_DEP_1) | instskip(NEXT) | instid1(VALU_DEP_2)
	v_xor_b32_e32 v12, v12, v8
	v_xor_b32_e32 v9, v9, v8
	s_delay_alu instid0(VALU_DEP_2) | instskip(NEXT) | instid1(VALU_DEP_2)
	v_sub_co_u32 v18, vcc_lo, v12, v8
	v_sub_co_ci_u32_e32 v19, vcc_lo, v9, v8, vcc_lo
.LBB47_59:                              ;   in Loop: Header=BB47_49 Depth=1
	s_and_not1_saveexec_b32 s0, s4
	s_cbranch_execz .LBB47_61
; %bb.60:                               ;   in Loop: Header=BB47_49 Depth=1
	v_cvt_f32_u32_e32 v9, v12
	v_sub_nc_u32_e32 v13, 0, v12
	v_mov_b32_e32 v19, v24
	s_delay_alu instid0(VALU_DEP_3) | instskip(SKIP_2) | instid1(VALU_DEP_1)
	v_rcp_iflag_f32_e32 v9, v9
	s_waitcnt_depctr 0xfff
	v_mul_f32_e32 v9, 0x4f7ffffe, v9
	v_cvt_u32_f32_e32 v9, v9
	s_delay_alu instid0(VALU_DEP_1) | instskip(NEXT) | instid1(VALU_DEP_1)
	v_mul_lo_u32 v13, v13, v9
	v_mul_hi_u32 v13, v9, v13
	s_delay_alu instid0(VALU_DEP_1) | instskip(NEXT) | instid1(VALU_DEP_1)
	v_add_nc_u32_e32 v9, v9, v13
	v_mul_hi_u32 v9, v8, v9
	s_delay_alu instid0(VALU_DEP_1) | instskip(NEXT) | instid1(VALU_DEP_1)
	v_mul_lo_u32 v13, v9, v12
	v_sub_nc_u32_e32 v8, v8, v13
	v_add_nc_u32_e32 v13, 1, v9
	s_delay_alu instid0(VALU_DEP_2) | instskip(SKIP_1) | instid1(VALU_DEP_2)
	v_sub_nc_u32_e32 v18, v8, v12
	v_cmp_ge_u32_e32 vcc_lo, v8, v12
	v_dual_cndmask_b32 v8, v8, v18 :: v_dual_cndmask_b32 v9, v9, v13
	s_delay_alu instid0(VALU_DEP_1) | instskip(NEXT) | instid1(VALU_DEP_2)
	v_cmp_ge_u32_e32 vcc_lo, v8, v12
	v_add_nc_u32_e32 v13, 1, v9
	s_delay_alu instid0(VALU_DEP_1)
	v_cndmask_b32_e32 v18, v9, v13, vcc_lo
.LBB47_61:                              ;   in Loop: Header=BB47_49 Depth=1
	s_or_b32 exec_lo, exec_lo, s0
	v_or_b32_e32 v25, v11, v15
                                        ; implicit-def: $vgpr8_vgpr9
	s_mov_b32 s0, exec_lo
	s_delay_alu instid0(VALU_DEP_1)
	v_cmpx_ne_u64_e32 0, v[24:25]
	s_xor_b32 s4, exec_lo, s0
	s_cbranch_execz .LBB47_63
; %bb.62:                               ;   in Loop: Header=BB47_49 Depth=1
	v_ashrrev_i32_e32 v20, 31, v15
	s_delay_alu instid0(VALU_DEP_1) | instskip(SKIP_1) | instid1(VALU_DEP_2)
	v_add_co_u32 v8, vcc_lo, v14, v20
	v_add_co_ci_u32_e32 v9, vcc_lo, v15, v20, vcc_lo
	v_xor_b32_e32 v21, v8, v20
	s_delay_alu instid0(VALU_DEP_2) | instskip(NEXT) | instid1(VALU_DEP_2)
	v_xor_b32_e32 v22, v9, v20
	v_cvt_f32_u32_e32 v8, v21
	v_sub_co_u32 v23, vcc_lo, 0, v21
	s_delay_alu instid0(VALU_DEP_3) | instskip(SKIP_1) | instid1(VALU_DEP_2)
	v_cvt_f32_u32_e32 v9, v22
	v_sub_co_ci_u32_e32 v25, vcc_lo, 0, v22, vcc_lo
	v_fmac_f32_e32 v8, 0x4f800000, v9
	s_delay_alu instid0(VALU_DEP_1) | instskip(SKIP_2) | instid1(VALU_DEP_1)
	v_rcp_f32_e32 v8, v8
	s_waitcnt_depctr 0xfff
	v_mul_f32_e32 v8, 0x5f7ffffc, v8
	v_mul_f32_e32 v9, 0x2f800000, v8
	s_delay_alu instid0(VALU_DEP_1) | instskip(NEXT) | instid1(VALU_DEP_1)
	v_trunc_f32_e32 v9, v9
	v_fmac_f32_e32 v8, 0xcf800000, v9
	v_cvt_u32_f32_e32 v31, v9
	s_delay_alu instid0(VALU_DEP_2) | instskip(NEXT) | instid1(VALU_DEP_2)
	v_cvt_u32_f32_e32 v32, v8
	v_mul_lo_u32 v12, v23, v31
	s_delay_alu instid0(VALU_DEP_2) | instskip(SKIP_1) | instid1(VALU_DEP_1)
	v_mul_lo_u32 v13, v25, v32
	v_mad_u64_u32 v[8:9], null, v23, v32, 0
	v_add3_u32 v33, v9, v12, v13
	s_delay_alu instid0(VALU_DEP_2) | instskip(SKIP_1) | instid1(VALU_DEP_3)
	v_mul_hi_u32 v34, v32, v8
	v_mad_u64_u32 v[14:15], null, v31, v8, 0
	v_mad_u64_u32 v[12:13], null, v32, v33, 0
	;; [unrolled: 1-line block ×3, first 2 shown]
	s_delay_alu instid0(VALU_DEP_2) | instskip(NEXT) | instid1(VALU_DEP_3)
	v_add_co_u32 v12, vcc_lo, v34, v12
	v_add_co_ci_u32_e32 v13, vcc_lo, 0, v13, vcc_lo
	s_delay_alu instid0(VALU_DEP_2) | instskip(NEXT) | instid1(VALU_DEP_2)
	v_add_co_u32 v12, vcc_lo, v12, v14
	v_add_co_ci_u32_e32 v12, vcc_lo, v13, v15, vcc_lo
	v_add_co_ci_u32_e32 v9, vcc_lo, 0, v9, vcc_lo
	s_delay_alu instid0(VALU_DEP_2) | instskip(NEXT) | instid1(VALU_DEP_2)
	v_add_co_u32 v8, vcc_lo, v12, v8
	v_add_co_ci_u32_e32 v9, vcc_lo, 0, v9, vcc_lo
	s_delay_alu instid0(VALU_DEP_2) | instskip(NEXT) | instid1(VALU_DEP_2)
	v_add_co_u32 v32, vcc_lo, v32, v8
	v_add_co_ci_u32_e32 v31, vcc_lo, v31, v9, vcc_lo
	s_delay_alu instid0(VALU_DEP_2) | instskip(SKIP_1) | instid1(VALU_DEP_3)
	v_mul_lo_u32 v12, v25, v32
	v_mad_u64_u32 v[8:9], null, v23, v32, 0
	v_mul_lo_u32 v13, v23, v31
	s_delay_alu instid0(VALU_DEP_2) | instskip(SKIP_1) | instid1(VALU_DEP_3)
	v_mul_hi_u32 v25, v32, v8
	v_mad_u64_u32 v[14:15], null, v31, v8, 0
	v_add3_u32 v23, v9, v13, v12
	s_delay_alu instid0(VALU_DEP_1) | instskip(SKIP_2) | instid1(VALU_DEP_3)
	v_mad_u64_u32 v[12:13], null, v32, v23, 0
	v_mad_u64_u32 v[8:9], null, v31, v23, 0
	v_ashrrev_i32_e32 v23, 31, v11
	v_add_co_u32 v12, vcc_lo, v25, v12
	s_delay_alu instid0(VALU_DEP_4) | instskip(NEXT) | instid1(VALU_DEP_2)
	v_add_co_ci_u32_e32 v13, vcc_lo, 0, v13, vcc_lo
	v_add_co_u32 v12, vcc_lo, v12, v14
	s_delay_alu instid0(VALU_DEP_2) | instskip(SKIP_3) | instid1(VALU_DEP_4)
	v_add_co_ci_u32_e32 v12, vcc_lo, v13, v15, vcc_lo
	v_add_co_ci_u32_e32 v9, vcc_lo, 0, v9, vcc_lo
	v_add_co_u32 v10, vcc_lo, v10, v23
	v_add_co_ci_u32_e32 v11, vcc_lo, v11, v23, vcc_lo
	v_add_co_u32 v8, vcc_lo, v12, v8
	s_delay_alu instid0(VALU_DEP_4) | instskip(NEXT) | instid1(VALU_DEP_4)
	v_add_co_ci_u32_e32 v9, vcc_lo, 0, v9, vcc_lo
	v_xor_b32_e32 v14, v10, v23
	s_delay_alu instid0(VALU_DEP_3) | instskip(NEXT) | instid1(VALU_DEP_3)
	v_add_co_u32 v12, vcc_lo, v32, v8
	v_add_co_ci_u32_e32 v15, vcc_lo, v31, v9, vcc_lo
	v_xor_b32_e32 v25, v11, v23
	s_delay_alu instid0(VALU_DEP_3) | instskip(NEXT) | instid1(VALU_DEP_3)
	v_mul_hi_u32 v31, v14, v12
	v_mad_u64_u32 v[8:9], null, v14, v15, 0
	s_delay_alu instid0(VALU_DEP_3) | instskip(SKIP_1) | instid1(VALU_DEP_3)
	v_mad_u64_u32 v[10:11], null, v25, v12, 0
	v_mad_u64_u32 v[12:13], null, v25, v15, 0
	v_add_co_u32 v8, vcc_lo, v31, v8
	s_delay_alu instid0(VALU_DEP_4) | instskip(NEXT) | instid1(VALU_DEP_2)
	v_add_co_ci_u32_e32 v9, vcc_lo, 0, v9, vcc_lo
	v_add_co_u32 v8, vcc_lo, v8, v10
	s_delay_alu instid0(VALU_DEP_2) | instskip(SKIP_1) | instid1(VALU_DEP_2)
	v_add_co_ci_u32_e32 v8, vcc_lo, v9, v11, vcc_lo
	v_add_co_ci_u32_e32 v9, vcc_lo, 0, v13, vcc_lo
	v_add_co_u32 v10, vcc_lo, v8, v12
	s_delay_alu instid0(VALU_DEP_2) | instskip(NEXT) | instid1(VALU_DEP_2)
	v_add_co_ci_u32_e32 v11, vcc_lo, 0, v9, vcc_lo
	v_mul_lo_u32 v12, v22, v10
	v_mad_u64_u32 v[8:9], null, v21, v10, 0
	s_delay_alu instid0(VALU_DEP_3) | instskip(NEXT) | instid1(VALU_DEP_2)
	v_mul_lo_u32 v13, v21, v11
	v_sub_co_u32 v8, vcc_lo, v14, v8
	s_delay_alu instid0(VALU_DEP_2) | instskip(NEXT) | instid1(VALU_DEP_1)
	v_add3_u32 v9, v9, v13, v12
	v_sub_nc_u32_e32 v12, v25, v9
	s_delay_alu instid0(VALU_DEP_1) | instskip(SKIP_1) | instid1(VALU_DEP_1)
	v_sub_co_ci_u32_e64 v12, s0, v12, v22, vcc_lo
	v_add_co_u32 v13, s0, v10, 2
	v_add_co_ci_u32_e64 v14, s0, 0, v11, s0
	v_sub_co_u32 v15, s0, v8, v21
	v_sub_co_ci_u32_e32 v9, vcc_lo, v25, v9, vcc_lo
	v_subrev_co_ci_u32_e64 v12, s0, 0, v12, s0
	s_delay_alu instid0(VALU_DEP_3) | instskip(NEXT) | instid1(VALU_DEP_3)
	v_cmp_ge_u32_e32 vcc_lo, v15, v21
	v_cmp_eq_u32_e64 s0, v9, v22
	v_cndmask_b32_e64 v15, 0, -1, vcc_lo
	s_delay_alu instid0(VALU_DEP_4)
	v_cmp_ge_u32_e32 vcc_lo, v12, v22
	v_cndmask_b32_e64 v25, 0, -1, vcc_lo
	v_cmp_ge_u32_e32 vcc_lo, v8, v21
	v_cndmask_b32_e64 v8, 0, -1, vcc_lo
	;; [unrolled: 2-line block ×3, first 2 shown]
	v_cmp_eq_u32_e32 vcc_lo, v12, v22
	s_delay_alu instid0(VALU_DEP_2) | instskip(SKIP_3) | instid1(VALU_DEP_3)
	v_cndmask_b32_e64 v8, v21, v8, s0
	v_cndmask_b32_e32 v12, v25, v15, vcc_lo
	v_add_co_u32 v15, vcc_lo, v10, 1
	v_add_co_ci_u32_e32 v25, vcc_lo, 0, v11, vcc_lo
	v_cmp_ne_u32_e32 vcc_lo, 0, v12
	s_delay_alu instid0(VALU_DEP_2) | instskip(SKIP_2) | instid1(VALU_DEP_3)
	v_dual_cndmask_b32 v9, v25, v14 :: v_dual_cndmask_b32 v12, v15, v13
	v_cmp_ne_u32_e32 vcc_lo, 0, v8
	v_xor_b32_e32 v13, v23, v20
                                        ; implicit-def: $vgpr14_vgpr15
	v_dual_cndmask_b32 v8, v11, v9 :: v_dual_cndmask_b32 v9, v10, v12
	s_delay_alu instid0(VALU_DEP_1) | instskip(NEXT) | instid1(VALU_DEP_2)
	v_xor_b32_e32 v10, v8, v13
	v_xor_b32_e32 v9, v9, v13
	s_delay_alu instid0(VALU_DEP_1) | instskip(NEXT) | instid1(VALU_DEP_3)
	v_sub_co_u32 v8, vcc_lo, v9, v13
	v_sub_co_ci_u32_e32 v9, vcc_lo, v10, v13, vcc_lo
                                        ; implicit-def: $vgpr10_vgpr11
.LBB47_63:                              ;   in Loop: Header=BB47_49 Depth=1
	s_and_not1_saveexec_b32 s0, s4
	s_cbranch_execz .LBB47_48
; %bb.64:                               ;   in Loop: Header=BB47_49 Depth=1
	v_cvt_f32_u32_e32 v8, v14
	v_sub_nc_u32_e32 v9, 0, v14
	s_delay_alu instid0(VALU_DEP_2) | instskip(SKIP_2) | instid1(VALU_DEP_1)
	v_rcp_iflag_f32_e32 v8, v8
	s_waitcnt_depctr 0xfff
	v_mul_f32_e32 v8, 0x4f7ffffe, v8
	v_cvt_u32_f32_e32 v8, v8
	s_delay_alu instid0(VALU_DEP_1) | instskip(NEXT) | instid1(VALU_DEP_1)
	v_mul_lo_u32 v9, v9, v8
	v_mul_hi_u32 v9, v8, v9
	s_delay_alu instid0(VALU_DEP_1) | instskip(NEXT) | instid1(VALU_DEP_1)
	v_add_nc_u32_e32 v8, v8, v9
	v_mul_hi_u32 v8, v10, v8
	s_delay_alu instid0(VALU_DEP_1) | instskip(NEXT) | instid1(VALU_DEP_1)
	v_mul_lo_u32 v9, v8, v14
	v_sub_nc_u32_e32 v9, v10, v9
	v_add_nc_u32_e32 v10, 1, v8
	s_delay_alu instid0(VALU_DEP_2) | instskip(SKIP_1) | instid1(VALU_DEP_2)
	v_sub_nc_u32_e32 v11, v9, v14
	v_cmp_ge_u32_e32 vcc_lo, v9, v14
	v_dual_cndmask_b32 v9, v9, v11 :: v_dual_cndmask_b32 v8, v8, v10
	s_delay_alu instid0(VALU_DEP_1) | instskip(NEXT) | instid1(VALU_DEP_2)
	v_cmp_ge_u32_e32 vcc_lo, v9, v14
	v_dual_mov_b32 v9, v24 :: v_dual_add_nc_u32 v10, 1, v8
	s_delay_alu instid0(VALU_DEP_1)
	v_cndmask_b32_e32 v8, v8, v10, vcc_lo
	s_branch .LBB47_48
.LBB47_65:
	s_nop 0
	s_sendmsg sendmsg(MSG_DEALLOC_VGPRS)
	s_endpgm
	.section	.rodata,"a",@progbits
	.p2align	6, 0x0
	.amdhsa_kernel _ZN2at6native12_GLOBAL__N_125multi_tensor_apply_kernelINS1_18TensorListMetadataILi4EEENS1_24PointwiseOpScalarFunctorIlLi4ELi3ELi3EEEJSt7dividesIlElEEEvT_T0_DpT1_
		.amdhsa_group_segment_fixed_size 0
		.amdhsa_private_segment_fixed_size 0
		.amdhsa_kernarg_size 3320
		.amdhsa_user_sgpr_count 15
		.amdhsa_user_sgpr_dispatch_ptr 0
		.amdhsa_user_sgpr_queue_ptr 0
		.amdhsa_user_sgpr_kernarg_segment_ptr 1
		.amdhsa_user_sgpr_dispatch_id 0
		.amdhsa_user_sgpr_private_segment_size 0
		.amdhsa_wavefront_size32 1
		.amdhsa_uses_dynamic_stack 0
		.amdhsa_enable_private_segment 0
		.amdhsa_system_sgpr_workgroup_id_x 1
		.amdhsa_system_sgpr_workgroup_id_y 0
		.amdhsa_system_sgpr_workgroup_id_z 0
		.amdhsa_system_sgpr_workgroup_info 0
		.amdhsa_system_vgpr_workitem_id 0
		.amdhsa_next_free_vgpr 77
		.amdhsa_next_free_sgpr 30
		.amdhsa_reserve_vcc 1
		.amdhsa_float_round_mode_32 0
		.amdhsa_float_round_mode_16_64 0
		.amdhsa_float_denorm_mode_32 3
		.amdhsa_float_denorm_mode_16_64 3
		.amdhsa_dx10_clamp 1
		.amdhsa_ieee_mode 1
		.amdhsa_fp16_overflow 0
		.amdhsa_workgroup_processor_mode 1
		.amdhsa_memory_ordered 1
		.amdhsa_forward_progress 0
		.amdhsa_shared_vgpr_count 0
		.amdhsa_exception_fp_ieee_invalid_op 0
		.amdhsa_exception_fp_denorm_src 0
		.amdhsa_exception_fp_ieee_div_zero 0
		.amdhsa_exception_fp_ieee_overflow 0
		.amdhsa_exception_fp_ieee_underflow 0
		.amdhsa_exception_fp_ieee_inexact 0
		.amdhsa_exception_int_div_zero 0
	.end_amdhsa_kernel
	.section	.text._ZN2at6native12_GLOBAL__N_125multi_tensor_apply_kernelINS1_18TensorListMetadataILi4EEENS1_24PointwiseOpScalarFunctorIlLi4ELi3ELi3EEEJSt7dividesIlElEEEvT_T0_DpT1_,"axG",@progbits,_ZN2at6native12_GLOBAL__N_125multi_tensor_apply_kernelINS1_18TensorListMetadataILi4EEENS1_24PointwiseOpScalarFunctorIlLi4ELi3ELi3EEEJSt7dividesIlElEEEvT_T0_DpT1_,comdat
.Lfunc_end47:
	.size	_ZN2at6native12_GLOBAL__N_125multi_tensor_apply_kernelINS1_18TensorListMetadataILi4EEENS1_24PointwiseOpScalarFunctorIlLi4ELi3ELi3EEEJSt7dividesIlElEEEvT_T0_DpT1_, .Lfunc_end47-_ZN2at6native12_GLOBAL__N_125multi_tensor_apply_kernelINS1_18TensorListMetadataILi4EEENS1_24PointwiseOpScalarFunctorIlLi4ELi3ELi3EEEJSt7dividesIlElEEEvT_T0_DpT1_
                                        ; -- End function
	.section	.AMDGPU.csdata,"",@progbits
; Kernel info:
; codeLenInByte = 9880
; NumSgprs: 32
; NumVgprs: 77
; ScratchSize: 0
; MemoryBound: 1
; FloatMode: 240
; IeeeMode: 1
; LDSByteSize: 0 bytes/workgroup (compile time only)
; SGPRBlocks: 3
; VGPRBlocks: 9
; NumSGPRsForWavesPerEU: 32
; NumVGPRsForWavesPerEU: 77
; Occupancy: 16
; WaveLimiterHint : 0
; COMPUTE_PGM_RSRC2:SCRATCH_EN: 0
; COMPUTE_PGM_RSRC2:USER_SGPR: 15
; COMPUTE_PGM_RSRC2:TRAP_HANDLER: 0
; COMPUTE_PGM_RSRC2:TGID_X_EN: 1
; COMPUTE_PGM_RSRC2:TGID_Y_EN: 0
; COMPUTE_PGM_RSRC2:TGID_Z_EN: 0
; COMPUTE_PGM_RSRC2:TIDIG_COMP_CNT: 0
	.section	.text._ZN2at6native12_GLOBAL__N_125multi_tensor_apply_kernelINS1_18TensorListMetadataILi4EEENS1_24PointwiseOpScalarFunctorIsLi4ELi3ELi3EEEJSt7dividesIsEsEEEvT_T0_DpT1_,"axG",@progbits,_ZN2at6native12_GLOBAL__N_125multi_tensor_apply_kernelINS1_18TensorListMetadataILi4EEENS1_24PointwiseOpScalarFunctorIsLi4ELi3ELi3EEEJSt7dividesIsEsEEEvT_T0_DpT1_,comdat
	.globl	_ZN2at6native12_GLOBAL__N_125multi_tensor_apply_kernelINS1_18TensorListMetadataILi4EEENS1_24PointwiseOpScalarFunctorIsLi4ELi3ELi3EEEJSt7dividesIsEsEEEvT_T0_DpT1_ ; -- Begin function _ZN2at6native12_GLOBAL__N_125multi_tensor_apply_kernelINS1_18TensorListMetadataILi4EEENS1_24PointwiseOpScalarFunctorIsLi4ELi3ELi3EEEJSt7dividesIsEsEEEvT_T0_DpT1_
	.p2align	8
	.type	_ZN2at6native12_GLOBAL__N_125multi_tensor_apply_kernelINS1_18TensorListMetadataILi4EEENS1_24PointwiseOpScalarFunctorIsLi4ELi3ELi3EEEJSt7dividesIsEsEEEvT_T0_DpT1_,@function
_ZN2at6native12_GLOBAL__N_125multi_tensor_apply_kernelINS1_18TensorListMetadataILi4EEENS1_24PointwiseOpScalarFunctorIsLi4ELi3ELi3EEEJSt7dividesIsEsEEEvT_T0_DpT1_: ; @_ZN2at6native12_GLOBAL__N_125multi_tensor_apply_kernelINS1_18TensorListMetadataILi4EEENS1_24PointwiseOpScalarFunctorIsLi4ELi3ELi3EEEJSt7dividesIsEsEEEvT_T0_DpT1_
; %bb.0:
	v_mov_b32_e32 v1, s15
	s_mul_i32 s4, s15, 3
	s_mul_hi_u32 s3, s15, 3
	s_mov_b32 s19, 0
	s_load_b32 s2, s[0:1], 0xbe8
	global_load_u8 v1, v1, s[0:1] offset:1440
	s_waitcnt lgkmcnt(0)
	s_lshr_b32 s22, s2, 16
	s_add_u32 s2, s0, s15
	s_mov_b32 s15, s19
	s_addc_u32 s5, s1, 0
	s_add_u32 s2, s2, s4
	s_addc_u32 s3, s5, s3
	s_load_b32 s2, s[2:3], 0x6e0
	s_waitcnt vmcnt(0)
	v_readfirstlane_b32 s4, v1
	s_delay_alu instid0(VALU_DEP_1)
	s_lshl_b32 s3, s4, 3
	s_clause 0x4
	s_load_b64 s[6:7], s[0:1], s3 offset:0x120
	s_load_b64 s[8:9], s[0:1], s3 offset:0x0
	s_load_b64 s[10:11], s[0:1], s3 offset:0x240
	s_load_b64 s[12:13], s[0:1], s3 offset:0x360
	s_load_b64 s[4:5], s[0:1], s3 offset:0x480
	s_waitcnt lgkmcnt(0)
	s_ashr_i32 s3, s2, 31
	s_delay_alu instid0(SALU_CYCLE_1) | instskip(NEXT) | instid1(SALU_CYCLE_1)
	s_lshl_b64 s[16:17], s[2:3], 17
	s_add_u32 s14, s6, s16
	s_and_b32 s18, s8, 7
	s_and_b32 s14, s14, 7
	s_delay_alu instid0(SALU_CYCLE_1) | instskip(SKIP_2) | instid1(SALU_CYCLE_1)
	s_cmp_eq_u64 s[14:15], 0
	s_cselect_b32 s14, -1, 0
	s_add_u32 s15, s10, s16
	s_or_b32 s15, s12, s15
	s_delay_alu instid0(SALU_CYCLE_1) | instskip(NEXT) | instid1(SALU_CYCLE_1)
	s_and_b32 s15, s15, 7
	s_cmp_eq_u32 s15, 0
	s_cselect_b32 s15, -1, 0
	s_lshl_b64 s[2:3], s[2:3], 16
	s_and_b32 s20, s15, s14
	s_sub_u32 s14, s4, s2
	s_subb_u32 s15, s5, s3
	s_and_b32 s2, s4, 3
	s_mov_b32 s3, s19
	s_delay_alu instid0(SALU_CYCLE_1) | instskip(NEXT) | instid1(SALU_CYCLE_1)
	s_or_b64 s[2:3], s[18:19], s[2:3]
	s_cmp_eq_u64 s[2:3], 0
	s_cselect_b32 s2, -1, 0
	s_delay_alu instid0(SALU_CYCLE_1) | instskip(NEXT) | instid1(SALU_CYCLE_1)
	s_and_b32 s2, s20, s2
	s_and_b32 vcc_lo, exec_lo, s2
	s_mov_b32 s2, -1
	s_cbranch_vccnz .LBB48_29
; %bb.1:
	v_cmp_lt_i64_e64 s2, s[14:15], 1
	s_delay_alu instid0(VALU_DEP_1)
	s_and_b32 vcc_lo, exec_lo, s2
	s_cbranch_vccnz .LBB48_28
; %bb.2:
	s_load_b32 s2, s[0:1], 0xbfc
	v_dual_mov_b32 v18, 0 :: v_dual_lshlrev_b32 v17, 1, v0
	v_cmp_gt_u64_e64 s3, 0x10000, s[14:15]
	s_mov_b64 s[20:21], 0
	s_delay_alu instid0(VALU_DEP_2) | instskip(NEXT) | instid1(VALU_DEP_1)
	v_add_co_u32 v1, s4, s8, v17
	v_add_co_ci_u32_e64 v2, null, s9, 0, s4
	v_add_co_u32 v3, s4, s6, v17
	s_delay_alu instid0(VALU_DEP_1) | instskip(SKIP_1) | instid1(VALU_DEP_1)
	v_add_co_ci_u32_e64 v4, null, s7, 0, s4
	v_add_co_u32 v5, s4, s10, v17
	v_add_co_ci_u32_e64 v6, null, s11, 0, s4
	v_add_co_u32 v7, s4, s12, v17
	s_waitcnt lgkmcnt(0)
	s_and_b32 s2, s2, 0xffff
	s_and_b32 s3, s3, exec_lo
	v_mad_u64_u32 v[15:16], null, s2, 6, v[17:18]
	v_add_co_ci_u32_e64 v8, null, s13, 0, s4
	s_cselect_b32 s19, s15, 0
	s_cselect_b32 s18, s14, 0x10000
	s_mul_i32 s4, s2, 3
	s_lshl_b32 s23, s2, 2
	s_delay_alu instid0(VALU_DEP_2) | instskip(NEXT) | instid1(VALU_DEP_3)
	v_add_co_u32 v9, vcc_lo, s8, v15
	v_add_co_ci_u32_e32 v10, vcc_lo, s9, v16, vcc_lo
	v_add_co_u32 v11, vcc_lo, s6, v15
	v_add_co_u32 v26, s5, s23, v17
	v_add_co_u32 v17, s4, s4, v0
	v_add_co_ci_u32_e32 v12, vcc_lo, s7, v16, vcc_lo
	v_add_co_ci_u32_e64 v18, null, 0, 0, s4
	v_add_co_u32 v25, s4, v0, s2
	v_add_co_u32 v13, vcc_lo, s10, v15
	v_add_co_ci_u32_e32 v14, vcc_lo, s11, v16, vcc_lo
	v_add_co_u32 v15, vcc_lo, s12, v15
	v_add_co_ci_u32_e64 v27, null, 0, 0, s5
	v_lshlrev_b32_e32 v37, 1, v25
	s_lshl_b32 s3, s2, 1
	v_add_co_ci_u32_e32 v16, vcc_lo, s13, v16, vcc_lo
	v_add_co_u32 v19, vcc_lo, s8, v26
	v_add_co_u32 v29, s3, s3, v0
	v_add_co_ci_u32_e32 v20, vcc_lo, s9, v27, vcc_lo
	v_add_co_u32 v21, vcc_lo, s6, v26
	v_add_co_ci_u32_e64 v30, null, 0, 0, s3
	v_add_co_u32 v31, s3, s8, v37
	v_add_co_ci_u32_e32 v22, vcc_lo, s7, v27, vcc_lo
	v_add_co_ci_u32_e64 v32, null, s9, 0, s3
	v_add_co_u32 v33, s3, s6, v37
	v_add_co_u32 v23, vcc_lo, s10, v26
	v_add_co_ci_u32_e64 v34, null, s7, 0, s3
	v_add_co_u32 v35, s3, s10, v37
	v_add_co_ci_u32_e32 v24, vcc_lo, s11, v27, vcc_lo
	v_add_co_u32 v26, vcc_lo, s12, v26
	v_add_co_ci_u32_e64 v36, null, s11, 0, s3
	v_add_co_u32 v37, s3, s12, v37
	v_add_co_ci_u32_e32 v27, vcc_lo, s13, v27, vcc_lo
	v_add_co_ci_u32_e64 v28, null, 0, 0, s4
	v_add_co_ci_u32_e64 v38, null, s13, 0, s3
	s_lshl_b32 s24, s2, 3
	s_branch .LBB48_4
.LBB48_3:                               ;   in Loop: Header=BB48_4 Depth=1
	s_or_b32 exec_lo, exec_lo, s2
	v_add_co_u32 v1, vcc_lo, v1, s24
	v_add_co_ci_u32_e32 v2, vcc_lo, 0, v2, vcc_lo
	v_add_co_u32 v3, vcc_lo, v3, s24
	v_add_co_ci_u32_e32 v4, vcc_lo, 0, v4, vcc_lo
	;; [unrolled: 2-line block ×13, first 2 shown]
	s_add_u32 s20, s20, s23
	v_add_co_u32 v33, vcc_lo, v33, s24
	s_addc_u32 s21, s21, 0
	v_add_co_ci_u32_e32 v34, vcc_lo, 0, v34, vcc_lo
	v_cmp_lt_i64_e64 s2, s[20:21], s[14:15]
	v_cmp_gt_u64_e64 s3, 0x10000, s[20:21]
	v_add_co_u32 v35, vcc_lo, v35, s24
	v_add_co_ci_u32_e32 v36, vcc_lo, 0, v36, vcc_lo
	v_add_co_u32 v37, vcc_lo, v37, s24
	v_add_co_ci_u32_e32 v38, vcc_lo, 0, v38, vcc_lo
	s_and_b32 s2, s2, s3
	s_delay_alu instid0(SALU_CYCLE_1)
	s_and_b32 vcc_lo, exec_lo, s2
	s_cbranch_vccz .LBB48_28
.LBB48_4:                               ; =>This Inner Loop Header: Depth=1
	s_waitcnt vmcnt(1)
	v_add_co_u32 v39, s2, v0, s20
	s_delay_alu instid0(VALU_DEP_1) | instskip(SKIP_2) | instid1(VALU_DEP_2)
	v_add_co_ci_u32_e64 v40, null, 0, s21, s2
	s_waitcnt vmcnt(0)
	v_mov_b32_e32 v42, 0
	v_cmp_gt_u64_e32 vcc_lo, s[18:19], v[39:40]
	v_mov_b32_e32 v40, 0
	s_and_saveexec_b32 s3, vcc_lo
	s_cbranch_execz .LBB48_6
; %bb.5:                                ;   in Loop: Header=BB48_4 Depth=1
	v_add_co_u32 v39, s2, v1, s16
	s_delay_alu instid0(VALU_DEP_1) | instskip(SKIP_1) | instid1(VALU_DEP_1)
	v_add_co_ci_u32_e64 v40, s2, s17, v2, s2
	v_add_co_u32 v41, s2, v3, s16
	v_add_co_ci_u32_e64 v42, s2, s17, v4, s2
	global_load_u16 v40, v[39:40], off
	global_load_u16 v42, v[41:42], off
.LBB48_6:                               ;   in Loop: Header=BB48_4 Depth=1
	s_or_b32 exec_lo, exec_lo, s3
	v_mov_b32_e32 v39, 0
	v_mov_b32_e32 v45, 0
	s_and_saveexec_b32 s3, vcc_lo
	s_cbranch_execz .LBB48_8
; %bb.7:                                ;   in Loop: Header=BB48_4 Depth=1
	v_add_co_u32 v43, s2, v5, s16
	s_delay_alu instid0(VALU_DEP_1)
	v_add_co_ci_u32_e64 v44, s2, s17, v6, s2
	global_load_u16 v45, v[43:44], off
.LBB48_8:                               ;   in Loop: Header=BB48_4 Depth=1
	s_or_b32 exec_lo, exec_lo, s3
	v_add_co_u32 v43, s2, v25, s20
	s_delay_alu instid0(VALU_DEP_1) | instskip(NEXT) | instid1(VALU_DEP_1)
	v_add_co_ci_u32_e64 v44, s2, s21, v28, s2
	v_cmp_gt_u64_e64 s2, s[18:19], v[43:44]
	v_mov_b32_e32 v44, 0
	s_delay_alu instid0(VALU_DEP_2)
	s_and_saveexec_b32 s4, s2
	s_cbranch_execz .LBB48_10
; %bb.9:                                ;   in Loop: Header=BB48_4 Depth=1
	v_add_co_u32 v43, s3, v31, s16
	s_delay_alu instid0(VALU_DEP_1) | instskip(SKIP_1) | instid1(VALU_DEP_1)
	v_add_co_ci_u32_e64 v44, s3, s17, v32, s3
	v_add_co_u32 v46, s3, v33, s16
	v_add_co_ci_u32_e64 v47, s3, s17, v34, s3
	global_load_u16 v39, v[43:44], off
	global_load_u16 v44, v[46:47], off
.LBB48_10:                              ;   in Loop: Header=BB48_4 Depth=1
	s_or_b32 exec_lo, exec_lo, s4
	v_mov_b32_e32 v41, 0
	v_mov_b32_e32 v47, 0
	s_and_saveexec_b32 s4, s2
	s_cbranch_execz .LBB48_12
; %bb.11:                               ;   in Loop: Header=BB48_4 Depth=1
	v_add_co_u32 v46, s3, v35, s16
	s_delay_alu instid0(VALU_DEP_1)
	v_add_co_ci_u32_e64 v47, s3, s17, v36, s3
	global_load_u16 v47, v[46:47], off
.LBB48_12:                              ;   in Loop: Header=BB48_4 Depth=1
	s_or_b32 exec_lo, exec_lo, s4
	v_add_co_u32 v48, s3, v29, s20
	s_delay_alu instid0(VALU_DEP_1) | instskip(SKIP_1) | instid1(VALU_DEP_2)
	v_add_co_ci_u32_e64 v49, s3, s21, v30, s3
	v_mov_b32_e32 v46, 0
	v_cmp_gt_u64_e64 s3, s[18:19], v[48:49]
	s_delay_alu instid0(VALU_DEP_1)
	s_and_saveexec_b32 s5, s3
	s_cbranch_execz .LBB48_14
; %bb.13:                               ;   in Loop: Header=BB48_4 Depth=1
	v_add_co_u32 v48, s4, v19, s16
	s_delay_alu instid0(VALU_DEP_1) | instskip(SKIP_1) | instid1(VALU_DEP_1)
	v_add_co_ci_u32_e64 v49, s4, s17, v20, s4
	v_add_co_u32 v50, s4, v21, s16
	v_add_co_ci_u32_e64 v51, s4, s17, v22, s4
	global_load_u16 v41, v[48:49], off
	global_load_u16 v46, v[50:51], off
.LBB48_14:                              ;   in Loop: Header=BB48_4 Depth=1
	s_or_b32 exec_lo, exec_lo, s5
	v_mov_b32_e32 v43, 0
	v_mov_b32_e32 v49, 0
	s_and_saveexec_b32 s5, s3
	s_cbranch_execz .LBB48_16
; %bb.15:                               ;   in Loop: Header=BB48_4 Depth=1
	v_add_co_u32 v48, s4, v23, s16
	s_delay_alu instid0(VALU_DEP_1)
	v_add_co_ci_u32_e64 v49, s4, s17, v24, s4
	global_load_u16 v49, v[48:49], off
.LBB48_16:                              ;   in Loop: Header=BB48_4 Depth=1
	s_or_b32 exec_lo, exec_lo, s5
	v_add_co_u32 v50, s4, v17, s20
	s_delay_alu instid0(VALU_DEP_1) | instskip(SKIP_1) | instid1(VALU_DEP_2)
	v_add_co_ci_u32_e64 v51, s4, s21, v18, s4
	v_mov_b32_e32 v48, 0
	v_cmp_gt_u64_e64 s4, s[18:19], v[50:51]
	s_delay_alu instid0(VALU_DEP_1)
	s_and_saveexec_b32 s25, s4
	s_cbranch_execnz .LBB48_22
; %bb.17:                               ;   in Loop: Header=BB48_4 Depth=1
	s_or_b32 exec_lo, exec_lo, s25
	v_mov_b32_e32 v50, 0
	s_and_saveexec_b32 s25, s4
	s_cbranch_execnz .LBB48_23
.LBB48_18:                              ;   in Loop: Header=BB48_4 Depth=1
	s_or_b32 exec_lo, exec_lo, s25
	s_and_saveexec_b32 s5, vcc_lo
	s_cbranch_execnz .LBB48_24
.LBB48_19:                              ;   in Loop: Header=BB48_4 Depth=1
	s_or_b32 exec_lo, exec_lo, s5
	s_and_saveexec_b32 s5, s2
	s_cbranch_execnz .LBB48_25
.LBB48_20:                              ;   in Loop: Header=BB48_4 Depth=1
	s_or_b32 exec_lo, exec_lo, s5
	s_and_saveexec_b32 s2, s3
	s_cbranch_execnz .LBB48_26
.LBB48_21:                              ;   in Loop: Header=BB48_4 Depth=1
	s_or_b32 exec_lo, exec_lo, s2
	s_and_saveexec_b32 s2, s4
	s_cbranch_execz .LBB48_3
	s_branch .LBB48_27
.LBB48_22:                              ;   in Loop: Header=BB48_4 Depth=1
	v_add_co_u32 v50, s5, v9, s16
	s_delay_alu instid0(VALU_DEP_1) | instskip(SKIP_1) | instid1(VALU_DEP_1)
	v_add_co_ci_u32_e64 v51, s5, s17, v10, s5
	v_add_co_u32 v52, s5, v11, s16
	v_add_co_ci_u32_e64 v53, s5, s17, v12, s5
	global_load_u16 v43, v[50:51], off
	global_load_u16 v48, v[52:53], off
	s_or_b32 exec_lo, exec_lo, s25
	v_mov_b32_e32 v50, 0
	s_and_saveexec_b32 s25, s4
	s_cbranch_execz .LBB48_18
.LBB48_23:                              ;   in Loop: Header=BB48_4 Depth=1
	v_add_co_u32 v50, s5, v13, s16
	s_delay_alu instid0(VALU_DEP_1)
	v_add_co_ci_u32_e64 v51, s5, s17, v14, s5
	global_load_u16 v50, v[50:51], off
	s_or_b32 exec_lo, exec_lo, s25
	s_and_saveexec_b32 s5, vcc_lo
	s_cbranch_execz .LBB48_19
.LBB48_24:                              ;   in Loop: Header=BB48_4 Depth=1
	s_waitcnt vmcnt(0)
	v_bfe_i32 v45, v45, 0, 16
	v_bfe_i32 v42, v42, 0, 16
	s_delay_alu instid0(VALU_DEP_2) | instskip(NEXT) | instid1(VALU_DEP_2)
	v_cvt_f32_i32_e32 v51, v45
	v_cvt_f32_i32_e32 v53, v42
	v_xor_b32_e32 v42, v42, v45
	s_delay_alu instid0(VALU_DEP_3) | instskip(NEXT) | instid1(VALU_DEP_1)
	v_rcp_iflag_f32_e32 v52, v51
	v_ashrrev_i32_e32 v42, 30, v42
	s_delay_alu instid0(VALU_DEP_1) | instskip(SKIP_2) | instid1(VALU_DEP_1)
	v_or_b32_e32 v42, 1, v42
	s_waitcnt_depctr 0xfff
	v_mul_f32_e32 v52, v53, v52
	v_trunc_f32_e32 v45, v52
	s_delay_alu instid0(VALU_DEP_1) | instskip(SKIP_1) | instid1(VALU_DEP_2)
	v_fma_f32 v52, -v45, v51, v53
	v_cvt_i32_f32_e32 v45, v45
	v_cmp_ge_f32_e64 vcc_lo, |v52|, |v51|
	v_cndmask_b32_e32 v42, 0, v42, vcc_lo
	v_add_co_u32 v51, vcc_lo, v7, s16
	v_add_co_ci_u32_e32 v52, vcc_lo, s17, v8, vcc_lo
	s_delay_alu instid0(VALU_DEP_3) | instskip(NEXT) | instid1(VALU_DEP_1)
	v_add_nc_u32_e32 v42, v45, v42
	v_mad_u16 v40, v42, s22, v40
	global_store_b16 v[51:52], v40, off
	s_or_b32 exec_lo, exec_lo, s5
	s_and_saveexec_b32 s5, s2
	s_cbranch_execz .LBB48_20
.LBB48_25:                              ;   in Loop: Header=BB48_4 Depth=1
	s_waitcnt vmcnt(0)
	v_bfe_i32 v40, v47, 0, 16
	v_bfe_i32 v44, v44, 0, 16
	s_delay_alu instid0(VALU_DEP_2) | instskip(NEXT) | instid1(VALU_DEP_2)
	v_cvt_f32_i32_e32 v42, v40
	v_xor_b32_e32 v40, v44, v40
	v_cvt_f32_i32_e32 v47, v44
	s_delay_alu instid0(VALU_DEP_3) | instskip(NEXT) | instid1(VALU_DEP_2)
	v_rcp_iflag_f32_e32 v45, v42
	v_ashrrev_i32_e32 v40, 30, v40
	s_delay_alu instid0(VALU_DEP_1) | instskip(SKIP_2) | instid1(VALU_DEP_1)
	v_or_b32_e32 v40, 1, v40
	s_waitcnt_depctr 0xfff
	v_mul_f32_e32 v45, v47, v45
	v_trunc_f32_e32 v44, v45
	s_delay_alu instid0(VALU_DEP_1) | instskip(SKIP_1) | instid1(VALU_DEP_2)
	v_fma_f32 v45, -v44, v42, v47
	v_cvt_i32_f32_e32 v44, v44
	v_cmp_ge_f32_e64 vcc_lo, |v45|, |v42|
	v_cndmask_b32_e32 v40, 0, v40, vcc_lo
	s_delay_alu instid0(VALU_DEP_1) | instskip(NEXT) | instid1(VALU_DEP_1)
	v_add_nc_u32_e32 v40, v44, v40
	v_mad_u16 v42, v40, s22, v39
	v_add_co_u32 v39, vcc_lo, v37, s16
	v_add_co_ci_u32_e32 v40, vcc_lo, s17, v38, vcc_lo
	global_store_b16 v[39:40], v42, off
	s_or_b32 exec_lo, exec_lo, s5
	s_and_saveexec_b32 s2, s3
	s_cbranch_execz .LBB48_21
.LBB48_26:                              ;   in Loop: Header=BB48_4 Depth=1
	s_waitcnt vmcnt(0)
	v_bfe_i32 v39, v49, 0, 16
	v_bfe_i32 v42, v46, 0, 16
	s_delay_alu instid0(VALU_DEP_2) | instskip(NEXT) | instid1(VALU_DEP_2)
	v_cvt_f32_i32_e32 v40, v39
	v_xor_b32_e32 v39, v42, v39
	v_cvt_f32_i32_e32 v45, v42
	s_delay_alu instid0(VALU_DEP_3) | instskip(NEXT) | instid1(VALU_DEP_2)
	v_rcp_iflag_f32_e32 v44, v40
	v_ashrrev_i32_e32 v39, 30, v39
	s_delay_alu instid0(VALU_DEP_1) | instskip(SKIP_2) | instid1(VALU_DEP_1)
	v_or_b32_e32 v39, 1, v39
	s_waitcnt_depctr 0xfff
	v_mul_f32_e32 v44, v45, v44
	v_trunc_f32_e32 v42, v44
	s_delay_alu instid0(VALU_DEP_1) | instskip(SKIP_1) | instid1(VALU_DEP_2)
	v_fma_f32 v44, -v42, v40, v45
	v_cvt_i32_f32_e32 v42, v42
	v_cmp_ge_f32_e64 vcc_lo, |v44|, |v40|
	v_cndmask_b32_e32 v39, 0, v39, vcc_lo
	s_delay_alu instid0(VALU_DEP_1) | instskip(NEXT) | instid1(VALU_DEP_1)
	v_add_nc_u32_e32 v39, v42, v39
	v_mad_u16 v41, v39, s22, v41
	v_add_co_u32 v39, vcc_lo, v26, s16
	v_add_co_ci_u32_e32 v40, vcc_lo, s17, v27, vcc_lo
	global_store_b16 v[39:40], v41, off
	s_or_b32 exec_lo, exec_lo, s2
	s_and_saveexec_b32 s2, s4
	s_cbranch_execz .LBB48_3
.LBB48_27:                              ;   in Loop: Header=BB48_4 Depth=1
	s_waitcnt vmcnt(0)
	v_bfe_i32 v39, v50, 0, 16
	v_bfe_i32 v41, v48, 0, 16
	s_delay_alu instid0(VALU_DEP_2) | instskip(NEXT) | instid1(VALU_DEP_2)
	v_cvt_f32_i32_e32 v40, v39
	v_xor_b32_e32 v39, v41, v39
	v_cvt_f32_i32_e32 v44, v41
	s_delay_alu instid0(VALU_DEP_3) | instskip(NEXT) | instid1(VALU_DEP_2)
	v_rcp_iflag_f32_e32 v42, v40
	v_ashrrev_i32_e32 v39, 30, v39
	s_delay_alu instid0(VALU_DEP_1) | instskip(SKIP_2) | instid1(VALU_DEP_1)
	v_or_b32_e32 v39, 1, v39
	s_waitcnt_depctr 0xfff
	v_mul_f32_e32 v42, v44, v42
	v_trunc_f32_e32 v41, v42
	s_delay_alu instid0(VALU_DEP_1) | instskip(SKIP_1) | instid1(VALU_DEP_2)
	v_fma_f32 v42, -v41, v40, v44
	v_cvt_i32_f32_e32 v41, v41
	v_cmp_ge_f32_e64 vcc_lo, |v42|, |v40|
	v_cndmask_b32_e32 v39, 0, v39, vcc_lo
	s_delay_alu instid0(VALU_DEP_1) | instskip(NEXT) | instid1(VALU_DEP_1)
	v_add_nc_u32_e32 v39, v41, v39
	v_mad_u16 v41, v39, s22, v43
	v_add_co_u32 v39, vcc_lo, v15, s16
	v_add_co_ci_u32_e32 v40, vcc_lo, s17, v16, vcc_lo
	global_store_b16 v[39:40], v41, off
	s_branch .LBB48_3
.LBB48_28:
	s_mov_b32 s2, 0
.LBB48_29:
	s_delay_alu instid0(SALU_CYCLE_1)
	s_and_not1_b32 vcc_lo, exec_lo, s2
	s_cbranch_vccnz .LBB48_33
; %bb.30:
	v_dual_mov_b32 v2, 0 :: v_dual_lshlrev_b32 v1, 2, v0
	s_mov_b32 s3, 0
	s_mov_b32 s2, exec_lo
	s_delay_alu instid0(VALU_DEP_1)
	v_cmpx_gt_i64_e64 s[14:15], v[1:2]
	s_cbranch_execz .LBB48_33
; %bb.31:
	s_load_b32 s0, s[0:1], 0xbfc
	v_lshlrev_b32_e32 v1, 3, v0
	s_delay_alu instid0(VALU_DEP_1) | instskip(NEXT) | instid1(VALU_DEP_1)
	v_add_co_u32 v3, s1, s16, v1
	v_add_co_ci_u32_e64 v4, null, s17, 0, s1
	s_waitcnt lgkmcnt(0)
	s_and_b32 s0, s0, 0xffff
	s_delay_alu instid0(SALU_CYCLE_1)
	v_add_lshl_u32 v1, v0, s0, 2
	s_lshl_b32 s4, s0, 3
	s_lshl_b32 s5, s0, 2
.LBB48_32:                              ; =>This Inner Loop Header: Depth=1
	v_add_co_u32 v5, vcc_lo, s6, v3
	v_add_co_ci_u32_e32 v6, vcc_lo, s7, v4, vcc_lo
	v_add_co_u32 v7, vcc_lo, s10, v3
	v_add_co_ci_u32_e32 v8, vcc_lo, s11, v4, vcc_lo
	;; [unrolled: 2-line block ×3, first 2 shown]
	global_load_b64 v[5:6], v[5:6], off
	global_load_b64 v[7:8], v[7:8], off
	;; [unrolled: 1-line block ×3, first 2 shown]
	v_add_co_u32 v11, vcc_lo, s12, v3
	v_add_co_ci_u32_e32 v12, vcc_lo, s13, v4, vcc_lo
	v_cmp_le_i64_e32 vcc_lo, s[14:15], v[1:2]
	v_cmp_lt_u64_e64 s0, 0xffff, v[1:2]
	v_add_co_u32 v3, s1, v3, s4
	s_delay_alu instid0(VALU_DEP_1) | instskip(SKIP_1) | instid1(VALU_DEP_4)
	v_add_co_ci_u32_e64 v4, s1, 0, v4, s1
	v_add_co_u32 v1, s1, v1, s5
	s_or_b32 s0, vcc_lo, s0
	v_add_co_ci_u32_e64 v2, s1, 0, v2, s1
	s_and_b32 s0, exec_lo, s0
	s_delay_alu instid0(SALU_CYCLE_1)
	s_or_b32 s3, s0, s3
	s_waitcnt vmcnt(2)
	v_bfe_i32 v0, v5, 0, 16
	s_waitcnt vmcnt(1)
	v_bfe_i32 v13, v7, 0, 16
	v_ashrrev_i32_e32 v15, 16, v5
	v_ashrrev_i32_e32 v16, 16, v7
	v_alignbit_b32 v5, v6, v5, 16
	v_alignbit_b32 v7, v8, v7, 16
	v_xor_b32_e32 v18, v0, v13
	v_cvt_f32_i32_e32 v13, v13
	v_ashrrev_i32_e32 v6, 16, v6
	v_ashrrev_i32_e32 v8, 16, v8
	v_xor_b32_e32 v19, v15, v16
	v_cvt_f32_i32_e32 v16, v16
	v_rcp_iflag_f32_e32 v21, v13
	v_cvt_f32_i32_e32 v0, v0
	v_ashrrev_i32_e32 v5, 16, v5
	v_ashrrev_i32_e32 v7, 16, v7
	v_xor_b32_e32 v20, v6, v8
	v_cvt_f32_i32_e32 v8, v8
	v_rcp_iflag_f32_e32 v22, v16
	v_cvt_f32_i32_e32 v15, v15
	v_xor_b32_e32 v23, v5, v7
	v_cvt_f32_i32_e32 v7, v7
	v_rcp_iflag_f32_e32 v24, v8
	v_mul_f32_e32 v21, v0, v21
	v_cvt_f32_i32_e32 v6, v6
	v_ashrrev_i32_e32 v18, 30, v18
	v_rcp_iflag_f32_e32 v25, v7
	v_cvt_f32_i32_e32 v5, v5
	v_mul_f32_e32 v22, v15, v22
	v_trunc_f32_e32 v21, v21
	v_ashrrev_i32_e32 v19, 30, v19
	v_or_b32_e32 v18, 1, v18
	v_mul_f32_e32 v24, v6, v24
	v_trunc_f32_e32 v22, v22
	v_fma_f32 v0, -v21, v13, v0
	v_ashrrev_i32_e32 v20, 30, v20
	v_mul_f32_e32 v25, v5, v25
	v_trunc_f32_e32 v24, v24
	v_fma_f32 v15, -v22, v16, v15
	v_cmp_ge_f32_e64 s2, |v0|, |v13|
	v_or_b32_e32 v19, 1, v19
	v_trunc_f32_e32 v25, v25
	v_fma_f32 v6, -v24, v8, v6
	v_ashrrev_i32_e32 v23, 30, v23
	v_cndmask_b32_e64 v0, 0, v18, s2
	v_cmp_ge_f32_e64 s2, |v15|, |v16|
	v_or_b32_e32 v20, 1, v20
	v_fma_f32 v5, -v25, v7, v5
	v_or_b32_e32 v23, 1, v23
	v_cvt_i32_f32_e32 v21, v21
	v_cndmask_b32_e64 v13, 0, v19, s2
	v_cmp_ge_f32_e64 s2, |v6|, |v8|
	v_cvt_i32_f32_e32 v22, v22
	s_waitcnt vmcnt(0)
	v_lshrrev_b32_e32 v14, 16, v9
	v_cvt_i32_f32_e32 v24, v24
	v_cvt_i32_f32_e32 v15, v25
	v_cndmask_b32_e64 v6, 0, v20, s2
	v_cmp_ge_f32_e64 s2, |v5|, |v7|
	v_add_nc_u32_e32 v0, v21, v0
	v_add_nc_u32_e32 v8, v22, v13
	v_lshrrev_b32_e32 v17, 16, v10
	v_add_nc_u32_e32 v6, v24, v6
	v_cndmask_b32_e64 v5, 0, v23, s2
	v_mad_u16 v0, v0, s22, v9
	v_mad_u16 v7, v8, s22, v14
	s_delay_alu instid0(VALU_DEP_4) | instskip(NEXT) | instid1(VALU_DEP_4)
	v_mad_u16 v6, v6, s22, v17
	v_add_nc_u32_e32 v5, v15, v5
	s_delay_alu instid0(VALU_DEP_4) | instskip(NEXT) | instid1(VALU_DEP_4)
	v_and_b32_e32 v0, 0xffff, v0
	v_lshlrev_b32_e32 v7, 16, v7
	s_delay_alu instid0(VALU_DEP_4) | instskip(NEXT) | instid1(VALU_DEP_4)
	v_lshlrev_b32_e32 v6, 16, v6
	v_mad_u16 v5, v5, s22, v10
	s_delay_alu instid0(VALU_DEP_3) | instskip(NEXT) | instid1(VALU_DEP_2)
	v_or_b32_e32 v0, v7, v0
	v_and_b32_e32 v5, 0xffff, v5
	s_delay_alu instid0(VALU_DEP_1) | instskip(NEXT) | instid1(VALU_DEP_3)
	v_or3_b32 v6, 0, v5, v6
	v_or3_b32 v5, v0, 0, 0
	global_store_b64 v[11:12], v[5:6], off
	s_and_not1_b32 exec_lo, exec_lo, s3
	s_cbranch_execnz .LBB48_32
.LBB48_33:
	s_nop 0
	s_sendmsg sendmsg(MSG_DEALLOC_VGPRS)
	s_endpgm
	.section	.rodata,"a",@progbits
	.p2align	6, 0x0
	.amdhsa_kernel _ZN2at6native12_GLOBAL__N_125multi_tensor_apply_kernelINS1_18TensorListMetadataILi4EEENS1_24PointwiseOpScalarFunctorIsLi4ELi3ELi3EEEJSt7dividesIsEsEEEvT_T0_DpT1_
		.amdhsa_group_segment_fixed_size 0
		.amdhsa_private_segment_fixed_size 0
		.amdhsa_kernarg_size 3312
		.amdhsa_user_sgpr_count 15
		.amdhsa_user_sgpr_dispatch_ptr 0
		.amdhsa_user_sgpr_queue_ptr 0
		.amdhsa_user_sgpr_kernarg_segment_ptr 1
		.amdhsa_user_sgpr_dispatch_id 0
		.amdhsa_user_sgpr_private_segment_size 0
		.amdhsa_wavefront_size32 1
		.amdhsa_uses_dynamic_stack 0
		.amdhsa_enable_private_segment 0
		.amdhsa_system_sgpr_workgroup_id_x 1
		.amdhsa_system_sgpr_workgroup_id_y 0
		.amdhsa_system_sgpr_workgroup_id_z 0
		.amdhsa_system_sgpr_workgroup_info 0
		.amdhsa_system_vgpr_workitem_id 0
		.amdhsa_next_free_vgpr 54
		.amdhsa_next_free_sgpr 26
		.amdhsa_reserve_vcc 1
		.amdhsa_float_round_mode_32 0
		.amdhsa_float_round_mode_16_64 0
		.amdhsa_float_denorm_mode_32 3
		.amdhsa_float_denorm_mode_16_64 3
		.amdhsa_dx10_clamp 1
		.amdhsa_ieee_mode 1
		.amdhsa_fp16_overflow 0
		.amdhsa_workgroup_processor_mode 1
		.amdhsa_memory_ordered 1
		.amdhsa_forward_progress 0
		.amdhsa_shared_vgpr_count 0
		.amdhsa_exception_fp_ieee_invalid_op 0
		.amdhsa_exception_fp_denorm_src 0
		.amdhsa_exception_fp_ieee_div_zero 0
		.amdhsa_exception_fp_ieee_overflow 0
		.amdhsa_exception_fp_ieee_underflow 0
		.amdhsa_exception_fp_ieee_inexact 0
		.amdhsa_exception_int_div_zero 0
	.end_amdhsa_kernel
	.section	.text._ZN2at6native12_GLOBAL__N_125multi_tensor_apply_kernelINS1_18TensorListMetadataILi4EEENS1_24PointwiseOpScalarFunctorIsLi4ELi3ELi3EEEJSt7dividesIsEsEEEvT_T0_DpT1_,"axG",@progbits,_ZN2at6native12_GLOBAL__N_125multi_tensor_apply_kernelINS1_18TensorListMetadataILi4EEENS1_24PointwiseOpScalarFunctorIsLi4ELi3ELi3EEEJSt7dividesIsEsEEEvT_T0_DpT1_,comdat
.Lfunc_end48:
	.size	_ZN2at6native12_GLOBAL__N_125multi_tensor_apply_kernelINS1_18TensorListMetadataILi4EEENS1_24PointwiseOpScalarFunctorIsLi4ELi3ELi3EEEJSt7dividesIsEsEEEvT_T0_DpT1_, .Lfunc_end48-_ZN2at6native12_GLOBAL__N_125multi_tensor_apply_kernelINS1_18TensorListMetadataILi4EEENS1_24PointwiseOpScalarFunctorIsLi4ELi3ELi3EEEJSt7dividesIsEsEEEvT_T0_DpT1_
                                        ; -- End function
	.section	.AMDGPU.csdata,"",@progbits
; Kernel info:
; codeLenInByte = 2848
; NumSgprs: 28
; NumVgprs: 54
; ScratchSize: 0
; MemoryBound: 0
; FloatMode: 240
; IeeeMode: 1
; LDSByteSize: 0 bytes/workgroup (compile time only)
; SGPRBlocks: 3
; VGPRBlocks: 6
; NumSGPRsForWavesPerEU: 28
; NumVGPRsForWavesPerEU: 54
; Occupancy: 16
; WaveLimiterHint : 0
; COMPUTE_PGM_RSRC2:SCRATCH_EN: 0
; COMPUTE_PGM_RSRC2:USER_SGPR: 15
; COMPUTE_PGM_RSRC2:TRAP_HANDLER: 0
; COMPUTE_PGM_RSRC2:TGID_X_EN: 1
; COMPUTE_PGM_RSRC2:TGID_Y_EN: 0
; COMPUTE_PGM_RSRC2:TGID_Z_EN: 0
; COMPUTE_PGM_RSRC2:TIDIG_COMP_CNT: 0
	.section	.text._ZN2at6native12_GLOBAL__N_125multi_tensor_apply_kernelINS1_18TensorListMetadataILi4EEENS1_24PointwiseOpScalarFunctorIdLi4ELi3ELi3EEEJSt7dividesIdEdEEEvT_T0_DpT1_,"axG",@progbits,_ZN2at6native12_GLOBAL__N_125multi_tensor_apply_kernelINS1_18TensorListMetadataILi4EEENS1_24PointwiseOpScalarFunctorIdLi4ELi3ELi3EEEJSt7dividesIdEdEEEvT_T0_DpT1_,comdat
	.globl	_ZN2at6native12_GLOBAL__N_125multi_tensor_apply_kernelINS1_18TensorListMetadataILi4EEENS1_24PointwiseOpScalarFunctorIdLi4ELi3ELi3EEEJSt7dividesIdEdEEEvT_T0_DpT1_ ; -- Begin function _ZN2at6native12_GLOBAL__N_125multi_tensor_apply_kernelINS1_18TensorListMetadataILi4EEENS1_24PointwiseOpScalarFunctorIdLi4ELi3ELi3EEEJSt7dividesIdEdEEEvT_T0_DpT1_
	.p2align	8
	.type	_ZN2at6native12_GLOBAL__N_125multi_tensor_apply_kernelINS1_18TensorListMetadataILi4EEENS1_24PointwiseOpScalarFunctorIdLi4ELi3ELi3EEEJSt7dividesIdEdEEEvT_T0_DpT1_,@function
_ZN2at6native12_GLOBAL__N_125multi_tensor_apply_kernelINS1_18TensorListMetadataILi4EEENS1_24PointwiseOpScalarFunctorIdLi4ELi3ELi3EEEJSt7dividesIdEdEEEvT_T0_DpT1_: ; @_ZN2at6native12_GLOBAL__N_125multi_tensor_apply_kernelINS1_18TensorListMetadataILi4EEENS1_24PointwiseOpScalarFunctorIdLi4ELi3ELi3EEEJSt7dividesIdEdEEEvT_T0_DpT1_
; %bb.0:
	v_mov_b32_e32 v1, s15
	s_add_u32 s2, s0, s15
	s_mul_hi_u32 s3, s15, 3
	s_mul_i32 s15, s15, 3
	s_addc_u32 s4, s1, 0
	global_load_u8 v1, v1, s[0:1] offset:1440
	s_add_u32 s2, s2, s15
	s_addc_u32 s3, s4, s3
	s_mov_b32 s13, 0
	s_load_b32 s8, s[2:3], 0x6e0
	s_mov_b32 s7, s13
	s_waitcnt lgkmcnt(0)
	s_ashr_i32 s9, s8, 31
	s_delay_alu instid0(SALU_CYCLE_1) | instskip(SKIP_2) | instid1(VALU_DEP_1)
	s_lshl_b64 s[10:11], s[8:9], 19
	s_waitcnt vmcnt(0)
	v_readfirstlane_b32 s2, v1
	s_lshl_b32 s6, s2, 3
	s_clause 0x4
	s_load_b64 s[2:3], s[0:1], s6 offset:0x0
	s_load_b64 s[4:5], s[0:1], s6 offset:0x120
	;; [unrolled: 1-line block ×5, first 2 shown]
	s_waitcnt lgkmcnt(0)
	s_add_u32 s18, s2, s10
	s_addc_u32 s19, s3, s11
	s_and_b32 s12, s18, 31
	s_add_u32 s20, s4, s10
	s_addc_u32 s21, s5, s11
	s_and_b32 s6, s20, 31
	s_delay_alu instid0(SALU_CYCLE_1)
	s_cmp_eq_u64 s[6:7], 0
	s_cselect_b32 s28, -1, 0
	s_add_u32 s22, s14, s10
	s_addc_u32 s23, s15, s11
	s_add_u32 s24, s16, s10
	s_addc_u32 s25, s17, s11
	s_or_b32 s6, s24, s22
	s_delay_alu instid0(SALU_CYCLE_1) | instskip(NEXT) | instid1(SALU_CYCLE_1)
	s_and_b32 s6, s6, 31
	s_cmp_eq_u32 s6, 0
	s_load_b64 s[6:7], s[0:1], 0xbf0
	s_cselect_b32 s29, -1, 0
	s_lshl_b64 s[8:9], s[8:9], 16
	s_and_b32 s28, s29, s28
	s_sub_u32 s8, s26, s8
	s_subb_u32 s9, s27, s9
	s_and_b32 s26, s26, 3
	s_mov_b32 s27, s13
	s_delay_alu instid0(SALU_CYCLE_1) | instskip(NEXT) | instid1(SALU_CYCLE_1)
	s_or_b64 s[12:13], s[12:13], s[26:27]
	s_cmp_eq_u64 s[12:13], 0
	s_cselect_b32 s12, -1, 0
	s_delay_alu instid0(SALU_CYCLE_1) | instskip(NEXT) | instid1(SALU_CYCLE_1)
	s_and_b32 s12, s28, s12
	s_and_b32 vcc_lo, exec_lo, s12
	s_mov_b32 s12, -1
	s_cbranch_vccnz .LBB49_45
; %bb.1:
	v_cmp_lt_i64_e64 s12, s[8:9], 1
	s_delay_alu instid0(VALU_DEP_1)
	s_and_b32 vcc_lo, exec_lo, s12
	s_cbranch_vccnz .LBB49_44
; %bb.2:
	s_load_b32 s12, s[0:1], 0xc04
	v_dual_mov_b32 v2, 0 :: v_dual_lshlrev_b32 v1, 3, v0
	v_cmp_gt_u64_e64 s13, 0x10000, s[8:9]
	s_waitcnt lgkmcnt(0)
	v_cmp_neq_f64_e64 s26, s[6:7], 1.0
	s_delay_alu instid0(VALU_DEP_3) | instskip(NEXT) | instid1(VALU_DEP_1)
	v_add_co_u32 v25, s27, s2, v1
	v_add_co_ci_u32_e64 v26, null, s3, 0, s27
	v_add_co_u32 v27, s27, s4, v1
	s_delay_alu instid0(VALU_DEP_1) | instskip(SKIP_1) | instid1(VALU_DEP_1)
	v_add_co_ci_u32_e64 v28, null, s5, 0, s27
	v_add_co_u32 v29, s27, s14, v1
	v_add_co_ci_u32_e64 v30, null, s15, 0, s27
	s_and_b32 s27, s12, 0xffff
	v_add_co_u32 v31, s12, s16, v1
	v_mad_u64_u32 v[3:4], null, s27, 24, v[1:2]
	v_add_co_ci_u32_e64 v32, null, s17, 0, s12
	s_and_b32 s12, s13, exec_lo
	s_cselect_b32 s13, s9, 0
	s_cselect_b32 s12, s8, 0x10000
	s_lshl_b32 s30, s27, 4
	s_delay_alu instid0(VALU_DEP_2) | instskip(NEXT) | instid1(VALU_DEP_3)
	v_add_co_u32 v33, vcc_lo, s2, v3
	v_add_co_ci_u32_e32 v34, vcc_lo, s3, v4, vcc_lo
	v_add_co_u32 v35, vcc_lo, s4, v3
	v_add_co_ci_u32_e32 v36, vcc_lo, s5, v4, vcc_lo
	v_add_co_u32 v37, vcc_lo, s14, v3
	v_add_co_u32 v1, s30, s30, v1
	v_add_co_ci_u32_e32 v38, vcc_lo, s15, v4, vcc_lo
	v_add_co_u32 v39, vcc_lo, s16, v3
	v_add_co_ci_u32_e64 v2, null, 0, 0, s30
	v_add_co_ci_u32_e32 v40, vcc_lo, s17, v4, vcc_lo
	s_mul_i32 s29, s27, 3
	v_add_co_u32 v43, vcc_lo, s2, v1
	v_add_co_u32 v41, s29, s29, v0
	v_add_co_ci_u32_e32 v44, vcc_lo, s3, v2, vcc_lo
	v_add_co_u32 v45, vcc_lo, s4, v1
	v_add_co_ci_u32_e64 v42, null, 0, 0, s29
	v_add_co_u32 v49, s29, v0, s27
	v_add_co_ci_u32_e32 v46, vcc_lo, s5, v2, vcc_lo
	v_add_co_u32 v47, vcc_lo, s14, v1
	v_add_co_ci_u32_e32 v48, vcc_lo, s15, v2, vcc_lo
	v_add_co_u32 v50, vcc_lo, s16, v1
	v_lshlrev_b32_e32 v1, 3, v49
	s_lshl_b32 s28, s27, 1
	v_add_co_ci_u32_e32 v51, vcc_lo, s17, v2, vcc_lo
	v_add_co_u32 v53, s28, s28, v0
	s_delay_alu instid0(VALU_DEP_3) | instskip(NEXT) | instid1(VALU_DEP_1)
	v_add_co_u32 v55, s2, s2, v1
	v_add_co_ci_u32_e64 v56, null, s3, 0, s2
	v_add_co_u32 v57, s2, s4, v1
	s_delay_alu instid0(VALU_DEP_1) | instskip(SKIP_1) | instid1(VALU_DEP_1)
	v_add_co_ci_u32_e64 v58, null, s5, 0, s2
	v_add_co_u32 v59, s2, s14, v1
	v_add_co_ci_u32_e64 v60, null, s15, 0, s2
	v_add_co_u32 v61, s2, s16, v1
	v_add_co_ci_u32_e64 v52, null, 0, 0, s29
	v_add_co_ci_u32_e64 v54, null, 0, 0, s28
	v_add_co_ci_u32_e64 v62, null, s17, 0, s2
	s_lshl_b32 s16, s27, 2
	s_lshl_b32 s17, s27, 5
	s_mov_b64 s[14:15], 0
	s_branch .LBB49_4
.LBB49_3:                               ;   in Loop: Header=BB49_4 Depth=1
	s_or_b32 exec_lo, exec_lo, s2
	v_add_co_u32 v25, vcc_lo, v25, s17
	v_add_co_ci_u32_e32 v26, vcc_lo, 0, v26, vcc_lo
	v_add_co_u32 v27, vcc_lo, v27, s17
	v_add_co_ci_u32_e32 v28, vcc_lo, 0, v28, vcc_lo
	;; [unrolled: 2-line block ×13, first 2 shown]
	s_add_u32 s14, s14, s16
	v_add_co_u32 v57, vcc_lo, v57, s17
	s_addc_u32 s15, s15, 0
	v_add_co_ci_u32_e32 v58, vcc_lo, 0, v58, vcc_lo
	v_cmp_ge_i64_e64 s2, s[14:15], s[8:9]
	v_cmp_lt_u64_e64 s3, 0xffff, s[14:15]
	v_add_co_u32 v59, vcc_lo, v59, s17
	v_add_co_ci_u32_e32 v60, vcc_lo, 0, v60, vcc_lo
	v_add_co_u32 v61, vcc_lo, v61, s17
	v_add_co_ci_u32_e32 v62, vcc_lo, 0, v62, vcc_lo
	s_or_b32 s2, s2, s3
	s_delay_alu instid0(SALU_CYCLE_1)
	s_and_b32 vcc_lo, exec_lo, s2
	s_cbranch_vccnz .LBB49_44
.LBB49_4:                               ; =>This Inner Loop Header: Depth=1
	v_add_co_u32 v1, s2, v0, s14
	s_delay_alu instid0(VALU_DEP_1) | instskip(SKIP_2) | instid1(VALU_DEP_3)
	v_add_co_ci_u32_e64 v2, null, 0, s15, s2
	v_mov_b32_e32 v7, 0
	v_mov_b32_e32 v8, 0
	v_cmp_gt_u64_e64 s2, s[12:13], v[1:2]
	s_delay_alu instid0(VALU_DEP_2) | instskip(SKIP_1) | instid1(VALU_DEP_3)
	v_dual_mov_b32 v1, v7 :: v_dual_mov_b32 v2, v8
	v_dual_mov_b32 v14, v8 :: v_dual_mov_b32 v13, v7
	s_and_saveexec_b32 s3, s2
	s_cbranch_execz .LBB49_6
; %bb.5:                                ;   in Loop: Header=BB49_4 Depth=1
	v_add_co_u32 v1, vcc_lo, v25, s10
	v_add_co_ci_u32_e32 v2, vcc_lo, s11, v26, vcc_lo
	v_add_co_u32 v3, vcc_lo, v27, s10
	v_add_co_ci_u32_e32 v4, vcc_lo, s11, v28, vcc_lo
	global_load_b64 v[1:2], v[1:2], off
	global_load_b64 v[13:14], v[3:4], off
.LBB49_6:                               ;   in Loop: Header=BB49_4 Depth=1
	s_or_b32 exec_lo, exec_lo, s3
	s_and_saveexec_b32 s3, s2
	s_cbranch_execz .LBB49_8
; %bb.7:                                ;   in Loop: Header=BB49_4 Depth=1
	v_add_co_u32 v3, vcc_lo, v29, s10
	v_add_co_ci_u32_e32 v4, vcc_lo, s11, v30, vcc_lo
	global_load_b64 v[7:8], v[3:4], off
.LBB49_8:                               ;   in Loop: Header=BB49_4 Depth=1
	s_or_b32 exec_lo, exec_lo, s3
	v_add_co_u32 v3, vcc_lo, v49, s14
	v_add_co_ci_u32_e32 v4, vcc_lo, s15, v52, vcc_lo
	v_mov_b32_e32 v11, 0
	v_mov_b32_e32 v12, 0
	s_delay_alu instid0(VALU_DEP_3) | instskip(NEXT) | instid1(VALU_DEP_2)
	v_cmp_gt_u64_e64 s3, s[12:13], v[3:4]
	v_dual_mov_b32 v3, v11 :: v_dual_mov_b32 v4, v12
	v_dual_mov_b32 v18, v12 :: v_dual_mov_b32 v17, v11
	s_delay_alu instid0(VALU_DEP_3)
	s_and_saveexec_b32 s4, s3
	s_cbranch_execz .LBB49_10
; %bb.9:                                ;   in Loop: Header=BB49_4 Depth=1
	v_add_co_u32 v3, vcc_lo, v55, s10
	v_add_co_ci_u32_e32 v4, vcc_lo, s11, v56, vcc_lo
	v_add_co_u32 v5, vcc_lo, v57, s10
	v_add_co_ci_u32_e32 v6, vcc_lo, s11, v58, vcc_lo
	global_load_b64 v[3:4], v[3:4], off
	global_load_b64 v[17:18], v[5:6], off
.LBB49_10:                              ;   in Loop: Header=BB49_4 Depth=1
	s_or_b32 exec_lo, exec_lo, s4
	s_and_saveexec_b32 s4, s3
	s_cbranch_execz .LBB49_12
; %bb.11:                               ;   in Loop: Header=BB49_4 Depth=1
	v_add_co_u32 v5, vcc_lo, v59, s10
	v_add_co_ci_u32_e32 v6, vcc_lo, s11, v60, vcc_lo
	global_load_b64 v[11:12], v[5:6], off
.LBB49_12:                              ;   in Loop: Header=BB49_4 Depth=1
	s_or_b32 exec_lo, exec_lo, s4
	v_add_co_u32 v5, vcc_lo, v53, s14
	v_add_co_ci_u32_e32 v6, vcc_lo, s15, v54, vcc_lo
	v_mov_b32_e32 v15, 0
	v_mov_b32_e32 v16, 0
	s_delay_alu instid0(VALU_DEP_3) | instskip(NEXT) | instid1(VALU_DEP_2)
	v_cmp_gt_u64_e64 s4, s[12:13], v[5:6]
	v_dual_mov_b32 v5, v15 :: v_dual_mov_b32 v6, v16
	v_dual_mov_b32 v20, v16 :: v_dual_mov_b32 v19, v15
	s_delay_alu instid0(VALU_DEP_3)
	s_and_saveexec_b32 s5, s4
	s_cbranch_execz .LBB49_14
; %bb.13:                               ;   in Loop: Header=BB49_4 Depth=1
	v_add_co_u32 v5, vcc_lo, v43, s10
	v_add_co_ci_u32_e32 v6, vcc_lo, s11, v44, vcc_lo
	v_add_co_u32 v9, vcc_lo, v45, s10
	v_add_co_ci_u32_e32 v10, vcc_lo, s11, v46, vcc_lo
	global_load_b64 v[5:6], v[5:6], off
	global_load_b64 v[19:20], v[9:10], off
.LBB49_14:                              ;   in Loop: Header=BB49_4 Depth=1
	s_or_b32 exec_lo, exec_lo, s5
	s_and_saveexec_b32 s5, s4
	s_cbranch_execz .LBB49_16
; %bb.15:                               ;   in Loop: Header=BB49_4 Depth=1
	v_add_co_u32 v9, vcc_lo, v47, s10
	v_add_co_ci_u32_e32 v10, vcc_lo, s11, v48, vcc_lo
	global_load_b64 v[15:16], v[9:10], off
.LBB49_16:                              ;   in Loop: Header=BB49_4 Depth=1
	s_or_b32 exec_lo, exec_lo, s5
	v_add_co_u32 v9, vcc_lo, v41, s14
	v_add_co_ci_u32_e32 v10, vcc_lo, s15, v42, vcc_lo
	v_mov_b32_e32 v21, 0
	v_mov_b32_e32 v22, 0
	s_delay_alu instid0(VALU_DEP_3) | instskip(NEXT) | instid1(VALU_DEP_2)
	v_cmp_gt_u64_e64 s5, s[12:13], v[9:10]
	v_dual_mov_b32 v9, v21 :: v_dual_mov_b32 v10, v22
	v_dual_mov_b32 v24, v22 :: v_dual_mov_b32 v23, v21
	s_delay_alu instid0(VALU_DEP_3)
	s_and_saveexec_b32 s27, s5
	s_cbranch_execz .LBB49_18
; %bb.17:                               ;   in Loop: Header=BB49_4 Depth=1
	v_add_co_u32 v9, vcc_lo, v33, s10
	v_add_co_ci_u32_e32 v10, vcc_lo, s11, v34, vcc_lo
	v_add_co_u32 v23, vcc_lo, v35, s10
	v_add_co_ci_u32_e32 v24, vcc_lo, s11, v36, vcc_lo
	global_load_b64 v[9:10], v[9:10], off
	global_load_b64 v[23:24], v[23:24], off
.LBB49_18:                              ;   in Loop: Header=BB49_4 Depth=1
	s_or_b32 exec_lo, exec_lo, s27
	s_and_saveexec_b32 s27, s5
	s_cbranch_execz .LBB49_20
; %bb.19:                               ;   in Loop: Header=BB49_4 Depth=1
	v_add_co_u32 v21, vcc_lo, v37, s10
	v_add_co_ci_u32_e32 v22, vcc_lo, s11, v38, vcc_lo
	global_load_b64 v[21:22], v[21:22], off
.LBB49_20:                              ;   in Loop: Header=BB49_4 Depth=1
	s_or_b32 exec_lo, exec_lo, s27
	s_waitcnt vmcnt(0)
	v_div_scale_f64 v[63:64], null, v[7:8], v[7:8], v[13:14]
	s_delay_alu instid0(VALU_DEP_1) | instskip(SKIP_2) | instid1(VALU_DEP_1)
	v_rcp_f64_e32 v[65:66], v[63:64]
	s_waitcnt_depctr 0xfff
	v_fma_f64 v[67:68], -v[63:64], v[65:66], 1.0
	v_fma_f64 v[65:66], v[65:66], v[67:68], v[65:66]
	s_delay_alu instid0(VALU_DEP_1) | instskip(NEXT) | instid1(VALU_DEP_1)
	v_fma_f64 v[67:68], -v[63:64], v[65:66], 1.0
	v_fma_f64 v[65:66], v[65:66], v[67:68], v[65:66]
	v_div_scale_f64 v[67:68], vcc_lo, v[13:14], v[7:8], v[13:14]
	s_delay_alu instid0(VALU_DEP_1) | instskip(NEXT) | instid1(VALU_DEP_1)
	v_mul_f64 v[69:70], v[67:68], v[65:66]
	v_fma_f64 v[63:64], -v[63:64], v[69:70], v[67:68]
	s_delay_alu instid0(VALU_DEP_1) | instskip(SKIP_1) | instid1(VALU_DEP_1)
	v_div_fmas_f64 v[63:64], v[63:64], v[65:66], v[69:70]
	s_and_b32 vcc_lo, exec_lo, s26
	v_div_fixup_f64 v[13:14], v[63:64], v[7:8], v[13:14]
	s_cbranch_vccz .LBB49_40
; %bb.21:                               ;   in Loop: Header=BB49_4 Depth=1
	s_delay_alu instid0(VALU_DEP_1)
	v_fma_f64 v[7:8], s[6:7], v[13:14], v[1:2]
	s_cbranch_execnz .LBB49_23
.LBB49_22:                              ;   in Loop: Header=BB49_4 Depth=1
	s_delay_alu instid0(VALU_DEP_1)
	v_add_f64 v[7:8], v[1:2], v[13:14]
.LBB49_23:                              ;   in Loop: Header=BB49_4 Depth=1
	v_div_scale_f64 v[1:2], null, v[11:12], v[11:12], v[17:18]
	s_delay_alu instid0(VALU_DEP_1) | instskip(SKIP_2) | instid1(VALU_DEP_1)
	v_rcp_f64_e32 v[13:14], v[1:2]
	s_waitcnt_depctr 0xfff
	v_fma_f64 v[63:64], -v[1:2], v[13:14], 1.0
	v_fma_f64 v[13:14], v[13:14], v[63:64], v[13:14]
	s_delay_alu instid0(VALU_DEP_1) | instskip(NEXT) | instid1(VALU_DEP_1)
	v_fma_f64 v[63:64], -v[1:2], v[13:14], 1.0
	v_fma_f64 v[13:14], v[13:14], v[63:64], v[13:14]
	v_div_scale_f64 v[63:64], vcc_lo, v[17:18], v[11:12], v[17:18]
	s_delay_alu instid0(VALU_DEP_1) | instskip(NEXT) | instid1(VALU_DEP_1)
	v_mul_f64 v[65:66], v[63:64], v[13:14]
	v_fma_f64 v[1:2], -v[1:2], v[65:66], v[63:64]
	s_delay_alu instid0(VALU_DEP_1) | instskip(SKIP_1) | instid1(VALU_DEP_1)
	v_div_fmas_f64 v[1:2], v[1:2], v[13:14], v[65:66]
	s_and_not1_b32 vcc_lo, exec_lo, s26
	v_div_fixup_f64 v[11:12], v[1:2], v[11:12], v[17:18]
	s_cbranch_vccnz .LBB49_41
; %bb.24:                               ;   in Loop: Header=BB49_4 Depth=1
	s_delay_alu instid0(VALU_DEP_1)
	v_fma_f64 v[1:2], s[6:7], v[11:12], v[3:4]
	s_cbranch_execnz .LBB49_26
.LBB49_25:                              ;   in Loop: Header=BB49_4 Depth=1
	s_delay_alu instid0(VALU_DEP_1)
	v_add_f64 v[1:2], v[3:4], v[11:12]
.LBB49_26:                              ;   in Loop: Header=BB49_4 Depth=1
	v_div_scale_f64 v[3:4], null, v[15:16], v[15:16], v[19:20]
	s_delay_alu instid0(VALU_DEP_1) | instskip(SKIP_2) | instid1(VALU_DEP_1)
	v_rcp_f64_e32 v[11:12], v[3:4]
	s_waitcnt_depctr 0xfff
	v_fma_f64 v[13:14], -v[3:4], v[11:12], 1.0
	v_fma_f64 v[11:12], v[11:12], v[13:14], v[11:12]
	s_delay_alu instid0(VALU_DEP_1) | instskip(NEXT) | instid1(VALU_DEP_1)
	v_fma_f64 v[13:14], -v[3:4], v[11:12], 1.0
	v_fma_f64 v[11:12], v[11:12], v[13:14], v[11:12]
	v_div_scale_f64 v[13:14], vcc_lo, v[19:20], v[15:16], v[19:20]
	s_delay_alu instid0(VALU_DEP_1) | instskip(NEXT) | instid1(VALU_DEP_1)
	v_mul_f64 v[17:18], v[13:14], v[11:12]
	v_fma_f64 v[3:4], -v[3:4], v[17:18], v[13:14]
	s_delay_alu instid0(VALU_DEP_1) | instskip(SKIP_1) | instid1(VALU_DEP_1)
	v_div_fmas_f64 v[3:4], v[3:4], v[11:12], v[17:18]
	s_and_not1_b32 vcc_lo, exec_lo, s26
	v_div_fixup_f64 v[11:12], v[3:4], v[15:16], v[19:20]
	s_cbranch_vccnz .LBB49_42
; %bb.27:                               ;   in Loop: Header=BB49_4 Depth=1
	s_delay_alu instid0(VALU_DEP_1)
	v_fma_f64 v[3:4], s[6:7], v[11:12], v[5:6]
	s_cbranch_execnz .LBB49_29
.LBB49_28:                              ;   in Loop: Header=BB49_4 Depth=1
	s_delay_alu instid0(VALU_DEP_1)
	v_add_f64 v[3:4], v[5:6], v[11:12]
.LBB49_29:                              ;   in Loop: Header=BB49_4 Depth=1
	v_div_scale_f64 v[5:6], null, v[21:22], v[21:22], v[23:24]
	s_delay_alu instid0(VALU_DEP_1) | instskip(SKIP_2) | instid1(VALU_DEP_1)
	v_rcp_f64_e32 v[11:12], v[5:6]
	s_waitcnt_depctr 0xfff
	v_fma_f64 v[13:14], -v[5:6], v[11:12], 1.0
	v_fma_f64 v[11:12], v[11:12], v[13:14], v[11:12]
	s_delay_alu instid0(VALU_DEP_1) | instskip(NEXT) | instid1(VALU_DEP_1)
	v_fma_f64 v[13:14], -v[5:6], v[11:12], 1.0
	v_fma_f64 v[11:12], v[11:12], v[13:14], v[11:12]
	v_div_scale_f64 v[13:14], vcc_lo, v[23:24], v[21:22], v[23:24]
	s_delay_alu instid0(VALU_DEP_1) | instskip(NEXT) | instid1(VALU_DEP_1)
	v_mul_f64 v[15:16], v[13:14], v[11:12]
	v_fma_f64 v[5:6], -v[5:6], v[15:16], v[13:14]
	s_delay_alu instid0(VALU_DEP_1) | instskip(SKIP_1) | instid1(VALU_DEP_1)
	v_div_fmas_f64 v[5:6], v[5:6], v[11:12], v[15:16]
	s_and_not1_b32 vcc_lo, exec_lo, s26
	v_div_fixup_f64 v[11:12], v[5:6], v[21:22], v[23:24]
	s_cbranch_vccnz .LBB49_43
; %bb.30:                               ;   in Loop: Header=BB49_4 Depth=1
	s_delay_alu instid0(VALU_DEP_1)
	v_fma_f64 v[5:6], s[6:7], v[11:12], v[9:10]
	s_cbranch_execnz .LBB49_32
.LBB49_31:                              ;   in Loop: Header=BB49_4 Depth=1
	s_delay_alu instid0(VALU_DEP_1)
	v_add_f64 v[5:6], v[9:10], v[11:12]
.LBB49_32:                              ;   in Loop: Header=BB49_4 Depth=1
	s_and_saveexec_b32 s27, s2
	s_delay_alu instid0(SALU_CYCLE_1)
	s_xor_b32 s2, exec_lo, s27
	s_cbranch_execnz .LBB49_36
; %bb.33:                               ;   in Loop: Header=BB49_4 Depth=1
	s_or_b32 exec_lo, exec_lo, s2
	s_and_saveexec_b32 s2, s3
	s_cbranch_execnz .LBB49_37
.LBB49_34:                              ;   in Loop: Header=BB49_4 Depth=1
	s_or_b32 exec_lo, exec_lo, s2
	s_and_saveexec_b32 s2, s4
	s_cbranch_execnz .LBB49_38
.LBB49_35:                              ;   in Loop: Header=BB49_4 Depth=1
	s_or_b32 exec_lo, exec_lo, s2
	s_and_saveexec_b32 s2, s5
	s_cbranch_execz .LBB49_3
	s_branch .LBB49_39
.LBB49_36:                              ;   in Loop: Header=BB49_4 Depth=1
	v_add_co_u32 v9, vcc_lo, v31, s10
	v_add_co_ci_u32_e32 v10, vcc_lo, s11, v32, vcc_lo
	global_store_b64 v[9:10], v[7:8], off
	s_or_b32 exec_lo, exec_lo, s2
	s_and_saveexec_b32 s2, s3
	s_cbranch_execz .LBB49_34
.LBB49_37:                              ;   in Loop: Header=BB49_4 Depth=1
	v_add_co_u32 v7, vcc_lo, v61, s10
	v_add_co_ci_u32_e32 v8, vcc_lo, s11, v62, vcc_lo
	global_store_b64 v[7:8], v[1:2], off
	s_or_b32 exec_lo, exec_lo, s2
	s_and_saveexec_b32 s2, s4
	s_cbranch_execz .LBB49_35
.LBB49_38:                              ;   in Loop: Header=BB49_4 Depth=1
	v_add_co_u32 v1, vcc_lo, v50, s10
	v_add_co_ci_u32_e32 v2, vcc_lo, s11, v51, vcc_lo
	global_store_b64 v[1:2], v[3:4], off
	s_or_b32 exec_lo, exec_lo, s2
	s_and_saveexec_b32 s2, s5
	s_cbranch_execz .LBB49_3
.LBB49_39:                              ;   in Loop: Header=BB49_4 Depth=1
	v_add_co_u32 v1, vcc_lo, v39, s10
	v_add_co_ci_u32_e32 v2, vcc_lo, s11, v40, vcc_lo
	global_store_b64 v[1:2], v[5:6], off
	s_branch .LBB49_3
.LBB49_40:                              ;   in Loop: Header=BB49_4 Depth=1
                                        ; implicit-def: $vgpr7_vgpr8
	s_branch .LBB49_22
.LBB49_41:                              ;   in Loop: Header=BB49_4 Depth=1
                                        ; implicit-def: $vgpr1_vgpr2
	s_branch .LBB49_25
.LBB49_42:                              ;   in Loop: Header=BB49_4 Depth=1
                                        ; implicit-def: $vgpr3_vgpr4
	s_branch .LBB49_28
.LBB49_43:                              ;   in Loop: Header=BB49_4 Depth=1
                                        ; implicit-def: $vgpr5_vgpr6
	s_branch .LBB49_31
.LBB49_44:
	s_mov_b32 s12, 0
.LBB49_45:
	s_delay_alu instid0(SALU_CYCLE_1)
	s_and_not1_b32 vcc_lo, exec_lo, s12
	s_cbranch_vccnz .LBB49_65
; %bb.46:
	v_dual_mov_b32 v25, 0 :: v_dual_lshlrev_b32 v24, 2, v0
	s_mov_b32 s2, 0
	s_mov_b32 s3, exec_lo
	s_delay_alu instid0(VALU_DEP_1)
	v_cmpx_gt_i64_e64 s[8:9], v[24:25]
	s_cbranch_execz .LBB49_65
; %bb.47:
	s_load_b32 s0, s[0:1], 0xc04
	s_waitcnt lgkmcnt(0)
	v_cmp_neq_f64_e64 s1, s[6:7], 1.0
	v_lshlrev_b32_e32 v26, 5, v0
	s_and_b32 s0, s0, 0xffff
	s_delay_alu instid0(SALU_CYCLE_1)
	v_add_lshl_u32 v24, v0, s0, 2
	s_lshl_b32 s3, s0, 2
	s_lshl_b32 s4, s0, 5
	s_branch .LBB49_49
.LBB49_48:                              ;   in Loop: Header=BB49_49 Depth=1
	v_cmp_le_i64_e32 vcc_lo, s[8:9], v[24:25]
	v_cmp_lt_u64_e64 s0, 0xffff, v[24:25]
	v_add_co_u32 v4, s5, s24, v26
	s_delay_alu instid0(VALU_DEP_1)
	v_add_co_ci_u32_e64 v5, null, s25, 0, s5
	s_clause 0x1
	global_store_b128 v[4:5], v[0:3], off
	global_store_b128 v[4:5], v[8:11], off offset:16
	s_or_b32 s0, vcc_lo, s0
	s_add_u32 s18, s18, s4
	s_addc_u32 s19, s19, 0
	s_add_u32 s24, s24, s4
	s_addc_u32 s25, s25, 0
	s_add_u32 s20, s20, s4
	v_add_co_u32 v24, vcc_lo, v24, s3
	s_addc_u32 s21, s21, 0
	s_add_u32 s22, s22, s4
	v_add_co_ci_u32_e32 v25, vcc_lo, 0, v25, vcc_lo
	s_addc_u32 s23, s23, 0
	s_and_b32 s0, exec_lo, s0
	s_delay_alu instid0(SALU_CYCLE_1) | instskip(NEXT) | instid1(SALU_CYCLE_1)
	s_or_b32 s2, s0, s2
	s_and_not1_b32 exec_lo, exec_lo, s2
	s_cbranch_execz .LBB49_65
.LBB49_49:                              ; =>This Inner Loop Header: Depth=1
	v_add_co_u32 v4, s0, s20, v26
	s_delay_alu instid0(VALU_DEP_1) | instskip(SKIP_1) | instid1(VALU_DEP_1)
	v_add_co_ci_u32_e64 v5, null, s21, 0, s0
	v_add_co_u32 v6, s0, s22, v26
	v_add_co_ci_u32_e64 v7, null, s23, 0, s0
	global_load_b128 v[0:3], v[4:5], off
	global_load_b128 v[20:23], v[6:7], off
	v_add_co_u32 v16, s0, s18, v26
	s_delay_alu instid0(VALU_DEP_1)
	v_add_co_ci_u32_e64 v17, null, s19, 0, s0
	global_load_b128 v[8:11], v[4:5], off offset:16
	global_load_b128 v[12:15], v[6:7], off offset:16
	s_clause 0x1
	global_load_b128 v[4:7], v[16:17], off offset:16
	global_load_b128 v[16:19], v[16:17], off
	s_waitcnt vmcnt(4)
	v_div_scale_f64 v[27:28], null, v[20:21], v[20:21], v[0:1]
	s_delay_alu instid0(VALU_DEP_1) | instskip(SKIP_2) | instid1(VALU_DEP_1)
	v_rcp_f64_e32 v[29:30], v[27:28]
	s_waitcnt_depctr 0xfff
	v_fma_f64 v[31:32], -v[27:28], v[29:30], 1.0
	v_fma_f64 v[29:30], v[29:30], v[31:32], v[29:30]
	s_delay_alu instid0(VALU_DEP_1) | instskip(NEXT) | instid1(VALU_DEP_1)
	v_fma_f64 v[31:32], -v[27:28], v[29:30], 1.0
	v_fma_f64 v[29:30], v[29:30], v[31:32], v[29:30]
	v_div_scale_f64 v[31:32], vcc_lo, v[0:1], v[20:21], v[0:1]
	s_delay_alu instid0(VALU_DEP_1) | instskip(NEXT) | instid1(VALU_DEP_1)
	v_mul_f64 v[33:34], v[31:32], v[29:30]
	v_fma_f64 v[27:28], -v[27:28], v[33:34], v[31:32]
	s_delay_alu instid0(VALU_DEP_1) | instskip(SKIP_1) | instid1(VALU_DEP_1)
	v_div_fmas_f64 v[27:28], v[27:28], v[29:30], v[33:34]
	s_and_b32 vcc_lo, exec_lo, s1
	v_div_fixup_f64 v[20:21], v[27:28], v[20:21], v[0:1]
	s_cbranch_vccz .LBB49_60
; %bb.50:                               ;   in Loop: Header=BB49_49 Depth=1
	s_waitcnt vmcnt(0)
	s_delay_alu instid0(VALU_DEP_1)
	v_fma_f64 v[0:1], s[6:7], v[20:21], v[16:17]
	s_cbranch_execnz .LBB49_52
.LBB49_51:                              ;   in Loop: Header=BB49_49 Depth=1
	s_waitcnt vmcnt(0)
	s_delay_alu instid0(VALU_DEP_1)
	v_add_f64 v[0:1], v[16:17], v[20:21]
.LBB49_52:                              ;   in Loop: Header=BB49_49 Depth=1
	s_waitcnt vmcnt(0)
	v_div_scale_f64 v[16:17], null, v[22:23], v[22:23], v[2:3]
	s_delay_alu instid0(VALU_DEP_1) | instskip(SKIP_2) | instid1(VALU_DEP_1)
	v_rcp_f64_e32 v[20:21], v[16:17]
	s_waitcnt_depctr 0xfff
	v_fma_f64 v[27:28], -v[16:17], v[20:21], 1.0
	v_fma_f64 v[20:21], v[20:21], v[27:28], v[20:21]
	s_delay_alu instid0(VALU_DEP_1) | instskip(NEXT) | instid1(VALU_DEP_1)
	v_fma_f64 v[27:28], -v[16:17], v[20:21], 1.0
	v_fma_f64 v[20:21], v[20:21], v[27:28], v[20:21]
	v_div_scale_f64 v[27:28], vcc_lo, v[2:3], v[22:23], v[2:3]
	s_delay_alu instid0(VALU_DEP_1) | instskip(NEXT) | instid1(VALU_DEP_1)
	v_mul_f64 v[29:30], v[27:28], v[20:21]
	v_fma_f64 v[16:17], -v[16:17], v[29:30], v[27:28]
	s_delay_alu instid0(VALU_DEP_1) | instskip(SKIP_1) | instid1(VALU_DEP_1)
	v_div_fmas_f64 v[16:17], v[16:17], v[20:21], v[29:30]
	s_and_not1_b32 vcc_lo, exec_lo, s1
	v_div_fixup_f64 v[16:17], v[16:17], v[22:23], v[2:3]
	s_cbranch_vccnz .LBB49_61
; %bb.53:                               ;   in Loop: Header=BB49_49 Depth=1
	s_delay_alu instid0(VALU_DEP_1)
	v_fma_f64 v[2:3], s[6:7], v[16:17], v[18:19]
	s_cbranch_execnz .LBB49_55
.LBB49_54:                              ;   in Loop: Header=BB49_49 Depth=1
	s_delay_alu instid0(VALU_DEP_1)
	v_add_f64 v[2:3], v[18:19], v[16:17]
.LBB49_55:                              ;   in Loop: Header=BB49_49 Depth=1
	v_div_scale_f64 v[16:17], null, v[12:13], v[12:13], v[8:9]
	s_delay_alu instid0(VALU_DEP_1) | instskip(SKIP_2) | instid1(VALU_DEP_1)
	v_rcp_f64_e32 v[18:19], v[16:17]
	s_waitcnt_depctr 0xfff
	v_fma_f64 v[20:21], -v[16:17], v[18:19], 1.0
	v_fma_f64 v[18:19], v[18:19], v[20:21], v[18:19]
	s_delay_alu instid0(VALU_DEP_1) | instskip(NEXT) | instid1(VALU_DEP_1)
	v_fma_f64 v[20:21], -v[16:17], v[18:19], 1.0
	v_fma_f64 v[18:19], v[18:19], v[20:21], v[18:19]
	v_div_scale_f64 v[20:21], vcc_lo, v[8:9], v[12:13], v[8:9]
	s_delay_alu instid0(VALU_DEP_1) | instskip(NEXT) | instid1(VALU_DEP_1)
	v_mul_f64 v[22:23], v[20:21], v[18:19]
	v_fma_f64 v[16:17], -v[16:17], v[22:23], v[20:21]
	s_delay_alu instid0(VALU_DEP_1) | instskip(SKIP_1) | instid1(VALU_DEP_1)
	v_div_fmas_f64 v[16:17], v[16:17], v[18:19], v[22:23]
	s_and_not1_b32 vcc_lo, exec_lo, s1
	v_div_fixup_f64 v[12:13], v[16:17], v[12:13], v[8:9]
	s_cbranch_vccnz .LBB49_62
; %bb.56:                               ;   in Loop: Header=BB49_49 Depth=1
	s_delay_alu instid0(VALU_DEP_1)
	v_fma_f64 v[8:9], s[6:7], v[12:13], v[4:5]
	s_cbranch_execnz .LBB49_58
.LBB49_57:                              ;   in Loop: Header=BB49_49 Depth=1
	s_delay_alu instid0(VALU_DEP_1)
	v_add_f64 v[8:9], v[4:5], v[12:13]
.LBB49_58:                              ;   in Loop: Header=BB49_49 Depth=1
	v_div_scale_f64 v[4:5], null, v[14:15], v[14:15], v[10:11]
	s_delay_alu instid0(VALU_DEP_1) | instskip(SKIP_2) | instid1(VALU_DEP_1)
	v_rcp_f64_e32 v[12:13], v[4:5]
	s_waitcnt_depctr 0xfff
	v_fma_f64 v[16:17], -v[4:5], v[12:13], 1.0
	v_fma_f64 v[12:13], v[12:13], v[16:17], v[12:13]
	s_delay_alu instid0(VALU_DEP_1) | instskip(NEXT) | instid1(VALU_DEP_1)
	v_fma_f64 v[16:17], -v[4:5], v[12:13], 1.0
	v_fma_f64 v[12:13], v[12:13], v[16:17], v[12:13]
	v_div_scale_f64 v[16:17], vcc_lo, v[10:11], v[14:15], v[10:11]
	s_delay_alu instid0(VALU_DEP_1) | instskip(NEXT) | instid1(VALU_DEP_1)
	v_mul_f64 v[18:19], v[16:17], v[12:13]
	v_fma_f64 v[4:5], -v[4:5], v[18:19], v[16:17]
	s_delay_alu instid0(VALU_DEP_1) | instskip(SKIP_1) | instid1(VALU_DEP_1)
	v_div_fmas_f64 v[4:5], v[4:5], v[12:13], v[18:19]
	s_and_not1_b32 vcc_lo, exec_lo, s1
	v_div_fixup_f64 v[4:5], v[4:5], v[14:15], v[10:11]
	s_cbranch_vccnz .LBB49_63
; %bb.59:                               ;   in Loop: Header=BB49_49 Depth=1
	s_delay_alu instid0(VALU_DEP_1)
	v_fma_f64 v[10:11], s[6:7], v[4:5], v[6:7]
	s_cbranch_execnz .LBB49_48
	s_branch .LBB49_64
.LBB49_60:                              ;   in Loop: Header=BB49_49 Depth=1
                                        ; implicit-def: $vgpr0_vgpr1
	s_branch .LBB49_51
.LBB49_61:                              ;   in Loop: Header=BB49_49 Depth=1
	s_branch .LBB49_54
.LBB49_62:                              ;   in Loop: Header=BB49_49 Depth=1
                                        ; implicit-def: $vgpr8_vgpr9
	s_branch .LBB49_57
.LBB49_63:                              ;   in Loop: Header=BB49_49 Depth=1
.LBB49_64:                              ;   in Loop: Header=BB49_49 Depth=1
	s_delay_alu instid0(VALU_DEP_1)
	v_add_f64 v[10:11], v[6:7], v[4:5]
	s_branch .LBB49_48
.LBB49_65:
	s_nop 0
	s_sendmsg sendmsg(MSG_DEALLOC_VGPRS)
	s_endpgm
	.section	.rodata,"a",@progbits
	.p2align	6, 0x0
	.amdhsa_kernel _ZN2at6native12_GLOBAL__N_125multi_tensor_apply_kernelINS1_18TensorListMetadataILi4EEENS1_24PointwiseOpScalarFunctorIdLi4ELi3ELi3EEEJSt7dividesIdEdEEEvT_T0_DpT1_
		.amdhsa_group_segment_fixed_size 0
		.amdhsa_private_segment_fixed_size 0
		.amdhsa_kernarg_size 3320
		.amdhsa_user_sgpr_count 15
		.amdhsa_user_sgpr_dispatch_ptr 0
		.amdhsa_user_sgpr_queue_ptr 0
		.amdhsa_user_sgpr_kernarg_segment_ptr 1
		.amdhsa_user_sgpr_dispatch_id 0
		.amdhsa_user_sgpr_private_segment_size 0
		.amdhsa_wavefront_size32 1
		.amdhsa_uses_dynamic_stack 0
		.amdhsa_enable_private_segment 0
		.amdhsa_system_sgpr_workgroup_id_x 1
		.amdhsa_system_sgpr_workgroup_id_y 0
		.amdhsa_system_sgpr_workgroup_id_z 0
		.amdhsa_system_sgpr_workgroup_info 0
		.amdhsa_system_vgpr_workitem_id 0
		.amdhsa_next_free_vgpr 71
		.amdhsa_next_free_sgpr 31
		.amdhsa_reserve_vcc 1
		.amdhsa_float_round_mode_32 0
		.amdhsa_float_round_mode_16_64 0
		.amdhsa_float_denorm_mode_32 3
		.amdhsa_float_denorm_mode_16_64 3
		.amdhsa_dx10_clamp 1
		.amdhsa_ieee_mode 1
		.amdhsa_fp16_overflow 0
		.amdhsa_workgroup_processor_mode 1
		.amdhsa_memory_ordered 1
		.amdhsa_forward_progress 0
		.amdhsa_shared_vgpr_count 0
		.amdhsa_exception_fp_ieee_invalid_op 0
		.amdhsa_exception_fp_denorm_src 0
		.amdhsa_exception_fp_ieee_div_zero 0
		.amdhsa_exception_fp_ieee_overflow 0
		.amdhsa_exception_fp_ieee_underflow 0
		.amdhsa_exception_fp_ieee_inexact 0
		.amdhsa_exception_int_div_zero 0
	.end_amdhsa_kernel
	.section	.text._ZN2at6native12_GLOBAL__N_125multi_tensor_apply_kernelINS1_18TensorListMetadataILi4EEENS1_24PointwiseOpScalarFunctorIdLi4ELi3ELi3EEEJSt7dividesIdEdEEEvT_T0_DpT1_,"axG",@progbits,_ZN2at6native12_GLOBAL__N_125multi_tensor_apply_kernelINS1_18TensorListMetadataILi4EEENS1_24PointwiseOpScalarFunctorIdLi4ELi3ELi3EEEJSt7dividesIdEdEEEvT_T0_DpT1_,comdat
.Lfunc_end49:
	.size	_ZN2at6native12_GLOBAL__N_125multi_tensor_apply_kernelINS1_18TensorListMetadataILi4EEENS1_24PointwiseOpScalarFunctorIdLi4ELi3ELi3EEEJSt7dividesIdEdEEEvT_T0_DpT1_, .Lfunc_end49-_ZN2at6native12_GLOBAL__N_125multi_tensor_apply_kernelINS1_18TensorListMetadataILi4EEENS1_24PointwiseOpScalarFunctorIdLi4ELi3ELi3EEEJSt7dividesIdEdEEEvT_T0_DpT1_
                                        ; -- End function
	.section	.AMDGPU.csdata,"",@progbits
; Kernel info:
; codeLenInByte = 3188
; NumSgprs: 33
; NumVgprs: 71
; ScratchSize: 0
; MemoryBound: 1
; FloatMode: 240
; IeeeMode: 1
; LDSByteSize: 0 bytes/workgroup (compile time only)
; SGPRBlocks: 4
; VGPRBlocks: 8
; NumSGPRsForWavesPerEU: 33
; NumVGPRsForWavesPerEU: 71
; Occupancy: 16
; WaveLimiterHint : 0
; COMPUTE_PGM_RSRC2:SCRATCH_EN: 0
; COMPUTE_PGM_RSRC2:USER_SGPR: 15
; COMPUTE_PGM_RSRC2:TRAP_HANDLER: 0
; COMPUTE_PGM_RSRC2:TGID_X_EN: 1
; COMPUTE_PGM_RSRC2:TGID_Y_EN: 0
; COMPUTE_PGM_RSRC2:TGID_Z_EN: 0
; COMPUTE_PGM_RSRC2:TIDIG_COMP_CNT: 0
	.section	.text._ZN2at6native12_GLOBAL__N_125multi_tensor_apply_kernelINS1_18TensorListMetadataILi4EEENS1_24PointwiseOpScalarFunctorIfLi4ELi3ELi3EEEJSt7dividesIfEfEEEvT_T0_DpT1_,"axG",@progbits,_ZN2at6native12_GLOBAL__N_125multi_tensor_apply_kernelINS1_18TensorListMetadataILi4EEENS1_24PointwiseOpScalarFunctorIfLi4ELi3ELi3EEEJSt7dividesIfEfEEEvT_T0_DpT1_,comdat
	.globl	_ZN2at6native12_GLOBAL__N_125multi_tensor_apply_kernelINS1_18TensorListMetadataILi4EEENS1_24PointwiseOpScalarFunctorIfLi4ELi3ELi3EEEJSt7dividesIfEfEEEvT_T0_DpT1_ ; -- Begin function _ZN2at6native12_GLOBAL__N_125multi_tensor_apply_kernelINS1_18TensorListMetadataILi4EEENS1_24PointwiseOpScalarFunctorIfLi4ELi3ELi3EEEJSt7dividesIfEfEEEvT_T0_DpT1_
	.p2align	8
	.type	_ZN2at6native12_GLOBAL__N_125multi_tensor_apply_kernelINS1_18TensorListMetadataILi4EEENS1_24PointwiseOpScalarFunctorIfLi4ELi3ELi3EEEJSt7dividesIfEfEEEvT_T0_DpT1_,@function
_ZN2at6native12_GLOBAL__N_125multi_tensor_apply_kernelINS1_18TensorListMetadataILi4EEENS1_24PointwiseOpScalarFunctorIfLi4ELi3ELi3EEEJSt7dividesIfEfEEEvT_T0_DpT1_: ; @_ZN2at6native12_GLOBAL__N_125multi_tensor_apply_kernelINS1_18TensorListMetadataILi4EEENS1_24PointwiseOpScalarFunctorIfLi4ELi3ELi3EEEJSt7dividesIfEfEEEvT_T0_DpT1_
; %bb.0:
	v_mov_b32_e32 v1, s15
	s_add_u32 s2, s0, s15
	s_mul_hi_u32 s3, s15, 3
	s_mul_i32 s15, s15, 3
	s_addc_u32 s4, s1, 0
	global_load_u8 v1, v1, s[0:1] offset:1440
	s_load_b32 s26, s[0:1], 0xbec
	s_add_u32 s2, s2, s15
	s_addc_u32 s3, s4, s3
	s_mov_b32 s13, 0
	s_load_b32 s2, s[2:3], 0x6e0
	s_mov_b32 s9, s13
	s_waitcnt vmcnt(0)
	v_readfirstlane_b32 s3, v1
	s_delay_alu instid0(VALU_DEP_1)
	s_lshl_b32 s8, s3, 3
	s_waitcnt lgkmcnt(0)
	s_ashr_i32 s3, s2, 31
	s_clause 0x3
	s_load_b64 s[4:5], s[0:1], s8 offset:0x0
	s_load_b64 s[6:7], s[0:1], s8 offset:0x120
	;; [unrolled: 1-line block ×4, first 2 shown]
	s_lshl_b64 s[10:11], s[2:3], 18
	s_load_b64 s[28:29], s[0:1], s8 offset:0x480
	s_waitcnt lgkmcnt(0)
	s_add_u32 s18, s4, s10
	s_addc_u32 s19, s5, s11
	s_and_b32 s12, s18, 15
	s_add_u32 s20, s6, s10
	s_addc_u32 s21, s7, s11
	s_and_b32 s8, s20, 15
	s_delay_alu instid0(SALU_CYCLE_1)
	s_cmp_eq_u64 s[8:9], 0
	s_cselect_b32 s8, -1, 0
	s_add_u32 s22, s14, s10
	s_addc_u32 s23, s15, s11
	s_add_u32 s24, s16, s10
	s_addc_u32 s25, s17, s11
	s_or_b32 s9, s24, s22
	s_delay_alu instid0(SALU_CYCLE_1) | instskip(NEXT) | instid1(SALU_CYCLE_1)
	s_and_b32 s9, s9, 15
	s_cmp_eq_u32 s9, 0
	s_cselect_b32 s9, -1, 0
	s_lshl_b64 s[2:3], s[2:3], 16
	s_and_b32 s27, s9, s8
	s_sub_u32 s8, s28, s2
	s_subb_u32 s9, s29, s3
	s_and_b32 s2, s28, 3
	s_mov_b32 s3, s13
	s_delay_alu instid0(SALU_CYCLE_1) | instskip(NEXT) | instid1(SALU_CYCLE_1)
	s_or_b64 s[2:3], s[12:13], s[2:3]
	s_cmp_eq_u64 s[2:3], 0
	s_cselect_b32 s2, -1, 0
	s_delay_alu instid0(SALU_CYCLE_1) | instskip(NEXT) | instid1(SALU_CYCLE_1)
	s_and_b32 s2, s27, s2
	s_and_b32 vcc_lo, exec_lo, s2
	s_mov_b32 s2, -1
	s_cbranch_vccnz .LBB50_29
; %bb.1:
	v_cmp_lt_i64_e64 s2, s[8:9], 1
	s_delay_alu instid0(VALU_DEP_1)
	s_and_b32 vcc_lo, exec_lo, s2
	s_cbranch_vccnz .LBB50_28
; %bb.2:
	s_load_b32 s3, s[0:1], 0xbfc
	v_dual_mov_b32 v18, 0 :: v_dual_lshlrev_b32 v17, 2, v0
	v_cmp_gt_u64_e64 s12, 0x10000, s[8:9]
	v_cmp_eq_f32_e64 s2, s26, 1.0
	s_delay_alu instid0(VALU_DEP_3) | instskip(NEXT) | instid1(VALU_DEP_1)
	v_add_co_u32 v1, s13, s4, v17
	v_add_co_ci_u32_e64 v2, null, s5, 0, s13
	v_add_co_u32 v3, s13, s6, v17
	s_delay_alu instid0(VALU_DEP_1) | instskip(SKIP_1) | instid1(VALU_DEP_1)
	v_add_co_ci_u32_e64 v4, null, s7, 0, s13
	v_add_co_u32 v5, s13, s14, v17
	v_add_co_ci_u32_e64 v6, null, s15, 0, s13
	v_add_co_u32 v7, s13, s16, v17
	s_waitcnt lgkmcnt(0)
	s_and_b32 s3, s3, 0xffff
	s_and_b32 s12, s12, exec_lo
	v_mad_u64_u32 v[15:16], null, s3, 12, v[17:18]
	v_add_co_ci_u32_e64 v8, null, s17, 0, s13
	s_cselect_b32 s13, s9, 0
	s_cselect_b32 s12, s8, 0x10000
	s_mul_i32 s28, s3, 3
	s_lshl_b32 s29, s3, 3
	s_delay_alu instid0(VALU_DEP_2) | instskip(NEXT) | instid1(VALU_DEP_3)
	v_add_co_u32 v9, vcc_lo, s4, v15
	v_add_co_ci_u32_e32 v10, vcc_lo, s5, v16, vcc_lo
	v_add_co_u32 v11, vcc_lo, s6, v15
	v_add_co_u32 v26, s29, s29, v17
	v_add_co_u32 v17, s28, s28, v0
	v_add_co_ci_u32_e32 v12, vcc_lo, s7, v16, vcc_lo
	v_add_co_ci_u32_e64 v18, null, 0, 0, s28
	v_add_co_u32 v25, s28, v0, s3
	v_add_co_u32 v13, vcc_lo, s14, v15
	v_add_co_ci_u32_e32 v14, vcc_lo, s15, v16, vcc_lo
	v_add_co_u32 v15, vcc_lo, s16, v15
	v_add_co_ci_u32_e64 v27, null, 0, 0, s29
	v_lshlrev_b32_e32 v37, 2, v25
	v_add_co_ci_u32_e32 v16, vcc_lo, s17, v16, vcc_lo
	v_add_co_u32 v19, vcc_lo, s4, v26
	s_delay_alu instid0(VALU_DEP_4)
	v_add_co_ci_u32_e32 v20, vcc_lo, s5, v27, vcc_lo
	v_add_co_u32 v21, vcc_lo, s6, v26
	v_add_co_u32 v31, s4, s4, v37
	v_add_co_ci_u32_e32 v22, vcc_lo, s7, v27, vcc_lo
	v_add_co_ci_u32_e64 v32, null, s5, 0, s4
	v_add_co_u32 v33, s4, s6, v37
	v_add_co_u32 v23, vcc_lo, s14, v26
	s_lshl_b32 s27, s3, 1
	v_add_co_ci_u32_e64 v34, null, s7, 0, s4
	v_add_co_u32 v35, s4, s14, v37
	v_add_co_ci_u32_e32 v24, vcc_lo, s15, v27, vcc_lo
	v_add_co_u32 v26, vcc_lo, s16, v26
	v_add_co_u32 v29, s27, s27, v0
	v_add_co_ci_u32_e64 v36, null, s15, 0, s4
	v_add_co_u32 v37, s4, s16, v37
	v_add_co_ci_u32_e32 v27, vcc_lo, s17, v27, vcc_lo
	v_add_co_ci_u32_e64 v28, null, 0, 0, s28
	v_add_co_ci_u32_e64 v30, null, 0, 0, s27
	v_add_co_ci_u32_e64 v38, null, s17, 0, s4
	s_lshl_b32 s7, s3, 2
	s_lshl_b32 s16, s3, 4
	s_mov_b64 s[14:15], 0
	s_branch .LBB50_4
.LBB50_3:                               ;   in Loop: Header=BB50_4 Depth=1
	s_or_b32 exec_lo, exec_lo, s3
	v_add_co_u32 v1, vcc_lo, v1, s16
	v_add_co_ci_u32_e32 v2, vcc_lo, 0, v2, vcc_lo
	v_add_co_u32 v3, vcc_lo, v3, s16
	v_add_co_ci_u32_e32 v4, vcc_lo, 0, v4, vcc_lo
	;; [unrolled: 2-line block ×13, first 2 shown]
	s_add_u32 s14, s14, s7
	v_add_co_u32 v33, vcc_lo, v33, s16
	s_addc_u32 s15, s15, 0
	v_add_co_ci_u32_e32 v34, vcc_lo, 0, v34, vcc_lo
	v_cmp_lt_i64_e64 s3, s[14:15], s[8:9]
	v_cmp_gt_u64_e64 s4, 0x10000, s[14:15]
	v_add_co_u32 v35, vcc_lo, v35, s16
	v_add_co_ci_u32_e32 v36, vcc_lo, 0, v36, vcc_lo
	v_add_co_u32 v37, vcc_lo, v37, s16
	v_add_co_ci_u32_e32 v38, vcc_lo, 0, v38, vcc_lo
	s_and_b32 s3, s3, s4
	s_delay_alu instid0(SALU_CYCLE_1)
	s_and_b32 vcc_lo, exec_lo, s3
	s_cbranch_vccz .LBB50_28
.LBB50_4:                               ; =>This Inner Loop Header: Depth=1
	s_waitcnt vmcnt(1)
	v_add_co_u32 v39, s3, v0, s14
	s_delay_alu instid0(VALU_DEP_1) | instskip(SKIP_2) | instid1(VALU_DEP_2)
	v_add_co_ci_u32_e64 v40, null, 0, s15, s3
	s_waitcnt vmcnt(0)
	v_mov_b32_e32 v41, 0
	v_cmp_gt_u64_e32 vcc_lo, s[12:13], v[39:40]
	v_mov_b32_e32 v40, 0
	s_and_saveexec_b32 s4, vcc_lo
	s_cbranch_execz .LBB50_6
; %bb.5:                                ;   in Loop: Header=BB50_4 Depth=1
	v_add_co_u32 v39, s3, v1, s10
	s_delay_alu instid0(VALU_DEP_1) | instskip(SKIP_1) | instid1(VALU_DEP_1)
	v_add_co_ci_u32_e64 v40, s3, s11, v2, s3
	v_add_co_u32 v41, s3, v3, s10
	v_add_co_ci_u32_e64 v42, s3, s11, v4, s3
	global_load_b32 v40, v[39:40], off
	global_load_b32 v41, v[41:42], off
.LBB50_6:                               ;   in Loop: Header=BB50_4 Depth=1
	s_or_b32 exec_lo, exec_lo, s4
	v_mov_b32_e32 v39, 0
	v_mov_b32_e32 v45, 0
	s_and_saveexec_b32 s4, vcc_lo
	s_cbranch_execz .LBB50_8
; %bb.7:                                ;   in Loop: Header=BB50_4 Depth=1
	v_add_co_u32 v42, s3, v5, s10
	s_delay_alu instid0(VALU_DEP_1)
	v_add_co_ci_u32_e64 v43, s3, s11, v6, s3
	global_load_b32 v45, v[42:43], off
.LBB50_8:                               ;   in Loop: Header=BB50_4 Depth=1
	s_or_b32 exec_lo, exec_lo, s4
	v_add_co_u32 v42, s3, v25, s14
	s_delay_alu instid0(VALU_DEP_1) | instskip(NEXT) | instid1(VALU_DEP_1)
	v_add_co_ci_u32_e64 v43, s3, s15, v28, s3
	v_cmp_gt_u64_e64 s3, s[12:13], v[42:43]
	v_mov_b32_e32 v43, 0
	s_delay_alu instid0(VALU_DEP_2)
	s_and_saveexec_b32 s5, s3
	s_cbranch_execz .LBB50_10
; %bb.9:                                ;   in Loop: Header=BB50_4 Depth=1
	v_add_co_u32 v42, s4, v31, s10
	s_delay_alu instid0(VALU_DEP_1) | instskip(SKIP_1) | instid1(VALU_DEP_1)
	v_add_co_ci_u32_e64 v43, s4, s11, v32, s4
	v_add_co_u32 v46, s4, v33, s10
	v_add_co_ci_u32_e64 v47, s4, s11, v34, s4
	global_load_b32 v39, v[42:43], off
	global_load_b32 v43, v[46:47], off
.LBB50_10:                              ;   in Loop: Header=BB50_4 Depth=1
	s_or_b32 exec_lo, exec_lo, s5
	v_dual_mov_b32 v42, 0 :: v_dual_mov_b32 v47, 0
	s_and_saveexec_b32 s5, s3
	s_cbranch_execz .LBB50_12
; %bb.11:                               ;   in Loop: Header=BB50_4 Depth=1
	v_add_co_u32 v46, s4, v35, s10
	s_delay_alu instid0(VALU_DEP_1)
	v_add_co_ci_u32_e64 v47, s4, s11, v36, s4
	global_load_b32 v47, v[46:47], off
.LBB50_12:                              ;   in Loop: Header=BB50_4 Depth=1
	s_or_b32 exec_lo, exec_lo, s5
	v_add_co_u32 v48, s4, v29, s14
	s_delay_alu instid0(VALU_DEP_1) | instskip(SKIP_1) | instid1(VALU_DEP_2)
	v_add_co_ci_u32_e64 v49, s4, s15, v30, s4
	v_mov_b32_e32 v46, 0
	v_cmp_gt_u64_e64 s4, s[12:13], v[48:49]
	s_delay_alu instid0(VALU_DEP_1)
	s_and_saveexec_b32 s6, s4
	s_cbranch_execz .LBB50_14
; %bb.13:                               ;   in Loop: Header=BB50_4 Depth=1
	v_add_co_u32 v48, s5, v19, s10
	s_delay_alu instid0(VALU_DEP_1) | instskip(SKIP_1) | instid1(VALU_DEP_1)
	v_add_co_ci_u32_e64 v49, s5, s11, v20, s5
	v_add_co_u32 v50, s5, v21, s10
	v_add_co_ci_u32_e64 v51, s5, s11, v22, s5
	global_load_b32 v42, v[48:49], off
	global_load_b32 v46, v[50:51], off
.LBB50_14:                              ;   in Loop: Header=BB50_4 Depth=1
	s_or_b32 exec_lo, exec_lo, s6
	v_dual_mov_b32 v44, 0 :: v_dual_mov_b32 v49, 0
	s_and_saveexec_b32 s6, s4
	s_cbranch_execz .LBB50_16
; %bb.15:                               ;   in Loop: Header=BB50_4 Depth=1
	v_add_co_u32 v48, s5, v23, s10
	s_delay_alu instid0(VALU_DEP_1)
	v_add_co_ci_u32_e64 v49, s5, s11, v24, s5
	global_load_b32 v49, v[48:49], off
.LBB50_16:                              ;   in Loop: Header=BB50_4 Depth=1
	s_or_b32 exec_lo, exec_lo, s6
	v_add_co_u32 v50, s5, v17, s14
	s_delay_alu instid0(VALU_DEP_1) | instskip(SKIP_1) | instid1(VALU_DEP_2)
	v_add_co_ci_u32_e64 v51, s5, s15, v18, s5
	v_mov_b32_e32 v48, 0
	v_cmp_gt_u64_e64 s5, s[12:13], v[50:51]
	s_delay_alu instid0(VALU_DEP_1)
	s_and_saveexec_b32 s17, s5
	s_cbranch_execnz .LBB50_22
; %bb.17:                               ;   in Loop: Header=BB50_4 Depth=1
	s_or_b32 exec_lo, exec_lo, s17
	v_mov_b32_e32 v50, 0
	s_and_saveexec_b32 s17, s5
	s_cbranch_execnz .LBB50_23
.LBB50_18:                              ;   in Loop: Header=BB50_4 Depth=1
	s_or_b32 exec_lo, exec_lo, s17
	s_and_saveexec_b32 s6, vcc_lo
	s_cbranch_execnz .LBB50_24
.LBB50_19:                              ;   in Loop: Header=BB50_4 Depth=1
	s_or_b32 exec_lo, exec_lo, s6
	s_and_saveexec_b32 s6, s3
	s_cbranch_execnz .LBB50_25
.LBB50_20:                              ;   in Loop: Header=BB50_4 Depth=1
	s_or_b32 exec_lo, exec_lo, s6
	s_and_saveexec_b32 s3, s4
	s_cbranch_execnz .LBB50_26
.LBB50_21:                              ;   in Loop: Header=BB50_4 Depth=1
	s_or_b32 exec_lo, exec_lo, s3
	s_and_saveexec_b32 s3, s5
	s_cbranch_execz .LBB50_3
	s_branch .LBB50_27
.LBB50_22:                              ;   in Loop: Header=BB50_4 Depth=1
	v_add_co_u32 v50, s6, v9, s10
	s_delay_alu instid0(VALU_DEP_1) | instskip(SKIP_1) | instid1(VALU_DEP_1)
	v_add_co_ci_u32_e64 v51, s6, s11, v10, s6
	v_add_co_u32 v52, s6, v11, s10
	v_add_co_ci_u32_e64 v53, s6, s11, v12, s6
	global_load_b32 v44, v[50:51], off
	global_load_b32 v48, v[52:53], off
	s_or_b32 exec_lo, exec_lo, s17
	v_mov_b32_e32 v50, 0
	s_and_saveexec_b32 s17, s5
	s_cbranch_execz .LBB50_18
.LBB50_23:                              ;   in Loop: Header=BB50_4 Depth=1
	v_add_co_u32 v50, s6, v13, s10
	s_delay_alu instid0(VALU_DEP_1)
	v_add_co_ci_u32_e64 v51, s6, s11, v14, s6
	global_load_b32 v50, v[50:51], off
	s_or_b32 exec_lo, exec_lo, s17
	s_and_saveexec_b32 s6, vcc_lo
	s_cbranch_execz .LBB50_19
.LBB50_24:                              ;   in Loop: Header=BB50_4 Depth=1
	s_waitcnt vmcnt(0)
	v_div_scale_f32 v51, null, v45, v45, v41
	v_div_scale_f32 v54, vcc_lo, v41, v45, v41
	s_delay_alu instid0(VALU_DEP_2) | instskip(SKIP_2) | instid1(VALU_DEP_1)
	v_rcp_f32_e32 v52, v51
	s_waitcnt_depctr 0xfff
	v_fma_f32 v53, -v51, v52, 1.0
	v_fmac_f32_e32 v52, v53, v52
	s_delay_alu instid0(VALU_DEP_1) | instskip(NEXT) | instid1(VALU_DEP_1)
	v_mul_f32_e32 v53, v54, v52
	v_fma_f32 v55, -v51, v53, v54
	s_delay_alu instid0(VALU_DEP_1) | instskip(NEXT) | instid1(VALU_DEP_1)
	v_fmac_f32_e32 v53, v55, v52
	v_fma_f32 v51, -v51, v53, v54
	s_delay_alu instid0(VALU_DEP_1) | instskip(NEXT) | instid1(VALU_DEP_1)
	v_div_fmas_f32 v51, v51, v52, v53
	v_div_fixup_f32 v41, v51, v45, v41
	v_add_co_u32 v51, vcc_lo, v7, s10
	v_add_co_ci_u32_e32 v52, vcc_lo, s11, v8, vcc_lo
	s_delay_alu instid0(VALU_DEP_3) | instskip(SKIP_1) | instid1(VALU_DEP_1)
	v_add_f32_e32 v45, v40, v41
	v_fmac_f32_e32 v40, s26, v41
	v_cndmask_b32_e64 v40, v40, v45, s2
	global_store_b32 v[51:52], v40, off
	s_or_b32 exec_lo, exec_lo, s6
	s_and_saveexec_b32 s6, s3
	s_cbranch_execz .LBB50_20
.LBB50_25:                              ;   in Loop: Header=BB50_4 Depth=1
	s_waitcnt vmcnt(0)
	v_div_scale_f32 v40, null, v47, v47, v43
	v_div_scale_f32 v51, vcc_lo, v43, v47, v43
	s_delay_alu instid0(VALU_DEP_2) | instskip(SKIP_2) | instid1(VALU_DEP_1)
	v_rcp_f32_e32 v41, v40
	s_waitcnt_depctr 0xfff
	v_fma_f32 v45, -v40, v41, 1.0
	v_fmac_f32_e32 v41, v45, v41
	s_delay_alu instid0(VALU_DEP_1) | instskip(NEXT) | instid1(VALU_DEP_1)
	v_mul_f32_e32 v45, v51, v41
	v_fma_f32 v52, -v40, v45, v51
	s_delay_alu instid0(VALU_DEP_1) | instskip(NEXT) | instid1(VALU_DEP_1)
	v_fmac_f32_e32 v45, v52, v41
	v_fma_f32 v40, -v40, v45, v51
	s_delay_alu instid0(VALU_DEP_1) | instskip(NEXT) | instid1(VALU_DEP_1)
	v_div_fmas_f32 v40, v40, v41, v45
	v_div_fixup_f32 v40, v40, v47, v43
	s_delay_alu instid0(VALU_DEP_1) | instskip(SKIP_1) | instid1(VALU_DEP_1)
	v_add_f32_e32 v41, v39, v40
	v_fmac_f32_e32 v39, s26, v40
	v_cndmask_b32_e64 v41, v39, v41, s2
	v_add_co_u32 v39, vcc_lo, v37, s10
	v_add_co_ci_u32_e32 v40, vcc_lo, s11, v38, vcc_lo
	global_store_b32 v[39:40], v41, off
	s_or_b32 exec_lo, exec_lo, s6
	s_and_saveexec_b32 s3, s4
	s_cbranch_execz .LBB50_21
.LBB50_26:                              ;   in Loop: Header=BB50_4 Depth=1
	s_waitcnt vmcnt(0)
	v_div_scale_f32 v39, null, v49, v49, v46
	v_div_scale_f32 v43, vcc_lo, v46, v49, v46
	s_delay_alu instid0(VALU_DEP_2) | instskip(SKIP_2) | instid1(VALU_DEP_1)
	v_rcp_f32_e32 v40, v39
	s_waitcnt_depctr 0xfff
	v_fma_f32 v41, -v39, v40, 1.0
	v_fmac_f32_e32 v40, v41, v40
	s_delay_alu instid0(VALU_DEP_1) | instskip(NEXT) | instid1(VALU_DEP_1)
	v_mul_f32_e32 v41, v43, v40
	v_fma_f32 v45, -v39, v41, v43
	s_delay_alu instid0(VALU_DEP_1) | instskip(NEXT) | instid1(VALU_DEP_1)
	v_fmac_f32_e32 v41, v45, v40
	v_fma_f32 v39, -v39, v41, v43
	s_delay_alu instid0(VALU_DEP_1) | instskip(NEXT) | instid1(VALU_DEP_1)
	v_div_fmas_f32 v39, v39, v40, v41
	v_div_fixup_f32 v39, v39, v49, v46
	s_delay_alu instid0(VALU_DEP_1) | instskip(SKIP_2) | instid1(VALU_DEP_2)
	v_add_f32_e32 v40, v42, v39
	v_fmac_f32_e32 v42, s26, v39
	v_add_co_u32 v39, vcc_lo, v26, s10
	v_cndmask_b32_e64 v41, v42, v40, s2
	v_add_co_ci_u32_e32 v40, vcc_lo, s11, v27, vcc_lo
	global_store_b32 v[39:40], v41, off
	s_or_b32 exec_lo, exec_lo, s3
	s_and_saveexec_b32 s3, s5
	s_cbranch_execz .LBB50_3
.LBB50_27:                              ;   in Loop: Header=BB50_4 Depth=1
	s_waitcnt vmcnt(0)
	v_div_scale_f32 v39, null, v50, v50, v48
	v_div_scale_f32 v42, vcc_lo, v48, v50, v48
	s_delay_alu instid0(VALU_DEP_2) | instskip(SKIP_2) | instid1(VALU_DEP_1)
	v_rcp_f32_e32 v40, v39
	s_waitcnt_depctr 0xfff
	v_fma_f32 v41, -v39, v40, 1.0
	v_fmac_f32_e32 v40, v41, v40
	s_delay_alu instid0(VALU_DEP_1) | instskip(NEXT) | instid1(VALU_DEP_1)
	v_mul_f32_e32 v41, v42, v40
	v_fma_f32 v43, -v39, v41, v42
	s_delay_alu instid0(VALU_DEP_1) | instskip(NEXT) | instid1(VALU_DEP_1)
	v_fmac_f32_e32 v41, v43, v40
	v_fma_f32 v39, -v39, v41, v42
	s_delay_alu instid0(VALU_DEP_1) | instskip(NEXT) | instid1(VALU_DEP_1)
	v_div_fmas_f32 v39, v39, v40, v41
	v_div_fixup_f32 v39, v39, v50, v48
	s_delay_alu instid0(VALU_DEP_1) | instskip(SKIP_2) | instid1(VALU_DEP_2)
	v_add_f32_e32 v40, v44, v39
	v_fmac_f32_e32 v44, s26, v39
	v_add_co_u32 v39, vcc_lo, v15, s10
	v_cndmask_b32_e64 v41, v44, v40, s2
	v_add_co_ci_u32_e32 v40, vcc_lo, s11, v16, vcc_lo
	global_store_b32 v[39:40], v41, off
	s_branch .LBB50_3
.LBB50_28:
	s_mov_b32 s2, 0
.LBB50_29:
	s_delay_alu instid0(SALU_CYCLE_1)
	s_and_not1_b32 vcc_lo, exec_lo, s2
	s_cbranch_vccnz .LBB50_33
; %bb.30:
	v_dual_mov_b32 v2, 0 :: v_dual_lshlrev_b32 v1, 2, v0
	s_mov_b32 s4, 0
	s_mov_b32 s2, exec_lo
	s_delay_alu instid0(VALU_DEP_1)
	v_cmpx_gt_i64_e64 s[8:9], v[1:2]
	s_cbranch_execz .LBB50_33
; %bb.31:
	s_load_b32 s0, s[0:1], 0xbfc
	s_waitcnt lgkmcnt(0)
	s_and_b32 s1, s0, 0xffff
	v_cmp_eq_f32_e64 s0, s26, 1.0
	v_add_lshl_u32 v1, v0, s1, 2
	v_lshlrev_b32_e32 v0, 4, v0
	s_lshl_b32 s5, s1, 2
	s_lshl_b32 s6, s1, 4
.LBB50_32:                              ; =>This Inner Loop Header: Depth=1
	s_delay_alu instid0(VALU_DEP_1) | instskip(NEXT) | instid1(VALU_DEP_1)
	v_add_co_u32 v3, s1, s20, v0
	v_add_co_ci_u32_e64 v4, null, s21, 0, s1
	v_add_co_u32 v7, s1, s22, v0
	s_delay_alu instid0(VALU_DEP_1) | instskip(SKIP_3) | instid1(VALU_DEP_1)
	v_add_co_ci_u32_e64 v8, null, s23, 0, s1
	global_load_b128 v[3:6], v[3:4], off
	global_load_b128 v[7:10], v[7:8], off
	v_add_co_u32 v11, s1, s18, v0
	v_add_co_ci_u32_e64 v12, null, s19, 0, s1
	v_cmp_le_i64_e32 vcc_lo, s[8:9], v[1:2]
	v_cmp_lt_u64_e64 s1, 0xffff, v[1:2]
	v_add_co_u32 v15, s2, s24, v0
	global_load_b128 v[11:14], v[11:12], off
	v_add_co_ci_u32_e64 v16, null, s25, 0, s2
	s_or_b32 s7, vcc_lo, s1
	v_add_co_u32 v1, s2, v1, s5
	s_delay_alu instid0(VALU_DEP_1)
	v_add_co_ci_u32_e64 v2, s2, 0, v2, s2
	s_add_u32 s18, s18, s6
	s_addc_u32 s19, s19, 0
	s_add_u32 s24, s24, s6
	s_addc_u32 s25, s25, 0
	;; [unrolled: 2-line block ×4, first 2 shown]
	s_waitcnt vmcnt(1)
	v_div_scale_f32 v17, null, v7, v7, v3
	v_div_scale_f32 v19, null, v8, v8, v4
	;; [unrolled: 1-line block ×3, first 2 shown]
	s_delay_alu instid0(VALU_DEP_3) | instskip(SKIP_1) | instid1(VALU_DEP_3)
	v_rcp_f32_e32 v25, v17
	v_div_scale_f32 v23, null, v10, v10, v6
	v_rcp_f32_e32 v26, v19
	s_delay_alu instid0(VALU_DEP_2) | instskip(SKIP_1) | instid1(VALU_DEP_2)
	v_rcp_f32_e32 v27, v21
	v_div_scale_f32 v18, vcc_lo, v3, v7, v3
	v_rcp_f32_e32 v28, v23
	v_div_scale_f32 v20, s1, v4, v8, v4
	v_fma_f32 v29, -v17, v25, 1.0
	v_div_scale_f32 v22, s2, v5, v9, v5
	s_delay_alu instid0(TRANS32_DEP_3) | instskip(NEXT) | instid1(TRANS32_DEP_2)
	v_fma_f32 v30, -v19, v26, 1.0
	v_fma_f32 v31, -v21, v27, 1.0
	s_delay_alu instid0(VALU_DEP_4) | instskip(SKIP_1) | instid1(VALU_DEP_4)
	v_fmac_f32_e32 v25, v29, v25
	v_div_scale_f32 v24, s3, v6, v10, v6
	v_fmac_f32_e32 v26, v30, v26
	s_delay_alu instid0(TRANS32_DEP_1) | instskip(SKIP_1) | instid1(VALU_DEP_3)
	v_fma_f32 v32, -v23, v28, 1.0
	v_fmac_f32_e32 v27, v31, v27
	v_dual_mul_f32 v29, v18, v25 :: v_dual_mul_f32 v30, v20, v26
	s_delay_alu instid0(VALU_DEP_2) | instskip(NEXT) | instid1(VALU_DEP_2)
	v_dual_fmac_f32 v28, v32, v28 :: v_dual_mul_f32 v31, v22, v27
	v_fma_f32 v33, -v17, v29, v18
	s_delay_alu instid0(VALU_DEP_3) | instskip(NEXT) | instid1(VALU_DEP_3)
	v_fma_f32 v34, -v19, v30, v20
	v_mul_f32_e32 v32, v24, v28
	s_delay_alu instid0(VALU_DEP_4) | instskip(NEXT) | instid1(VALU_DEP_3)
	v_fma_f32 v35, -v21, v31, v22
	v_dual_fmac_f32 v29, v33, v25 :: v_dual_fmac_f32 v30, v34, v26
	s_delay_alu instid0(VALU_DEP_3) | instskip(NEXT) | instid1(VALU_DEP_3)
	v_fma_f32 v36, -v23, v32, v24
	v_fmac_f32_e32 v31, v35, v27
	s_delay_alu instid0(VALU_DEP_3) | instskip(NEXT) | instid1(VALU_DEP_4)
	v_fma_f32 v17, -v17, v29, v18
	v_fma_f32 v18, -v19, v30, v20
	s_delay_alu instid0(VALU_DEP_4) | instskip(NEXT) | instid1(VALU_DEP_4)
	v_fmac_f32_e32 v32, v36, v28
	v_fma_f32 v19, -v21, v31, v22
	s_delay_alu instid0(VALU_DEP_4)
	v_div_fmas_f32 v17, v17, v25, v29
	s_mov_b32 vcc_lo, s1
	s_and_b32 s1, exec_lo, s7
	v_fma_f32 v20, -v23, v32, v24
	v_div_fmas_f32 v18, v18, v26, v30
	s_mov_b32 vcc_lo, s2
	v_div_fixup_f32 v3, v17, v7, v3
	v_div_fmas_f32 v19, v19, v27, v31
	s_mov_b32 vcc_lo, s3
	v_div_fixup_f32 v4, v18, v8, v4
	v_div_fmas_f32 v7, v20, v28, v32
	s_waitcnt vmcnt(0)
	v_add_f32_e32 v8, v11, v3
	v_div_fixup_f32 v5, v19, v9, v5
	v_fma_f32 v3, s26, v3, v11
	s_or_b32 s4, s1, s4
	v_div_fixup_f32 v6, v7, v10, v6
	v_add_f32_e32 v7, v12, v4
	v_fma_f32 v4, s26, v4, v12
	v_add_f32_e32 v9, v13, v5
	v_fma_f32 v5, s26, v5, v13
	v_add_f32_e32 v10, v14, v6
	v_fmac_f32_e32 v14, s26, v6
	v_cndmask_b32_e64 v3, v3, v8, s0
	v_cndmask_b32_e64 v4, v4, v7, s0
	;; [unrolled: 1-line block ×3, first 2 shown]
	s_delay_alu instid0(VALU_DEP_4)
	v_cndmask_b32_e64 v6, v14, v10, s0
	global_store_b128 v[15:16], v[3:6], off
	s_and_not1_b32 exec_lo, exec_lo, s4
	s_cbranch_execnz .LBB50_32
.LBB50_33:
	s_nop 0
	s_sendmsg sendmsg(MSG_DEALLOC_VGPRS)
	s_endpgm
	.section	.rodata,"a",@progbits
	.p2align	6, 0x0
	.amdhsa_kernel _ZN2at6native12_GLOBAL__N_125multi_tensor_apply_kernelINS1_18TensorListMetadataILi4EEENS1_24PointwiseOpScalarFunctorIfLi4ELi3ELi3EEEJSt7dividesIfEfEEEvT_T0_DpT1_
		.amdhsa_group_segment_fixed_size 0
		.amdhsa_private_segment_fixed_size 0
		.amdhsa_kernarg_size 3312
		.amdhsa_user_sgpr_count 15
		.amdhsa_user_sgpr_dispatch_ptr 0
		.amdhsa_user_sgpr_queue_ptr 0
		.amdhsa_user_sgpr_kernarg_segment_ptr 1
		.amdhsa_user_sgpr_dispatch_id 0
		.amdhsa_user_sgpr_private_segment_size 0
		.amdhsa_wavefront_size32 1
		.amdhsa_uses_dynamic_stack 0
		.amdhsa_enable_private_segment 0
		.amdhsa_system_sgpr_workgroup_id_x 1
		.amdhsa_system_sgpr_workgroup_id_y 0
		.amdhsa_system_sgpr_workgroup_id_z 0
		.amdhsa_system_sgpr_workgroup_info 0
		.amdhsa_system_vgpr_workitem_id 0
		.amdhsa_next_free_vgpr 56
		.amdhsa_next_free_sgpr 30
		.amdhsa_reserve_vcc 1
		.amdhsa_float_round_mode_32 0
		.amdhsa_float_round_mode_16_64 0
		.amdhsa_float_denorm_mode_32 3
		.amdhsa_float_denorm_mode_16_64 3
		.amdhsa_dx10_clamp 1
		.amdhsa_ieee_mode 1
		.amdhsa_fp16_overflow 0
		.amdhsa_workgroup_processor_mode 1
		.amdhsa_memory_ordered 1
		.amdhsa_forward_progress 0
		.amdhsa_shared_vgpr_count 0
		.amdhsa_exception_fp_ieee_invalid_op 0
		.amdhsa_exception_fp_denorm_src 0
		.amdhsa_exception_fp_ieee_div_zero 0
		.amdhsa_exception_fp_ieee_overflow 0
		.amdhsa_exception_fp_ieee_underflow 0
		.amdhsa_exception_fp_ieee_inexact 0
		.amdhsa_exception_int_div_zero 0
	.end_amdhsa_kernel
	.section	.text._ZN2at6native12_GLOBAL__N_125multi_tensor_apply_kernelINS1_18TensorListMetadataILi4EEENS1_24PointwiseOpScalarFunctorIfLi4ELi3ELi3EEEJSt7dividesIfEfEEEvT_T0_DpT1_,"axG",@progbits,_ZN2at6native12_GLOBAL__N_125multi_tensor_apply_kernelINS1_18TensorListMetadataILi4EEENS1_24PointwiseOpScalarFunctorIfLi4ELi3ELi3EEEJSt7dividesIfEfEEEvT_T0_DpT1_,comdat
.Lfunc_end50:
	.size	_ZN2at6native12_GLOBAL__N_125multi_tensor_apply_kernelINS1_18TensorListMetadataILi4EEENS1_24PointwiseOpScalarFunctorIfLi4ELi3ELi3EEEJSt7dividesIfEfEEEvT_T0_DpT1_, .Lfunc_end50-_ZN2at6native12_GLOBAL__N_125multi_tensor_apply_kernelINS1_18TensorListMetadataILi4EEENS1_24PointwiseOpScalarFunctorIfLi4ELi3ELi3EEEJSt7dividesIfEfEEEvT_T0_DpT1_
                                        ; -- End function
	.section	.AMDGPU.csdata,"",@progbits
; Kernel info:
; codeLenInByte = 2924
; NumSgprs: 32
; NumVgprs: 56
; ScratchSize: 0
; MemoryBound: 0
; FloatMode: 240
; IeeeMode: 1
; LDSByteSize: 0 bytes/workgroup (compile time only)
; SGPRBlocks: 3
; VGPRBlocks: 6
; NumSGPRsForWavesPerEU: 32
; NumVGPRsForWavesPerEU: 56
; Occupancy: 16
; WaveLimiterHint : 0
; COMPUTE_PGM_RSRC2:SCRATCH_EN: 0
; COMPUTE_PGM_RSRC2:USER_SGPR: 15
; COMPUTE_PGM_RSRC2:TRAP_HANDLER: 0
; COMPUTE_PGM_RSRC2:TGID_X_EN: 1
; COMPUTE_PGM_RSRC2:TGID_Y_EN: 0
; COMPUTE_PGM_RSRC2:TGID_Z_EN: 0
; COMPUTE_PGM_RSRC2:TIDIG_COMP_CNT: 0
	.section	.text._ZN2at6native12_GLOBAL__N_125multi_tensor_apply_kernelINS1_18TensorListMetadataILi4EEENS1_24PointwiseOpScalarFunctorIN3c107complexIdEELi4ELi3ELi3EEEJSt7dividesIS8_ES8_EEEvT_T0_DpT1_,"axG",@progbits,_ZN2at6native12_GLOBAL__N_125multi_tensor_apply_kernelINS1_18TensorListMetadataILi4EEENS1_24PointwiseOpScalarFunctorIN3c107complexIdEELi4ELi3ELi3EEEJSt7dividesIS8_ES8_EEEvT_T0_DpT1_,comdat
	.globl	_ZN2at6native12_GLOBAL__N_125multi_tensor_apply_kernelINS1_18TensorListMetadataILi4EEENS1_24PointwiseOpScalarFunctorIN3c107complexIdEELi4ELi3ELi3EEEJSt7dividesIS8_ES8_EEEvT_T0_DpT1_ ; -- Begin function _ZN2at6native12_GLOBAL__N_125multi_tensor_apply_kernelINS1_18TensorListMetadataILi4EEENS1_24PointwiseOpScalarFunctorIN3c107complexIdEELi4ELi3ELi3EEEJSt7dividesIS8_ES8_EEEvT_T0_DpT1_
	.p2align	8
	.type	_ZN2at6native12_GLOBAL__N_125multi_tensor_apply_kernelINS1_18TensorListMetadataILi4EEENS1_24PointwiseOpScalarFunctorIN3c107complexIdEELi4ELi3ELi3EEEJSt7dividesIS8_ES8_EEEvT_T0_DpT1_,@function
_ZN2at6native12_GLOBAL__N_125multi_tensor_apply_kernelINS1_18TensorListMetadataILi4EEENS1_24PointwiseOpScalarFunctorIN3c107complexIdEELi4ELi3ELi3EEEJSt7dividesIS8_ES8_EEEvT_T0_DpT1_: ; @_ZN2at6native12_GLOBAL__N_125multi_tensor_apply_kernelINS1_18TensorListMetadataILi4EEENS1_24PointwiseOpScalarFunctorIN3c107complexIdEELi4ELi3ELi3EEEJSt7dividesIS8_ES8_EEEvT_T0_DpT1_
; %bb.0:
	v_mov_b32_e32 v1, s15
	s_add_u32 s2, s0, s15
	s_mul_hi_u32 s3, s15, 3
	s_mul_i32 s15, s15, 3
	s_addc_u32 s4, s1, 0
	global_load_u8 v1, v1, s[0:1] offset:1440
	s_add_u32 s2, s2, s15
	s_addc_u32 s3, s4, s3
	s_load_b32 s12, s[2:3], 0x6e0
	s_waitcnt lgkmcnt(0)
	s_ashr_i32 s13, s12, 31
	s_delay_alu instid0(SALU_CYCLE_1) | instskip(SKIP_2) | instid1(VALU_DEP_1)
	s_lshl_b64 s[14:15], s[12:13], 20
	s_waitcnt vmcnt(0)
	v_readfirstlane_b32 s2, v1
	s_lshl_b32 s8, s2, 3
	s_clause 0x4
	s_load_b64 s[2:3], s[0:1], s8 offset:0x0
	s_load_b64 s[4:5], s[0:1], s8 offset:0x120
	;; [unrolled: 1-line block ×5, first 2 shown]
	s_waitcnt lgkmcnt(0)
	s_add_u32 s22, s2, s14
	s_addc_u32 s23, s3, s15
	s_add_u32 s24, s4, s14
	s_addc_u32 s25, s5, s15
	s_and_b32 s18, s24, 63
	s_add_u32 s26, s6, s14
	s_addc_u32 s27, s7, s15
	s_add_u32 s28, s20, s14
	s_addc_u32 s29, s21, s15
	s_or_b32 s8, s28, s26
	s_delay_alu instid0(SALU_CYCLE_1)
	s_and_b32 s19, s8, 63
	s_load_b128 s[8:11], s[0:1], 0xbf0
	s_cmp_eq_u32 s19, 0
	s_mov_b32 s19, 0
	s_cselect_b32 s33, -1, 0
	s_and_b32 s30, s22, 63
	s_cmp_eq_u64 s[18:19], 0
	s_mov_b32 s31, s19
	s_cselect_b32 s18, -1, 0
	s_lshl_b64 s[12:13], s[12:13], 16
	s_and_b32 s33, s33, s18
	s_sub_u32 s12, s16, s12
	s_subb_u32 s13, s17, s13
	s_and_b32 s18, s16, 3
	s_delay_alu instid0(SALU_CYCLE_1) | instskip(NEXT) | instid1(SALU_CYCLE_1)
	s_or_b64 s[16:17], s[30:31], s[18:19]
	s_cmp_eq_u64 s[16:17], 0
	s_cselect_b32 s16, -1, 0
	s_delay_alu instid0(SALU_CYCLE_1) | instskip(NEXT) | instid1(SALU_CYCLE_1)
	s_and_b32 s16, s33, s16
	s_and_b32 vcc_lo, exec_lo, s16
	s_mov_b32 s16, -1
	s_cbranch_vccnz .LBB51_109
; %bb.1:
	v_cmp_lt_i64_e64 s16, s[12:13], 1
	s_delay_alu instid0(VALU_DEP_1)
	s_and_b32 vcc_lo, exec_lo, s16
	s_cbranch_vccnz .LBB51_108
; %bb.2:
	s_waitcnt lgkmcnt(0)
	v_cmp_neq_f64_e64 s16, s[8:9], 1.0
	v_cmp_neq_f64_e64 s34, s[10:11], 0
	s_load_b32 s18, s[0:1], 0xc0c
	v_dual_mov_b32 v1, 0 :: v_dual_lshlrev_b32 v6, 4, v0
	v_cmp_gt_u64_e64 s19, 0x10000, s[12:13]
	s_mov_b32 s17, 0
	s_delay_alu instid0(VALU_DEP_2) | instskip(NEXT) | instid1(VALU_DEP_3)
	v_or_b32_e32 v2, 8, v6
	v_mov_b32_e32 v3, v1
	v_dual_mov_b32 v50, v1 :: v_dual_mov_b32 v49, v0
	s_delay_alu instid0(VALU_DEP_3) | instskip(NEXT) | instid1(VALU_DEP_1)
	v_add_co_u32 v59, s30, s4, v2
	v_add_co_ci_u32_e64 v60, null, s5, 0, s30
	v_add_co_u32 v61, s30, s2, v2
	s_delay_alu instid0(VALU_DEP_1) | instskip(SKIP_1) | instid1(VALU_DEP_1)
	v_add_co_ci_u32_e64 v62, null, s3, 0, s30
	v_add_co_u32 v63, s30, s6, v2
	v_add_co_ci_u32_e64 v64, null, s7, 0, s30
	s_waitcnt lgkmcnt(0)
	s_and_b32 s30, s18, 0xffff
	s_and_b32 s18, s19, exec_lo
	v_mad_u64_u32 v[4:5], null, s30, 48, v[2:3]
	v_add_lshl_u32 v7, v0, s30, 4
	s_cselect_b32 s19, s13, 0
	s_cselect_b32 s18, s12, 0x10000
	s_lshl_b32 s31, s30, 1
	s_mul_i32 s33, s30, 3
	v_add_co_u32 v65, s35, s20, v7
	s_delay_alu instid0(VALU_DEP_3) | instskip(SKIP_3) | instid1(VALU_DEP_1)
	v_add_co_u32 v73, vcc_lo, s4, v4
	v_add_co_ci_u32_e32 v74, vcc_lo, s5, v5, vcc_lo
	s_or_b32 s34, s16, s34
	v_add_co_u32 v69, s16, s20, v2
	v_add_co_ci_u32_e64 v70, null, s21, 0, s16
	v_add_co_u32 v71, s16, s2, v7
	s_delay_alu instid0(VALU_DEP_1) | instskip(SKIP_1) | instid1(VALU_DEP_1)
	v_add_co_ci_u32_e64 v72, null, s3, 0, s16
	v_add_co_u32 v75, s16, s4, v7
	v_add_co_ci_u32_e64 v76, null, s5, 0, s16
	s_lshl_b32 s16, s30, 5
	v_add_co_u32 v77, vcc_lo, s2, v4
	v_add_co_u32 v2, s16, s16, v6
	v_add_co_ci_u32_e32 v78, vcc_lo, s3, v5, vcc_lo
	v_add_co_ci_u32_e64 v3, null, 0, 0, s16
	v_add_co_u32 v79, vcc_lo, s6, v4
	v_add_co_ci_u32_e32 v80, vcc_lo, s7, v5, vcc_lo
	v_add_co_u32 v81, vcc_lo, s20, v2
	s_delay_alu instid0(VALU_DEP_4)
	v_add_co_ci_u32_e32 v82, vcc_lo, s21, v3, vcc_lo
	v_add_co_u32 v83, vcc_lo, s20, v4
	v_or_b32_e32 v4, 8, v2
	v_add_co_ci_u32_e32 v84, vcc_lo, s21, v5, vcc_lo
	v_add_co_u32 v85, vcc_lo, s6, v2
	v_add_co_ci_u32_e32 v86, vcc_lo, s7, v3, vcc_lo
	s_delay_alu instid0(VALU_DEP_4)
	v_add_co_u32 v87, vcc_lo, s4, v4
	v_add_co_ci_u32_e32 v88, vcc_lo, s5, v3, vcc_lo
	v_add_co_ci_u32_e64 v66, null, s21, 0, s35
	v_add_co_u32 v67, s35, s6, v7
	v_add_co_u32 v89, vcc_lo, s2, v4
	v_add_co_ci_u32_e64 v68, null, s7, 0, s35
	v_add_co_ci_u32_e32 v90, vcc_lo, s3, v3, vcc_lo
	s_lshl_b32 s16, s30, 2
	s_lshl_b32 s35, s30, 6
	s_mov_b64 s[20:21], s[16:17]
	s_branch .LBB51_4
.LBB51_3:                               ;   in Loop: Header=BB51_4 Depth=1
	s_or_b32 exec_lo, exec_lo, s2
	v_add_co_u32 v49, vcc_lo, v49, s16
	v_add_co_ci_u32_e32 v50, vcc_lo, 0, v50, vcc_lo
	v_add_co_u32 v59, vcc_lo, v59, s35
	v_add_co_ci_u32_e32 v60, vcc_lo, 0, v60, vcc_lo
	v_add_co_u32 v61, vcc_lo, v61, s35
	v_add_co_ci_u32_e32 v62, vcc_lo, 0, v62, vcc_lo
	v_add_co_u32 v65, vcc_lo, v65, s35
	v_add_co_ci_u32_e32 v66, vcc_lo, 0, v66, vcc_lo
	v_add_co_u32 v63, vcc_lo, v63, s35
	v_add_co_ci_u32_e32 v64, vcc_lo, 0, v64, vcc_lo
	v_add_co_u32 v67, vcc_lo, v67, s35
	v_add_co_ci_u32_e32 v68, vcc_lo, 0, v68, vcc_lo
	v_add_co_u32 v69, vcc_lo, v69, s35
	v_add_co_ci_u32_e32 v70, vcc_lo, 0, v70, vcc_lo
	v_add_co_u32 v71, vcc_lo, v71, s35
	v_add_co_ci_u32_e32 v72, vcc_lo, 0, v72, vcc_lo
	v_add_co_u32 v73, vcc_lo, v73, s35
	v_add_co_ci_u32_e32 v74, vcc_lo, 0, v74, vcc_lo
	v_add_co_u32 v75, vcc_lo, v75, s35
	v_add_co_ci_u32_e32 v76, vcc_lo, 0, v76, vcc_lo
	v_add_co_u32 v77, vcc_lo, v77, s35
	v_add_co_ci_u32_e32 v78, vcc_lo, 0, v78, vcc_lo
	v_add_co_u32 v79, vcc_lo, v79, s35
	v_add_co_ci_u32_e32 v80, vcc_lo, 0, v80, vcc_lo
	v_add_co_u32 v81, vcc_lo, v81, s35
	v_add_co_ci_u32_e32 v82, vcc_lo, 0, v82, vcc_lo
	v_add_co_u32 v83, vcc_lo, v83, s35
	v_add_co_ci_u32_e32 v84, vcc_lo, 0, v84, vcc_lo
	v_add_co_u32 v85, vcc_lo, v85, s35
	v_add_co_ci_u32_e32 v86, vcc_lo, 0, v86, vcc_lo
	v_cmp_ge_i64_e64 s2, s[20:21], s[12:13]
	v_cmp_lt_u64_e64 s3, 0xffff, s[20:21]
	v_add_co_u32 v87, vcc_lo, v87, s35
	v_add_co_ci_u32_e32 v88, vcc_lo, 0, v88, vcc_lo
	v_add_co_u32 v89, vcc_lo, v89, s35
	v_add_co_ci_u32_e32 v90, vcc_lo, 0, v90, vcc_lo
	s_or_b32 s2, s2, s3
	s_add_u32 s20, s20, s16
	s_addc_u32 s21, s21, 0
	s_and_b32 vcc_lo, exec_lo, s2
	s_cbranch_vccnz .LBB51_108
.LBB51_4:                               ; =>This Inner Loop Header: Depth=1
	v_mov_b32_e32 v47, 0
	v_mov_b32_e32 v48, 0
	v_cmp_gt_u64_e64 s2, s[18:19], v[49:50]
	s_delay_alu instid0(VALU_DEP_3) | instskip(SKIP_1) | instid1(VALU_DEP_4)
	v_mov_b32_e32 v43, v47
	v_mov_b32_e32 v41, v47
	v_dual_mov_b32 v3, v47 :: v_dual_mov_b32 v4, v48
	v_mov_b32_e32 v44, v48
	v_dual_mov_b32 v42, v48 :: v_dual_mov_b32 v1, v47
	v_mov_b32_e32 v2, v48
	s_and_saveexec_b32 s3, s2
	s_cbranch_execz .LBB51_6
; %bb.5:                                ;   in Loop: Header=BB51_4 Depth=1
	v_add_co_u32 v1, vcc_lo, v61, s14
	v_add_co_ci_u32_e32 v2, vcc_lo, s15, v62, vcc_lo
	v_add_co_u32 v5, vcc_lo, v59, s14
	v_add_co_ci_u32_e32 v6, vcc_lo, s15, v60, vcc_lo
	global_load_b128 v[1:4], v[1:2], off offset:-8
	global_load_b128 v[41:44], v[5:6], off offset:-8
.LBB51_6:                               ;   in Loop: Header=BB51_4 Depth=1
	s_or_b32 exec_lo, exec_lo, s3
	v_dual_mov_b32 v45, v47 :: v_dual_mov_b32 v46, v48
	s_and_saveexec_b32 s3, s2
	s_cbranch_execz .LBB51_8
; %bb.7:                                ;   in Loop: Header=BB51_4 Depth=1
	v_add_co_u32 v5, vcc_lo, v63, s14
	v_add_co_ci_u32_e32 v6, vcc_lo, s15, v64, vcc_lo
	global_load_b128 v[45:48], v[5:6], off offset:-8
.LBB51_8:                               ;   in Loop: Header=BB51_4 Depth=1
	s_or_b32 exec_lo, exec_lo, s3
	v_add_co_u32 v5, vcc_lo, s30, v49
	v_add_co_ci_u32_e32 v6, vcc_lo, 0, v50, vcc_lo
	v_mov_b32_e32 v39, 0
	v_mov_b32_e32 v40, 0
	s_delay_alu instid0(VALU_DEP_2) | instskip(NEXT) | instid1(VALU_DEP_4)
	v_mov_b32_e32 v35, v39
	v_cmp_gt_u64_e64 s3, s[18:19], v[5:6]
	v_mov_b32_e32 v33, v39
	s_delay_alu instid0(VALU_DEP_4)
	v_dual_mov_b32 v7, v39 :: v_dual_mov_b32 v8, v40
	v_mov_b32_e32 v36, v40
	v_dual_mov_b32 v34, v40 :: v_dual_mov_b32 v5, v39
	v_mov_b32_e32 v6, v40
	s_and_saveexec_b32 s4, s3
	s_cbranch_execz .LBB51_10
; %bb.9:                                ;   in Loop: Header=BB51_4 Depth=1
	v_add_co_u32 v5, vcc_lo, v71, s14
	v_add_co_ci_u32_e32 v6, vcc_lo, s15, v72, vcc_lo
	v_add_co_u32 v9, vcc_lo, v75, s14
	v_add_co_ci_u32_e32 v10, vcc_lo, s15, v76, vcc_lo
	global_load_b128 v[5:8], v[5:6], off
	global_load_b128 v[33:36], v[9:10], off
.LBB51_10:                              ;   in Loop: Header=BB51_4 Depth=1
	s_or_b32 exec_lo, exec_lo, s4
	v_dual_mov_b32 v37, v39 :: v_dual_mov_b32 v38, v40
	s_and_saveexec_b32 s4, s3
	s_cbranch_execz .LBB51_12
; %bb.11:                               ;   in Loop: Header=BB51_4 Depth=1
	v_add_co_u32 v9, vcc_lo, v67, s14
	v_add_co_ci_u32_e32 v10, vcc_lo, s15, v68, vcc_lo
	global_load_b128 v[37:40], v[9:10], off
.LBB51_12:                              ;   in Loop: Header=BB51_4 Depth=1
	s_or_b32 exec_lo, exec_lo, s4
	v_add_co_u32 v9, vcc_lo, s31, v49
	v_add_co_ci_u32_e32 v10, vcc_lo, 0, v50, vcc_lo
	v_mov_b32_e32 v31, 0
	v_mov_b32_e32 v32, 0
	s_delay_alu instid0(VALU_DEP_2) | instskip(NEXT) | instid1(VALU_DEP_4)
	v_mov_b32_e32 v27, v31
	v_cmp_gt_u64_e64 s4, s[18:19], v[9:10]
	v_mov_b32_e32 v25, v31
	s_delay_alu instid0(VALU_DEP_4)
	v_dual_mov_b32 v11, v31 :: v_dual_mov_b32 v12, v32
	v_mov_b32_e32 v28, v32
	v_dual_mov_b32 v26, v32 :: v_dual_mov_b32 v9, v31
	v_mov_b32_e32 v10, v32
	s_and_saveexec_b32 s5, s4
	s_cbranch_execz .LBB51_14
; %bb.13:                               ;   in Loop: Header=BB51_4 Depth=1
	v_add_co_u32 v9, vcc_lo, v89, s14
	v_add_co_ci_u32_e32 v10, vcc_lo, s15, v90, vcc_lo
	v_add_co_u32 v13, vcc_lo, v87, s14
	v_add_co_ci_u32_e32 v14, vcc_lo, s15, v88, vcc_lo
	global_load_b128 v[9:12], v[9:10], off offset:-8
	global_load_b128 v[25:28], v[13:14], off offset:-8
.LBB51_14:                              ;   in Loop: Header=BB51_4 Depth=1
	s_or_b32 exec_lo, exec_lo, s5
	v_dual_mov_b32 v29, v31 :: v_dual_mov_b32 v30, v32
	s_and_saveexec_b32 s5, s4
	s_cbranch_execz .LBB51_16
; %bb.15:                               ;   in Loop: Header=BB51_4 Depth=1
	v_add_co_u32 v13, vcc_lo, v85, s14
	v_add_co_ci_u32_e32 v14, vcc_lo, s15, v86, vcc_lo
	global_load_b128 v[29:32], v[13:14], off
.LBB51_16:                              ;   in Loop: Header=BB51_4 Depth=1
	s_or_b32 exec_lo, exec_lo, s5
	v_add_co_u32 v13, vcc_lo, s33, v49
	v_add_co_ci_u32_e32 v14, vcc_lo, 0, v50, vcc_lo
	v_mov_b32_e32 v23, 0
	v_mov_b32_e32 v24, 0
	s_delay_alu instid0(VALU_DEP_2) | instskip(NEXT) | instid1(VALU_DEP_4)
	v_mov_b32_e32 v19, v23
	v_cmp_gt_u64_e64 s5, s[18:19], v[13:14]
	v_mov_b32_e32 v17, v23
	s_delay_alu instid0(VALU_DEP_4)
	v_dual_mov_b32 v15, v23 :: v_dual_mov_b32 v16, v24
	v_mov_b32_e32 v20, v24
	v_dual_mov_b32 v18, v24 :: v_dual_mov_b32 v13, v23
	v_mov_b32_e32 v14, v24
	s_and_saveexec_b32 s6, s5
	s_cbranch_execz .LBB51_18
; %bb.17:                               ;   in Loop: Header=BB51_4 Depth=1
	v_add_co_u32 v13, vcc_lo, v77, s14
	v_add_co_ci_u32_e32 v14, vcc_lo, s15, v78, vcc_lo
	v_add_co_u32 v17, vcc_lo, v73, s14
	v_add_co_ci_u32_e32 v18, vcc_lo, s15, v74, vcc_lo
	global_load_b128 v[13:16], v[13:14], off offset:-8
	global_load_b128 v[17:20], v[17:18], off offset:-8
.LBB51_18:                              ;   in Loop: Header=BB51_4 Depth=1
	s_or_b32 exec_lo, exec_lo, s6
	v_dual_mov_b32 v21, v23 :: v_dual_mov_b32 v22, v24
	s_and_saveexec_b32 s6, s5
	s_cbranch_execz .LBB51_20
; %bb.19:                               ;   in Loop: Header=BB51_4 Depth=1
	v_add_co_u32 v21, vcc_lo, v79, s14
	v_add_co_ci_u32_e32 v22, vcc_lo, s15, v80, vcc_lo
	global_load_b128 v[21:24], v[21:22], off offset:-8
.LBB51_20:                              ;   in Loop: Header=BB51_4 Depth=1
	s_or_b32 exec_lo, exec_lo, s6
	s_waitcnt vmcnt(0)
	v_cmp_gt_f64_e32 vcc_lo, 0, v[45:46]
	v_cmp_gt_f64_e64 s6, 0, v[47:48]
	v_xor_b32_e32 v51, 0x80000000, v46
	v_xor_b32_e32 v52, 0x80000000, v48
	s_delay_alu instid0(VALU_DEP_2) | instskip(NEXT) | instid1(VALU_DEP_2)
	v_dual_cndmask_b32 v56, v46, v51 :: v_dual_cndmask_b32 v55, v45, v45
	v_cndmask_b32_e64 v58, v48, v52, s6
	v_cndmask_b32_e64 v57, v47, v47, s6
	s_and_b32 vcc_lo, exec_lo, s34
	s_delay_alu instid0(VALU_DEP_1)
	v_cmp_ge_f64_e64 s6, v[55:56], v[57:58]
	s_cbranch_vccz .LBB51_30
; %bb.21:                               ;   in Loop: Header=BB51_4 Depth=1
                                        ; implicit-def: $vgpr51_vgpr52
                                        ; implicit-def: $vgpr53_vgpr54
	s_delay_alu instid0(VALU_DEP_1) | instskip(NEXT) | instid1(SALU_CYCLE_1)
	s_and_saveexec_b32 s7, s6
	s_xor_b32 s17, exec_lo, s7
	s_cbranch_execz .LBB51_27
; %bb.22:                               ;   in Loop: Header=BB51_4 Depth=1
	v_cmp_neq_f64_e32 vcc_lo, 0, v[45:46]
	v_cmp_neq_f64_e64 s7, 0, v[47:48]
                                        ; implicit-def: $vgpr51_vgpr52
                                        ; implicit-def: $vgpr53_vgpr54
	s_delay_alu instid0(VALU_DEP_1) | instskip(NEXT) | instid1(SALU_CYCLE_1)
	s_or_b32 s7, s7, vcc_lo
	s_and_saveexec_b32 s36, s7
	s_delay_alu instid0(SALU_CYCLE_1)
	s_xor_b32 s7, exec_lo, s36
	s_cbranch_execz .LBB51_24
; %bb.23:                               ;   in Loop: Header=BB51_4 Depth=1
	v_div_scale_f64 v[51:52], null, v[45:46], v[45:46], v[47:48]
	v_div_scale_f64 v[93:94], vcc_lo, v[47:48], v[45:46], v[47:48]
	s_delay_alu instid0(VALU_DEP_2) | instskip(SKIP_2) | instid1(VALU_DEP_1)
	v_rcp_f64_e32 v[53:54], v[51:52]
	s_waitcnt_depctr 0xfff
	v_fma_f64 v[91:92], -v[51:52], v[53:54], 1.0
	v_fma_f64 v[53:54], v[53:54], v[91:92], v[53:54]
	s_delay_alu instid0(VALU_DEP_1) | instskip(NEXT) | instid1(VALU_DEP_1)
	v_fma_f64 v[91:92], -v[51:52], v[53:54], 1.0
	v_fma_f64 v[53:54], v[53:54], v[91:92], v[53:54]
	s_delay_alu instid0(VALU_DEP_1) | instskip(NEXT) | instid1(VALU_DEP_1)
	v_mul_f64 v[91:92], v[93:94], v[53:54]
	v_fma_f64 v[51:52], -v[51:52], v[91:92], v[93:94]
	s_delay_alu instid0(VALU_DEP_1) | instskip(NEXT) | instid1(VALU_DEP_1)
	v_div_fmas_f64 v[51:52], v[51:52], v[53:54], v[91:92]
	v_div_fixup_f64 v[51:52], v[51:52], v[45:46], v[47:48]
	s_delay_alu instid0(VALU_DEP_1) | instskip(NEXT) | instid1(VALU_DEP_1)
	v_fma_f64 v[53:54], v[47:48], v[51:52], v[45:46]
	v_div_scale_f64 v[91:92], null, v[53:54], v[53:54], 1.0
	v_div_scale_f64 v[97:98], vcc_lo, 1.0, v[53:54], 1.0
	s_delay_alu instid0(VALU_DEP_2) | instskip(SKIP_2) | instid1(VALU_DEP_1)
	v_rcp_f64_e32 v[93:94], v[91:92]
	s_waitcnt_depctr 0xfff
	v_fma_f64 v[95:96], -v[91:92], v[93:94], 1.0
	v_fma_f64 v[93:94], v[93:94], v[95:96], v[93:94]
	s_delay_alu instid0(VALU_DEP_1) | instskip(NEXT) | instid1(VALU_DEP_1)
	v_fma_f64 v[95:96], -v[91:92], v[93:94], 1.0
	v_fma_f64 v[93:94], v[93:94], v[95:96], v[93:94]
	s_delay_alu instid0(VALU_DEP_1) | instskip(NEXT) | instid1(VALU_DEP_1)
	v_mul_f64 v[95:96], v[97:98], v[93:94]
	v_fma_f64 v[91:92], -v[91:92], v[95:96], v[97:98]
	s_delay_alu instid0(VALU_DEP_1) | instskip(SKIP_2) | instid1(VALU_DEP_3)
	v_div_fmas_f64 v[91:92], v[91:92], v[93:94], v[95:96]
	v_fma_f64 v[93:94], v[43:44], v[51:52], v[41:42]
	v_fma_f64 v[51:52], -v[41:42], v[51:52], v[43:44]
	v_div_fixup_f64 v[91:92], v[91:92], v[53:54], 1.0
	s_delay_alu instid0(VALU_DEP_1) | instskip(NEXT) | instid1(VALU_DEP_3)
	v_mul_f64 v[53:54], v[93:94], v[91:92]
	v_mul_f64 v[51:52], v[51:52], v[91:92]
.LBB51_24:                              ;   in Loop: Header=BB51_4 Depth=1
	s_and_not1_saveexec_b32 s36, s7
	s_cbranch_execz .LBB51_26
; %bb.25:                               ;   in Loop: Header=BB51_4 Depth=1
	v_div_scale_f64 v[51:52], null, v[55:56], v[55:56], v[41:42]
	v_div_scale_f64 v[53:54], null, v[57:58], v[57:58], v[43:44]
	v_div_scale_f64 v[99:100], vcc_lo, v[41:42], v[55:56], v[41:42]
	s_delay_alu instid0(VALU_DEP_3) | instskip(NEXT) | instid1(VALU_DEP_2)
	v_rcp_f64_e32 v[91:92], v[51:52]
	v_rcp_f64_e32 v[93:94], v[53:54]
	s_waitcnt_depctr 0xfff
	v_fma_f64 v[95:96], -v[51:52], v[91:92], 1.0
	v_fma_f64 v[97:98], -v[53:54], v[93:94], 1.0
	s_delay_alu instid0(VALU_DEP_2) | instskip(NEXT) | instid1(VALU_DEP_2)
	v_fma_f64 v[91:92], v[91:92], v[95:96], v[91:92]
	v_fma_f64 v[93:94], v[93:94], v[97:98], v[93:94]
	s_delay_alu instid0(VALU_DEP_2) | instskip(NEXT) | instid1(VALU_DEP_2)
	v_fma_f64 v[95:96], -v[51:52], v[91:92], 1.0
	v_fma_f64 v[97:98], -v[53:54], v[93:94], 1.0
	s_delay_alu instid0(VALU_DEP_2) | instskip(SKIP_1) | instid1(VALU_DEP_3)
	v_fma_f64 v[91:92], v[91:92], v[95:96], v[91:92]
	v_div_scale_f64 v[95:96], s7, v[43:44], v[57:58], v[43:44]
	v_fma_f64 v[93:94], v[93:94], v[97:98], v[93:94]
	s_delay_alu instid0(VALU_DEP_3) | instskip(NEXT) | instid1(VALU_DEP_2)
	v_mul_f64 v[97:98], v[99:100], v[91:92]
	v_mul_f64 v[101:102], v[95:96], v[93:94]
	s_delay_alu instid0(VALU_DEP_2) | instskip(NEXT) | instid1(VALU_DEP_2)
	v_fma_f64 v[51:52], -v[51:52], v[97:98], v[99:100]
	v_fma_f64 v[53:54], -v[53:54], v[101:102], v[95:96]
	s_delay_alu instid0(VALU_DEP_2) | instskip(SKIP_1) | instid1(VALU_DEP_2)
	v_div_fmas_f64 v[51:52], v[51:52], v[91:92], v[97:98]
	s_mov_b32 vcc_lo, s7
	v_div_fmas_f64 v[91:92], v[53:54], v[93:94], v[101:102]
	s_delay_alu instid0(VALU_DEP_2) | instskip(NEXT) | instid1(VALU_DEP_2)
	v_div_fixup_f64 v[53:54], v[51:52], v[55:56], v[41:42]
	v_div_fixup_f64 v[51:52], v[91:92], v[57:58], v[43:44]
.LBB51_26:                              ;   in Loop: Header=BB51_4 Depth=1
	s_or_b32 exec_lo, exec_lo, s36
.LBB51_27:                              ;   in Loop: Header=BB51_4 Depth=1
	s_and_not1_saveexec_b32 s7, s17
	s_cbranch_execz .LBB51_29
; %bb.28:                               ;   in Loop: Header=BB51_4 Depth=1
	v_div_scale_f64 v[51:52], null, v[47:48], v[47:48], v[45:46]
	v_div_scale_f64 v[93:94], vcc_lo, v[45:46], v[47:48], v[45:46]
	s_delay_alu instid0(VALU_DEP_2) | instskip(SKIP_2) | instid1(VALU_DEP_1)
	v_rcp_f64_e32 v[53:54], v[51:52]
	s_waitcnt_depctr 0xfff
	v_fma_f64 v[91:92], -v[51:52], v[53:54], 1.0
	v_fma_f64 v[53:54], v[53:54], v[91:92], v[53:54]
	s_delay_alu instid0(VALU_DEP_1) | instskip(NEXT) | instid1(VALU_DEP_1)
	v_fma_f64 v[91:92], -v[51:52], v[53:54], 1.0
	v_fma_f64 v[53:54], v[53:54], v[91:92], v[53:54]
	s_delay_alu instid0(VALU_DEP_1) | instskip(NEXT) | instid1(VALU_DEP_1)
	v_mul_f64 v[91:92], v[93:94], v[53:54]
	v_fma_f64 v[51:52], -v[51:52], v[91:92], v[93:94]
	s_delay_alu instid0(VALU_DEP_1) | instskip(NEXT) | instid1(VALU_DEP_1)
	v_div_fmas_f64 v[51:52], v[51:52], v[53:54], v[91:92]
	v_div_fixup_f64 v[51:52], v[51:52], v[47:48], v[45:46]
	s_delay_alu instid0(VALU_DEP_1) | instskip(NEXT) | instid1(VALU_DEP_1)
	v_fma_f64 v[53:54], v[45:46], v[51:52], v[47:48]
	v_div_scale_f64 v[91:92], null, v[53:54], v[53:54], 1.0
	v_div_scale_f64 v[97:98], vcc_lo, 1.0, v[53:54], 1.0
	s_delay_alu instid0(VALU_DEP_2) | instskip(SKIP_2) | instid1(VALU_DEP_1)
	v_rcp_f64_e32 v[93:94], v[91:92]
	s_waitcnt_depctr 0xfff
	v_fma_f64 v[95:96], -v[91:92], v[93:94], 1.0
	v_fma_f64 v[93:94], v[93:94], v[95:96], v[93:94]
	s_delay_alu instid0(VALU_DEP_1) | instskip(NEXT) | instid1(VALU_DEP_1)
	v_fma_f64 v[95:96], -v[91:92], v[93:94], 1.0
	v_fma_f64 v[93:94], v[93:94], v[95:96], v[93:94]
	s_delay_alu instid0(VALU_DEP_1) | instskip(NEXT) | instid1(VALU_DEP_1)
	v_mul_f64 v[95:96], v[97:98], v[93:94]
	v_fma_f64 v[91:92], -v[91:92], v[95:96], v[97:98]
	s_delay_alu instid0(VALU_DEP_1) | instskip(SKIP_2) | instid1(VALU_DEP_3)
	v_div_fmas_f64 v[91:92], v[91:92], v[93:94], v[95:96]
	v_fma_f64 v[93:94], v[41:42], v[51:52], v[43:44]
	v_fma_f64 v[51:52], v[43:44], v[51:52], -v[41:42]
	v_div_fixup_f64 v[91:92], v[91:92], v[53:54], 1.0
	s_delay_alu instid0(VALU_DEP_1) | instskip(NEXT) | instid1(VALU_DEP_3)
	v_mul_f64 v[53:54], v[93:94], v[91:92]
	v_mul_f64 v[51:52], v[51:52], v[91:92]
.LBB51_29:                              ;   in Loop: Header=BB51_4 Depth=1
	s_or_b32 exec_lo, exec_lo, s7
	s_delay_alu instid0(VALU_DEP_1) | instskip(SKIP_1) | instid1(VALU_DEP_2)
	v_mul_f64 v[91:92], s[10:11], v[51:52]
	v_mul_f64 v[93:94], s[8:9], v[51:52]
	v_fma_f64 v[51:52], s[8:9], v[53:54], -v[91:92]
	s_delay_alu instid0(VALU_DEP_2)
	v_fma_f64 v[53:54], s[10:11], v[53:54], v[93:94]
	s_branch .LBB51_40
.LBB51_30:                              ;   in Loop: Header=BB51_4 Depth=1
                                        ; implicit-def: $vgpr53_vgpr54
                                        ; implicit-def: $vgpr51_vgpr52
	s_cbranch_execz .LBB51_40
; %bb.31:                               ;   in Loop: Header=BB51_4 Depth=1
                                        ; implicit-def: $vgpr53_vgpr54
                                        ; implicit-def: $vgpr51_vgpr52
	s_delay_alu instid0(VALU_DEP_1) | instskip(NEXT) | instid1(SALU_CYCLE_1)
	s_and_saveexec_b32 s7, s6
	s_xor_b32 s7, exec_lo, s7
	s_cbranch_execz .LBB51_37
; %bb.32:                               ;   in Loop: Header=BB51_4 Depth=1
	v_cmp_neq_f64_e32 vcc_lo, 0, v[45:46]
	v_cmp_neq_f64_e64 s6, 0, v[47:48]
                                        ; implicit-def: $vgpr53_vgpr54
                                        ; implicit-def: $vgpr51_vgpr52
	s_delay_alu instid0(VALU_DEP_1) | instskip(NEXT) | instid1(SALU_CYCLE_1)
	s_or_b32 s6, s6, vcc_lo
	s_and_saveexec_b32 s17, s6
	s_delay_alu instid0(SALU_CYCLE_1)
	s_xor_b32 s6, exec_lo, s17
	s_cbranch_execz .LBB51_34
; %bb.33:                               ;   in Loop: Header=BB51_4 Depth=1
	v_div_scale_f64 v[51:52], null, v[45:46], v[45:46], v[47:48]
	v_div_scale_f64 v[57:58], vcc_lo, v[47:48], v[45:46], v[47:48]
	s_delay_alu instid0(VALU_DEP_2) | instskip(SKIP_2) | instid1(VALU_DEP_1)
	v_rcp_f64_e32 v[53:54], v[51:52]
	s_waitcnt_depctr 0xfff
	v_fma_f64 v[55:56], -v[51:52], v[53:54], 1.0
	v_fma_f64 v[53:54], v[53:54], v[55:56], v[53:54]
	s_delay_alu instid0(VALU_DEP_1) | instskip(NEXT) | instid1(VALU_DEP_1)
	v_fma_f64 v[55:56], -v[51:52], v[53:54], 1.0
	v_fma_f64 v[53:54], v[53:54], v[55:56], v[53:54]
	s_delay_alu instid0(VALU_DEP_1) | instskip(NEXT) | instid1(VALU_DEP_1)
	v_mul_f64 v[55:56], v[57:58], v[53:54]
	v_fma_f64 v[51:52], -v[51:52], v[55:56], v[57:58]
	s_delay_alu instid0(VALU_DEP_1) | instskip(NEXT) | instid1(VALU_DEP_1)
	v_div_fmas_f64 v[51:52], v[51:52], v[53:54], v[55:56]
	v_div_fixup_f64 v[51:52], v[51:52], v[45:46], v[47:48]
	s_delay_alu instid0(VALU_DEP_1) | instskip(NEXT) | instid1(VALU_DEP_1)
	v_fma_f64 v[45:46], v[47:48], v[51:52], v[45:46]
	v_div_scale_f64 v[47:48], null, v[45:46], v[45:46], 1.0
	v_div_scale_f64 v[57:58], vcc_lo, 1.0, v[45:46], 1.0
	s_delay_alu instid0(VALU_DEP_2) | instskip(SKIP_2) | instid1(VALU_DEP_1)
	v_rcp_f64_e32 v[53:54], v[47:48]
	s_waitcnt_depctr 0xfff
	v_fma_f64 v[55:56], -v[47:48], v[53:54], 1.0
	v_fma_f64 v[53:54], v[53:54], v[55:56], v[53:54]
	s_delay_alu instid0(VALU_DEP_1) | instskip(NEXT) | instid1(VALU_DEP_1)
	v_fma_f64 v[55:56], -v[47:48], v[53:54], 1.0
	v_fma_f64 v[53:54], v[53:54], v[55:56], v[53:54]
	s_delay_alu instid0(VALU_DEP_1) | instskip(NEXT) | instid1(VALU_DEP_1)
	v_mul_f64 v[55:56], v[57:58], v[53:54]
	v_fma_f64 v[47:48], -v[47:48], v[55:56], v[57:58]
                                        ; implicit-def: $vgpr57_vgpr58
	s_delay_alu instid0(VALU_DEP_1) | instskip(SKIP_2) | instid1(VALU_DEP_3)
	v_div_fmas_f64 v[47:48], v[47:48], v[53:54], v[55:56]
	v_fma_f64 v[53:54], v[43:44], v[51:52], v[41:42]
	v_fma_f64 v[41:42], -v[41:42], v[51:52], v[43:44]
                                        ; implicit-def: $vgpr55_vgpr56
	v_div_fixup_f64 v[45:46], v[47:48], v[45:46], 1.0
	s_delay_alu instid0(VALU_DEP_1) | instskip(NEXT) | instid1(VALU_DEP_3)
	v_mul_f64 v[51:52], v[53:54], v[45:46]
	v_mul_f64 v[53:54], v[41:42], v[45:46]
                                        ; implicit-def: $vgpr41_vgpr42
.LBB51_34:                              ;   in Loop: Header=BB51_4 Depth=1
	s_and_not1_saveexec_b32 s17, s6
	s_cbranch_execz .LBB51_36
; %bb.35:                               ;   in Loop: Header=BB51_4 Depth=1
	v_div_scale_f64 v[45:46], null, v[55:56], v[55:56], v[41:42]
	v_div_scale_f64 v[47:48], null, v[57:58], v[57:58], v[43:44]
	v_div_scale_f64 v[95:96], vcc_lo, v[41:42], v[55:56], v[41:42]
	s_delay_alu instid0(VALU_DEP_3) | instskip(NEXT) | instid1(VALU_DEP_2)
	v_rcp_f64_e32 v[51:52], v[45:46]
	v_rcp_f64_e32 v[53:54], v[47:48]
	s_waitcnt_depctr 0xfff
	v_fma_f64 v[91:92], -v[45:46], v[51:52], 1.0
	v_fma_f64 v[93:94], -v[47:48], v[53:54], 1.0
	s_delay_alu instid0(VALU_DEP_2) | instskip(NEXT) | instid1(VALU_DEP_2)
	v_fma_f64 v[51:52], v[51:52], v[91:92], v[51:52]
	v_fma_f64 v[53:54], v[53:54], v[93:94], v[53:54]
	s_delay_alu instid0(VALU_DEP_2) | instskip(NEXT) | instid1(VALU_DEP_2)
	v_fma_f64 v[91:92], -v[45:46], v[51:52], 1.0
	v_fma_f64 v[93:94], -v[47:48], v[53:54], 1.0
	s_delay_alu instid0(VALU_DEP_2) | instskip(SKIP_1) | instid1(VALU_DEP_3)
	v_fma_f64 v[51:52], v[51:52], v[91:92], v[51:52]
	v_div_scale_f64 v[91:92], s6, v[43:44], v[57:58], v[43:44]
	v_fma_f64 v[53:54], v[53:54], v[93:94], v[53:54]
	s_delay_alu instid0(VALU_DEP_3) | instskip(NEXT) | instid1(VALU_DEP_2)
	v_mul_f64 v[93:94], v[95:96], v[51:52]
	v_mul_f64 v[97:98], v[91:92], v[53:54]
	s_delay_alu instid0(VALU_DEP_2) | instskip(NEXT) | instid1(VALU_DEP_2)
	v_fma_f64 v[45:46], -v[45:46], v[93:94], v[95:96]
	v_fma_f64 v[47:48], -v[47:48], v[97:98], v[91:92]
	s_delay_alu instid0(VALU_DEP_2) | instskip(SKIP_1) | instid1(VALU_DEP_2)
	v_div_fmas_f64 v[45:46], v[45:46], v[51:52], v[93:94]
	s_mov_b32 vcc_lo, s6
	v_div_fmas_f64 v[47:48], v[47:48], v[53:54], v[97:98]
	s_delay_alu instid0(VALU_DEP_2) | instskip(NEXT) | instid1(VALU_DEP_2)
	v_div_fixup_f64 v[51:52], v[45:46], v[55:56], v[41:42]
	v_div_fixup_f64 v[53:54], v[47:48], v[57:58], v[43:44]
.LBB51_36:                              ;   in Loop: Header=BB51_4 Depth=1
	s_or_b32 exec_lo, exec_lo, s17
                                        ; implicit-def: $vgpr47_vgpr48
                                        ; implicit-def: $vgpr41_vgpr42
.LBB51_37:                              ;   in Loop: Header=BB51_4 Depth=1
	s_and_not1_saveexec_b32 s6, s7
	s_cbranch_execz .LBB51_39
; %bb.38:                               ;   in Loop: Header=BB51_4 Depth=1
	v_div_scale_f64 v[51:52], null, v[47:48], v[47:48], v[45:46]
	v_div_scale_f64 v[57:58], vcc_lo, v[45:46], v[47:48], v[45:46]
	s_delay_alu instid0(VALU_DEP_2) | instskip(SKIP_2) | instid1(VALU_DEP_1)
	v_rcp_f64_e32 v[53:54], v[51:52]
	s_waitcnt_depctr 0xfff
	v_fma_f64 v[55:56], -v[51:52], v[53:54], 1.0
	v_fma_f64 v[53:54], v[53:54], v[55:56], v[53:54]
	s_delay_alu instid0(VALU_DEP_1) | instskip(NEXT) | instid1(VALU_DEP_1)
	v_fma_f64 v[55:56], -v[51:52], v[53:54], 1.0
	v_fma_f64 v[53:54], v[53:54], v[55:56], v[53:54]
	s_delay_alu instid0(VALU_DEP_1) | instskip(NEXT) | instid1(VALU_DEP_1)
	v_mul_f64 v[55:56], v[57:58], v[53:54]
	v_fma_f64 v[51:52], -v[51:52], v[55:56], v[57:58]
	s_delay_alu instid0(VALU_DEP_1) | instskip(NEXT) | instid1(VALU_DEP_1)
	v_div_fmas_f64 v[51:52], v[51:52], v[53:54], v[55:56]
	v_div_fixup_f64 v[51:52], v[51:52], v[47:48], v[45:46]
	s_delay_alu instid0(VALU_DEP_1) | instskip(NEXT) | instid1(VALU_DEP_1)
	v_fma_f64 v[45:46], v[45:46], v[51:52], v[47:48]
	v_div_scale_f64 v[47:48], null, v[45:46], v[45:46], 1.0
	v_div_scale_f64 v[57:58], vcc_lo, 1.0, v[45:46], 1.0
	s_delay_alu instid0(VALU_DEP_2) | instskip(SKIP_2) | instid1(VALU_DEP_1)
	v_rcp_f64_e32 v[53:54], v[47:48]
	s_waitcnt_depctr 0xfff
	v_fma_f64 v[55:56], -v[47:48], v[53:54], 1.0
	v_fma_f64 v[53:54], v[53:54], v[55:56], v[53:54]
	s_delay_alu instid0(VALU_DEP_1) | instskip(NEXT) | instid1(VALU_DEP_1)
	v_fma_f64 v[55:56], -v[47:48], v[53:54], 1.0
	v_fma_f64 v[53:54], v[53:54], v[55:56], v[53:54]
	s_delay_alu instid0(VALU_DEP_1) | instskip(NEXT) | instid1(VALU_DEP_1)
	v_mul_f64 v[55:56], v[57:58], v[53:54]
	v_fma_f64 v[47:48], -v[47:48], v[55:56], v[57:58]
	s_delay_alu instid0(VALU_DEP_1) | instskip(SKIP_2) | instid1(VALU_DEP_3)
	v_div_fmas_f64 v[47:48], v[47:48], v[53:54], v[55:56]
	v_fma_f64 v[53:54], v[41:42], v[51:52], v[43:44]
	v_fma_f64 v[41:42], v[43:44], v[51:52], -v[41:42]
	v_div_fixup_f64 v[45:46], v[47:48], v[45:46], 1.0
	s_delay_alu instid0(VALU_DEP_1) | instskip(NEXT) | instid1(VALU_DEP_3)
	v_mul_f64 v[51:52], v[53:54], v[45:46]
	v_mul_f64 v[53:54], v[41:42], v[45:46]
.LBB51_39:                              ;   in Loop: Header=BB51_4 Depth=1
	s_or_b32 exec_lo, exec_lo, s6
.LBB51_40:                              ;   in Loop: Header=BB51_4 Depth=1
	v_cmp_gt_f64_e32 vcc_lo, 0, v[37:38]
	v_cmp_gt_f64_e64 s6, 0, v[39:40]
	v_xor_b32_e32 v41, 0x80000000, v38
	v_xor_b32_e32 v42, 0x80000000, v40
	s_delay_alu instid0(VALU_DEP_2) | instskip(NEXT) | instid1(VALU_DEP_2)
	v_cndmask_b32_e32 v46, v38, v41, vcc_lo
	v_cndmask_b32_e64 v48, v40, v42, s6
	v_cndmask_b32_e32 v45, v37, v37, vcc_lo
	v_cndmask_b32_e64 v47, v39, v39, s6
	s_and_not1_b32 vcc_lo, exec_lo, s34
	s_delay_alu instid0(VALU_DEP_1)
	v_cmp_ge_f64_e64 s6, v[45:46], v[47:48]
	s_cbranch_vccnz .LBB51_50
; %bb.41:                               ;   in Loop: Header=BB51_4 Depth=1
                                        ; implicit-def: $vgpr41_vgpr42
                                        ; implicit-def: $vgpr43_vgpr44
	s_delay_alu instid0(VALU_DEP_1) | instskip(NEXT) | instid1(SALU_CYCLE_1)
	s_and_saveexec_b32 s7, s6
	s_xor_b32 s17, exec_lo, s7
	s_cbranch_execz .LBB51_47
; %bb.42:                               ;   in Loop: Header=BB51_4 Depth=1
	v_cmp_neq_f64_e32 vcc_lo, 0, v[37:38]
	v_cmp_neq_f64_e64 s7, 0, v[39:40]
                                        ; implicit-def: $vgpr41_vgpr42
                                        ; implicit-def: $vgpr43_vgpr44
	s_delay_alu instid0(VALU_DEP_1) | instskip(NEXT) | instid1(SALU_CYCLE_1)
	s_or_b32 s7, s7, vcc_lo
	s_and_saveexec_b32 s36, s7
	s_delay_alu instid0(SALU_CYCLE_1)
	s_xor_b32 s7, exec_lo, s36
	s_cbranch_execz .LBB51_44
; %bb.43:                               ;   in Loop: Header=BB51_4 Depth=1
	v_div_scale_f64 v[41:42], null, v[37:38], v[37:38], v[39:40]
	v_div_scale_f64 v[57:58], vcc_lo, v[39:40], v[37:38], v[39:40]
	s_delay_alu instid0(VALU_DEP_2) | instskip(SKIP_2) | instid1(VALU_DEP_1)
	v_rcp_f64_e32 v[43:44], v[41:42]
	s_waitcnt_depctr 0xfff
	v_fma_f64 v[55:56], -v[41:42], v[43:44], 1.0
	v_fma_f64 v[43:44], v[43:44], v[55:56], v[43:44]
	s_delay_alu instid0(VALU_DEP_1) | instskip(NEXT) | instid1(VALU_DEP_1)
	v_fma_f64 v[55:56], -v[41:42], v[43:44], 1.0
	v_fma_f64 v[43:44], v[43:44], v[55:56], v[43:44]
	s_delay_alu instid0(VALU_DEP_1) | instskip(NEXT) | instid1(VALU_DEP_1)
	v_mul_f64 v[55:56], v[57:58], v[43:44]
	v_fma_f64 v[41:42], -v[41:42], v[55:56], v[57:58]
	s_delay_alu instid0(VALU_DEP_1) | instskip(NEXT) | instid1(VALU_DEP_1)
	v_div_fmas_f64 v[41:42], v[41:42], v[43:44], v[55:56]
	v_div_fixup_f64 v[41:42], v[41:42], v[37:38], v[39:40]
	s_delay_alu instid0(VALU_DEP_1) | instskip(NEXT) | instid1(VALU_DEP_1)
	v_fma_f64 v[43:44], v[39:40], v[41:42], v[37:38]
	v_div_scale_f64 v[55:56], null, v[43:44], v[43:44], 1.0
	v_div_scale_f64 v[93:94], vcc_lo, 1.0, v[43:44], 1.0
	s_delay_alu instid0(VALU_DEP_2) | instskip(SKIP_2) | instid1(VALU_DEP_1)
	v_rcp_f64_e32 v[57:58], v[55:56]
	s_waitcnt_depctr 0xfff
	v_fma_f64 v[91:92], -v[55:56], v[57:58], 1.0
	v_fma_f64 v[57:58], v[57:58], v[91:92], v[57:58]
	s_delay_alu instid0(VALU_DEP_1) | instskip(NEXT) | instid1(VALU_DEP_1)
	v_fma_f64 v[91:92], -v[55:56], v[57:58], 1.0
	v_fma_f64 v[57:58], v[57:58], v[91:92], v[57:58]
	s_delay_alu instid0(VALU_DEP_1) | instskip(NEXT) | instid1(VALU_DEP_1)
	v_mul_f64 v[91:92], v[93:94], v[57:58]
	v_fma_f64 v[55:56], -v[55:56], v[91:92], v[93:94]
	s_delay_alu instid0(VALU_DEP_1) | instskip(SKIP_2) | instid1(VALU_DEP_3)
	v_div_fmas_f64 v[55:56], v[55:56], v[57:58], v[91:92]
	v_fma_f64 v[57:58], v[35:36], v[41:42], v[33:34]
	v_fma_f64 v[41:42], -v[33:34], v[41:42], v[35:36]
	v_div_fixup_f64 v[55:56], v[55:56], v[43:44], 1.0
	s_delay_alu instid0(VALU_DEP_1) | instskip(NEXT) | instid1(VALU_DEP_3)
	v_mul_f64 v[43:44], v[57:58], v[55:56]
	v_mul_f64 v[41:42], v[41:42], v[55:56]
.LBB51_44:                              ;   in Loop: Header=BB51_4 Depth=1
	s_and_not1_saveexec_b32 s36, s7
	s_cbranch_execz .LBB51_46
; %bb.45:                               ;   in Loop: Header=BB51_4 Depth=1
	v_div_scale_f64 v[41:42], null, v[45:46], v[45:46], v[33:34]
	v_div_scale_f64 v[43:44], null, v[47:48], v[47:48], v[35:36]
	v_div_scale_f64 v[95:96], vcc_lo, v[33:34], v[45:46], v[33:34]
	s_delay_alu instid0(VALU_DEP_3) | instskip(NEXT) | instid1(VALU_DEP_2)
	v_rcp_f64_e32 v[55:56], v[41:42]
	v_rcp_f64_e32 v[57:58], v[43:44]
	s_waitcnt_depctr 0xfff
	v_fma_f64 v[91:92], -v[41:42], v[55:56], 1.0
	v_fma_f64 v[93:94], -v[43:44], v[57:58], 1.0
	s_delay_alu instid0(VALU_DEP_2) | instskip(NEXT) | instid1(VALU_DEP_2)
	v_fma_f64 v[55:56], v[55:56], v[91:92], v[55:56]
	v_fma_f64 v[57:58], v[57:58], v[93:94], v[57:58]
	s_delay_alu instid0(VALU_DEP_2) | instskip(NEXT) | instid1(VALU_DEP_2)
	v_fma_f64 v[91:92], -v[41:42], v[55:56], 1.0
	v_fma_f64 v[93:94], -v[43:44], v[57:58], 1.0
	s_delay_alu instid0(VALU_DEP_2) | instskip(SKIP_1) | instid1(VALU_DEP_3)
	v_fma_f64 v[55:56], v[55:56], v[91:92], v[55:56]
	v_div_scale_f64 v[91:92], s7, v[35:36], v[47:48], v[35:36]
	v_fma_f64 v[57:58], v[57:58], v[93:94], v[57:58]
	s_delay_alu instid0(VALU_DEP_3) | instskip(NEXT) | instid1(VALU_DEP_2)
	v_mul_f64 v[93:94], v[95:96], v[55:56]
	v_mul_f64 v[97:98], v[91:92], v[57:58]
	s_delay_alu instid0(VALU_DEP_2) | instskip(NEXT) | instid1(VALU_DEP_2)
	v_fma_f64 v[41:42], -v[41:42], v[93:94], v[95:96]
	v_fma_f64 v[43:44], -v[43:44], v[97:98], v[91:92]
	s_delay_alu instid0(VALU_DEP_2) | instskip(SKIP_1) | instid1(VALU_DEP_2)
	v_div_fmas_f64 v[41:42], v[41:42], v[55:56], v[93:94]
	s_mov_b32 vcc_lo, s7
	v_div_fmas_f64 v[55:56], v[43:44], v[57:58], v[97:98]
	s_delay_alu instid0(VALU_DEP_2) | instskip(NEXT) | instid1(VALU_DEP_2)
	v_div_fixup_f64 v[43:44], v[41:42], v[45:46], v[33:34]
	v_div_fixup_f64 v[41:42], v[55:56], v[47:48], v[35:36]
.LBB51_46:                              ;   in Loop: Header=BB51_4 Depth=1
	s_or_b32 exec_lo, exec_lo, s36
.LBB51_47:                              ;   in Loop: Header=BB51_4 Depth=1
	s_and_not1_saveexec_b32 s7, s17
	s_cbranch_execz .LBB51_49
; %bb.48:                               ;   in Loop: Header=BB51_4 Depth=1
	v_div_scale_f64 v[41:42], null, v[39:40], v[39:40], v[37:38]
	v_div_scale_f64 v[57:58], vcc_lo, v[37:38], v[39:40], v[37:38]
	s_delay_alu instid0(VALU_DEP_2) | instskip(SKIP_2) | instid1(VALU_DEP_1)
	v_rcp_f64_e32 v[43:44], v[41:42]
	s_waitcnt_depctr 0xfff
	v_fma_f64 v[55:56], -v[41:42], v[43:44], 1.0
	v_fma_f64 v[43:44], v[43:44], v[55:56], v[43:44]
	s_delay_alu instid0(VALU_DEP_1) | instskip(NEXT) | instid1(VALU_DEP_1)
	v_fma_f64 v[55:56], -v[41:42], v[43:44], 1.0
	v_fma_f64 v[43:44], v[43:44], v[55:56], v[43:44]
	s_delay_alu instid0(VALU_DEP_1) | instskip(NEXT) | instid1(VALU_DEP_1)
	v_mul_f64 v[55:56], v[57:58], v[43:44]
	v_fma_f64 v[41:42], -v[41:42], v[55:56], v[57:58]
	s_delay_alu instid0(VALU_DEP_1) | instskip(NEXT) | instid1(VALU_DEP_1)
	v_div_fmas_f64 v[41:42], v[41:42], v[43:44], v[55:56]
	v_div_fixup_f64 v[41:42], v[41:42], v[39:40], v[37:38]
	s_delay_alu instid0(VALU_DEP_1) | instskip(NEXT) | instid1(VALU_DEP_1)
	v_fma_f64 v[43:44], v[37:38], v[41:42], v[39:40]
	v_div_scale_f64 v[55:56], null, v[43:44], v[43:44], 1.0
	v_div_scale_f64 v[93:94], vcc_lo, 1.0, v[43:44], 1.0
	s_delay_alu instid0(VALU_DEP_2) | instskip(SKIP_2) | instid1(VALU_DEP_1)
	v_rcp_f64_e32 v[57:58], v[55:56]
	s_waitcnt_depctr 0xfff
	v_fma_f64 v[91:92], -v[55:56], v[57:58], 1.0
	v_fma_f64 v[57:58], v[57:58], v[91:92], v[57:58]
	s_delay_alu instid0(VALU_DEP_1) | instskip(NEXT) | instid1(VALU_DEP_1)
	v_fma_f64 v[91:92], -v[55:56], v[57:58], 1.0
	v_fma_f64 v[57:58], v[57:58], v[91:92], v[57:58]
	s_delay_alu instid0(VALU_DEP_1) | instskip(NEXT) | instid1(VALU_DEP_1)
	v_mul_f64 v[91:92], v[93:94], v[57:58]
	v_fma_f64 v[55:56], -v[55:56], v[91:92], v[93:94]
	s_delay_alu instid0(VALU_DEP_1) | instskip(SKIP_2) | instid1(VALU_DEP_3)
	v_div_fmas_f64 v[55:56], v[55:56], v[57:58], v[91:92]
	v_fma_f64 v[57:58], v[33:34], v[41:42], v[35:36]
	v_fma_f64 v[41:42], v[35:36], v[41:42], -v[33:34]
	v_div_fixup_f64 v[55:56], v[55:56], v[43:44], 1.0
	s_delay_alu instid0(VALU_DEP_1) | instskip(NEXT) | instid1(VALU_DEP_3)
	v_mul_f64 v[43:44], v[57:58], v[55:56]
	v_mul_f64 v[41:42], v[41:42], v[55:56]
.LBB51_49:                              ;   in Loop: Header=BB51_4 Depth=1
	s_or_b32 exec_lo, exec_lo, s7
	s_delay_alu instid0(VALU_DEP_1) | instskip(SKIP_1) | instid1(VALU_DEP_2)
	v_mul_f64 v[55:56], s[10:11], v[41:42]
	v_mul_f64 v[57:58], s[8:9], v[41:42]
	v_fma_f64 v[41:42], s[8:9], v[43:44], -v[55:56]
	s_delay_alu instid0(VALU_DEP_2)
	v_fma_f64 v[43:44], s[10:11], v[43:44], v[57:58]
	s_branch .LBB51_60
.LBB51_50:                              ;   in Loop: Header=BB51_4 Depth=1
                                        ; implicit-def: $vgpr43_vgpr44
                                        ; implicit-def: $vgpr41_vgpr42
	s_cbranch_execz .LBB51_60
; %bb.51:                               ;   in Loop: Header=BB51_4 Depth=1
                                        ; implicit-def: $vgpr43_vgpr44
                                        ; implicit-def: $vgpr41_vgpr42
	s_delay_alu instid0(VALU_DEP_1) | instskip(NEXT) | instid1(SALU_CYCLE_1)
	s_and_saveexec_b32 s7, s6
	s_xor_b32 s7, exec_lo, s7
	s_cbranch_execz .LBB51_57
; %bb.52:                               ;   in Loop: Header=BB51_4 Depth=1
	v_cmp_neq_f64_e32 vcc_lo, 0, v[37:38]
	v_cmp_neq_f64_e64 s6, 0, v[39:40]
                                        ; implicit-def: $vgpr43_vgpr44
                                        ; implicit-def: $vgpr41_vgpr42
	s_delay_alu instid0(VALU_DEP_1) | instskip(NEXT) | instid1(SALU_CYCLE_1)
	s_or_b32 s6, s6, vcc_lo
	s_and_saveexec_b32 s17, s6
	s_delay_alu instid0(SALU_CYCLE_1)
	s_xor_b32 s6, exec_lo, s17
	s_cbranch_execz .LBB51_54
; %bb.53:                               ;   in Loop: Header=BB51_4 Depth=1
	v_div_scale_f64 v[41:42], null, v[37:38], v[37:38], v[39:40]
	v_div_scale_f64 v[47:48], vcc_lo, v[39:40], v[37:38], v[39:40]
	s_delay_alu instid0(VALU_DEP_2) | instskip(SKIP_2) | instid1(VALU_DEP_1)
	v_rcp_f64_e32 v[43:44], v[41:42]
	s_waitcnt_depctr 0xfff
	v_fma_f64 v[45:46], -v[41:42], v[43:44], 1.0
	v_fma_f64 v[43:44], v[43:44], v[45:46], v[43:44]
	s_delay_alu instid0(VALU_DEP_1) | instskip(NEXT) | instid1(VALU_DEP_1)
	v_fma_f64 v[45:46], -v[41:42], v[43:44], 1.0
	v_fma_f64 v[43:44], v[43:44], v[45:46], v[43:44]
	s_delay_alu instid0(VALU_DEP_1) | instskip(NEXT) | instid1(VALU_DEP_1)
	v_mul_f64 v[45:46], v[47:48], v[43:44]
	v_fma_f64 v[41:42], -v[41:42], v[45:46], v[47:48]
	s_delay_alu instid0(VALU_DEP_1) | instskip(NEXT) | instid1(VALU_DEP_1)
	v_div_fmas_f64 v[41:42], v[41:42], v[43:44], v[45:46]
	v_div_fixup_f64 v[41:42], v[41:42], v[37:38], v[39:40]
	s_delay_alu instid0(VALU_DEP_1) | instskip(NEXT) | instid1(VALU_DEP_1)
	v_fma_f64 v[37:38], v[39:40], v[41:42], v[37:38]
	v_div_scale_f64 v[39:40], null, v[37:38], v[37:38], 1.0
	v_div_scale_f64 v[47:48], vcc_lo, 1.0, v[37:38], 1.0
	s_delay_alu instid0(VALU_DEP_2) | instskip(SKIP_2) | instid1(VALU_DEP_1)
	v_rcp_f64_e32 v[43:44], v[39:40]
	s_waitcnt_depctr 0xfff
	v_fma_f64 v[45:46], -v[39:40], v[43:44], 1.0
	v_fma_f64 v[43:44], v[43:44], v[45:46], v[43:44]
	s_delay_alu instid0(VALU_DEP_1) | instskip(NEXT) | instid1(VALU_DEP_1)
	v_fma_f64 v[45:46], -v[39:40], v[43:44], 1.0
	v_fma_f64 v[43:44], v[43:44], v[45:46], v[43:44]
	s_delay_alu instid0(VALU_DEP_1) | instskip(NEXT) | instid1(VALU_DEP_1)
	v_mul_f64 v[45:46], v[47:48], v[43:44]
	v_fma_f64 v[39:40], -v[39:40], v[45:46], v[47:48]
                                        ; implicit-def: $vgpr47_vgpr48
	s_delay_alu instid0(VALU_DEP_1) | instskip(SKIP_2) | instid1(VALU_DEP_3)
	v_div_fmas_f64 v[39:40], v[39:40], v[43:44], v[45:46]
	v_fma_f64 v[43:44], v[35:36], v[41:42], v[33:34]
	v_fma_f64 v[33:34], -v[33:34], v[41:42], v[35:36]
                                        ; implicit-def: $vgpr45_vgpr46
	v_div_fixup_f64 v[37:38], v[39:40], v[37:38], 1.0
	s_delay_alu instid0(VALU_DEP_1) | instskip(NEXT) | instid1(VALU_DEP_3)
	v_mul_f64 v[41:42], v[43:44], v[37:38]
	v_mul_f64 v[43:44], v[33:34], v[37:38]
                                        ; implicit-def: $vgpr33_vgpr34
.LBB51_54:                              ;   in Loop: Header=BB51_4 Depth=1
	s_and_not1_saveexec_b32 s17, s6
	s_cbranch_execz .LBB51_56
; %bb.55:                               ;   in Loop: Header=BB51_4 Depth=1
	v_div_scale_f64 v[37:38], null, v[45:46], v[45:46], v[33:34]
	v_div_scale_f64 v[39:40], null, v[47:48], v[47:48], v[35:36]
	v_div_scale_f64 v[91:92], vcc_lo, v[33:34], v[45:46], v[33:34]
	s_delay_alu instid0(VALU_DEP_3) | instskip(NEXT) | instid1(VALU_DEP_2)
	v_rcp_f64_e32 v[41:42], v[37:38]
	v_rcp_f64_e32 v[43:44], v[39:40]
	s_waitcnt_depctr 0xfff
	v_fma_f64 v[55:56], -v[37:38], v[41:42], 1.0
	v_fma_f64 v[57:58], -v[39:40], v[43:44], 1.0
	s_delay_alu instid0(VALU_DEP_2) | instskip(NEXT) | instid1(VALU_DEP_2)
	v_fma_f64 v[41:42], v[41:42], v[55:56], v[41:42]
	v_fma_f64 v[43:44], v[43:44], v[57:58], v[43:44]
	s_delay_alu instid0(VALU_DEP_2) | instskip(NEXT) | instid1(VALU_DEP_2)
	v_fma_f64 v[55:56], -v[37:38], v[41:42], 1.0
	v_fma_f64 v[57:58], -v[39:40], v[43:44], 1.0
	s_delay_alu instid0(VALU_DEP_2) | instskip(SKIP_1) | instid1(VALU_DEP_3)
	v_fma_f64 v[41:42], v[41:42], v[55:56], v[41:42]
	v_div_scale_f64 v[55:56], s6, v[35:36], v[47:48], v[35:36]
	v_fma_f64 v[43:44], v[43:44], v[57:58], v[43:44]
	s_delay_alu instid0(VALU_DEP_3) | instskip(NEXT) | instid1(VALU_DEP_2)
	v_mul_f64 v[57:58], v[91:92], v[41:42]
	v_mul_f64 v[93:94], v[55:56], v[43:44]
	s_delay_alu instid0(VALU_DEP_2) | instskip(NEXT) | instid1(VALU_DEP_2)
	v_fma_f64 v[37:38], -v[37:38], v[57:58], v[91:92]
	v_fma_f64 v[39:40], -v[39:40], v[93:94], v[55:56]
	s_delay_alu instid0(VALU_DEP_2) | instskip(SKIP_1) | instid1(VALU_DEP_2)
	v_div_fmas_f64 v[37:38], v[37:38], v[41:42], v[57:58]
	s_mov_b32 vcc_lo, s6
	v_div_fmas_f64 v[39:40], v[39:40], v[43:44], v[93:94]
	s_delay_alu instid0(VALU_DEP_2) | instskip(NEXT) | instid1(VALU_DEP_2)
	v_div_fixup_f64 v[41:42], v[37:38], v[45:46], v[33:34]
	v_div_fixup_f64 v[43:44], v[39:40], v[47:48], v[35:36]
.LBB51_56:                              ;   in Loop: Header=BB51_4 Depth=1
	s_or_b32 exec_lo, exec_lo, s17
                                        ; implicit-def: $vgpr39_vgpr40
                                        ; implicit-def: $vgpr33_vgpr34
.LBB51_57:                              ;   in Loop: Header=BB51_4 Depth=1
	s_and_not1_saveexec_b32 s6, s7
	s_cbranch_execz .LBB51_59
; %bb.58:                               ;   in Loop: Header=BB51_4 Depth=1
	v_div_scale_f64 v[41:42], null, v[39:40], v[39:40], v[37:38]
	v_div_scale_f64 v[47:48], vcc_lo, v[37:38], v[39:40], v[37:38]
	s_delay_alu instid0(VALU_DEP_2) | instskip(SKIP_2) | instid1(VALU_DEP_1)
	v_rcp_f64_e32 v[43:44], v[41:42]
	s_waitcnt_depctr 0xfff
	v_fma_f64 v[45:46], -v[41:42], v[43:44], 1.0
	v_fma_f64 v[43:44], v[43:44], v[45:46], v[43:44]
	s_delay_alu instid0(VALU_DEP_1) | instskip(NEXT) | instid1(VALU_DEP_1)
	v_fma_f64 v[45:46], -v[41:42], v[43:44], 1.0
	v_fma_f64 v[43:44], v[43:44], v[45:46], v[43:44]
	s_delay_alu instid0(VALU_DEP_1) | instskip(NEXT) | instid1(VALU_DEP_1)
	v_mul_f64 v[45:46], v[47:48], v[43:44]
	v_fma_f64 v[41:42], -v[41:42], v[45:46], v[47:48]
	s_delay_alu instid0(VALU_DEP_1) | instskip(NEXT) | instid1(VALU_DEP_1)
	v_div_fmas_f64 v[41:42], v[41:42], v[43:44], v[45:46]
	v_div_fixup_f64 v[41:42], v[41:42], v[39:40], v[37:38]
	s_delay_alu instid0(VALU_DEP_1) | instskip(NEXT) | instid1(VALU_DEP_1)
	v_fma_f64 v[37:38], v[37:38], v[41:42], v[39:40]
	v_div_scale_f64 v[39:40], null, v[37:38], v[37:38], 1.0
	v_div_scale_f64 v[47:48], vcc_lo, 1.0, v[37:38], 1.0
	s_delay_alu instid0(VALU_DEP_2) | instskip(SKIP_2) | instid1(VALU_DEP_1)
	v_rcp_f64_e32 v[43:44], v[39:40]
	s_waitcnt_depctr 0xfff
	v_fma_f64 v[45:46], -v[39:40], v[43:44], 1.0
	v_fma_f64 v[43:44], v[43:44], v[45:46], v[43:44]
	s_delay_alu instid0(VALU_DEP_1) | instskip(NEXT) | instid1(VALU_DEP_1)
	v_fma_f64 v[45:46], -v[39:40], v[43:44], 1.0
	v_fma_f64 v[43:44], v[43:44], v[45:46], v[43:44]
	s_delay_alu instid0(VALU_DEP_1) | instskip(NEXT) | instid1(VALU_DEP_1)
	v_mul_f64 v[45:46], v[47:48], v[43:44]
	v_fma_f64 v[39:40], -v[39:40], v[45:46], v[47:48]
	s_delay_alu instid0(VALU_DEP_1) | instskip(SKIP_2) | instid1(VALU_DEP_3)
	v_div_fmas_f64 v[39:40], v[39:40], v[43:44], v[45:46]
	v_fma_f64 v[43:44], v[33:34], v[41:42], v[35:36]
	v_fma_f64 v[33:34], v[35:36], v[41:42], -v[33:34]
	v_div_fixup_f64 v[37:38], v[39:40], v[37:38], 1.0
	s_delay_alu instid0(VALU_DEP_1) | instskip(NEXT) | instid1(VALU_DEP_3)
	v_mul_f64 v[41:42], v[43:44], v[37:38]
	v_mul_f64 v[43:44], v[33:34], v[37:38]
.LBB51_59:                              ;   in Loop: Header=BB51_4 Depth=1
	s_or_b32 exec_lo, exec_lo, s6
.LBB51_60:                              ;   in Loop: Header=BB51_4 Depth=1
	v_cmp_gt_f64_e32 vcc_lo, 0, v[29:30]
	v_cmp_gt_f64_e64 s6, 0, v[31:32]
	v_xor_b32_e32 v33, 0x80000000, v30
	v_xor_b32_e32 v34, 0x80000000, v32
	s_delay_alu instid0(VALU_DEP_2) | instskip(NEXT) | instid1(VALU_DEP_2)
	v_cndmask_b32_e32 v38, v30, v33, vcc_lo
	v_cndmask_b32_e64 v40, v32, v34, s6
	v_cndmask_b32_e32 v37, v29, v29, vcc_lo
	v_cndmask_b32_e64 v39, v31, v31, s6
	s_and_not1_b32 vcc_lo, exec_lo, s34
	s_delay_alu instid0(VALU_DEP_1)
	v_cmp_ge_f64_e64 s6, v[37:38], v[39:40]
	s_cbranch_vccnz .LBB51_70
; %bb.61:                               ;   in Loop: Header=BB51_4 Depth=1
                                        ; implicit-def: $vgpr33_vgpr34
                                        ; implicit-def: $vgpr35_vgpr36
	s_delay_alu instid0(VALU_DEP_1) | instskip(NEXT) | instid1(SALU_CYCLE_1)
	s_and_saveexec_b32 s7, s6
	s_xor_b32 s17, exec_lo, s7
	s_cbranch_execz .LBB51_67
; %bb.62:                               ;   in Loop: Header=BB51_4 Depth=1
	v_cmp_neq_f64_e32 vcc_lo, 0, v[29:30]
	v_cmp_neq_f64_e64 s7, 0, v[31:32]
                                        ; implicit-def: $vgpr33_vgpr34
                                        ; implicit-def: $vgpr35_vgpr36
	s_delay_alu instid0(VALU_DEP_1) | instskip(NEXT) | instid1(SALU_CYCLE_1)
	s_or_b32 s7, s7, vcc_lo
	s_and_saveexec_b32 s36, s7
	s_delay_alu instid0(SALU_CYCLE_1)
	s_xor_b32 s7, exec_lo, s36
	s_cbranch_execz .LBB51_64
; %bb.63:                               ;   in Loop: Header=BB51_4 Depth=1
	v_div_scale_f64 v[33:34], null, v[29:30], v[29:30], v[31:32]
	v_div_scale_f64 v[47:48], vcc_lo, v[31:32], v[29:30], v[31:32]
	s_delay_alu instid0(VALU_DEP_2) | instskip(SKIP_2) | instid1(VALU_DEP_1)
	v_rcp_f64_e32 v[35:36], v[33:34]
	s_waitcnt_depctr 0xfff
	v_fma_f64 v[45:46], -v[33:34], v[35:36], 1.0
	v_fma_f64 v[35:36], v[35:36], v[45:46], v[35:36]
	s_delay_alu instid0(VALU_DEP_1) | instskip(NEXT) | instid1(VALU_DEP_1)
	v_fma_f64 v[45:46], -v[33:34], v[35:36], 1.0
	v_fma_f64 v[35:36], v[35:36], v[45:46], v[35:36]
	s_delay_alu instid0(VALU_DEP_1) | instskip(NEXT) | instid1(VALU_DEP_1)
	v_mul_f64 v[45:46], v[47:48], v[35:36]
	v_fma_f64 v[33:34], -v[33:34], v[45:46], v[47:48]
	s_delay_alu instid0(VALU_DEP_1) | instskip(NEXT) | instid1(VALU_DEP_1)
	v_div_fmas_f64 v[33:34], v[33:34], v[35:36], v[45:46]
	v_div_fixup_f64 v[33:34], v[33:34], v[29:30], v[31:32]
	s_delay_alu instid0(VALU_DEP_1) | instskip(NEXT) | instid1(VALU_DEP_1)
	v_fma_f64 v[35:36], v[31:32], v[33:34], v[29:30]
	v_div_scale_f64 v[45:46], null, v[35:36], v[35:36], 1.0
	v_div_scale_f64 v[57:58], vcc_lo, 1.0, v[35:36], 1.0
	s_delay_alu instid0(VALU_DEP_2) | instskip(SKIP_2) | instid1(VALU_DEP_1)
	v_rcp_f64_e32 v[47:48], v[45:46]
	s_waitcnt_depctr 0xfff
	v_fma_f64 v[55:56], -v[45:46], v[47:48], 1.0
	v_fma_f64 v[47:48], v[47:48], v[55:56], v[47:48]
	s_delay_alu instid0(VALU_DEP_1) | instskip(NEXT) | instid1(VALU_DEP_1)
	v_fma_f64 v[55:56], -v[45:46], v[47:48], 1.0
	v_fma_f64 v[47:48], v[47:48], v[55:56], v[47:48]
	s_delay_alu instid0(VALU_DEP_1) | instskip(NEXT) | instid1(VALU_DEP_1)
	v_mul_f64 v[55:56], v[57:58], v[47:48]
	v_fma_f64 v[45:46], -v[45:46], v[55:56], v[57:58]
	s_delay_alu instid0(VALU_DEP_1) | instskip(SKIP_2) | instid1(VALU_DEP_3)
	v_div_fmas_f64 v[45:46], v[45:46], v[47:48], v[55:56]
	v_fma_f64 v[47:48], v[27:28], v[33:34], v[25:26]
	v_fma_f64 v[33:34], -v[25:26], v[33:34], v[27:28]
	v_div_fixup_f64 v[45:46], v[45:46], v[35:36], 1.0
	s_delay_alu instid0(VALU_DEP_1) | instskip(NEXT) | instid1(VALU_DEP_3)
	v_mul_f64 v[35:36], v[47:48], v[45:46]
	v_mul_f64 v[33:34], v[33:34], v[45:46]
.LBB51_64:                              ;   in Loop: Header=BB51_4 Depth=1
	s_and_not1_saveexec_b32 s36, s7
	s_cbranch_execz .LBB51_66
; %bb.65:                               ;   in Loop: Header=BB51_4 Depth=1
	v_div_scale_f64 v[33:34], null, v[37:38], v[37:38], v[25:26]
	v_div_scale_f64 v[35:36], null, v[39:40], v[39:40], v[27:28]
	v_div_scale_f64 v[91:92], vcc_lo, v[25:26], v[37:38], v[25:26]
	s_delay_alu instid0(VALU_DEP_3) | instskip(NEXT) | instid1(VALU_DEP_2)
	v_rcp_f64_e32 v[45:46], v[33:34]
	v_rcp_f64_e32 v[47:48], v[35:36]
	s_waitcnt_depctr 0xfff
	v_fma_f64 v[55:56], -v[33:34], v[45:46], 1.0
	v_fma_f64 v[57:58], -v[35:36], v[47:48], 1.0
	s_delay_alu instid0(VALU_DEP_2) | instskip(NEXT) | instid1(VALU_DEP_2)
	v_fma_f64 v[45:46], v[45:46], v[55:56], v[45:46]
	v_fma_f64 v[47:48], v[47:48], v[57:58], v[47:48]
	s_delay_alu instid0(VALU_DEP_2) | instskip(NEXT) | instid1(VALU_DEP_2)
	v_fma_f64 v[55:56], -v[33:34], v[45:46], 1.0
	v_fma_f64 v[57:58], -v[35:36], v[47:48], 1.0
	s_delay_alu instid0(VALU_DEP_2) | instskip(SKIP_1) | instid1(VALU_DEP_3)
	v_fma_f64 v[45:46], v[45:46], v[55:56], v[45:46]
	v_div_scale_f64 v[55:56], s7, v[27:28], v[39:40], v[27:28]
	v_fma_f64 v[47:48], v[47:48], v[57:58], v[47:48]
	s_delay_alu instid0(VALU_DEP_3) | instskip(NEXT) | instid1(VALU_DEP_2)
	v_mul_f64 v[57:58], v[91:92], v[45:46]
	v_mul_f64 v[93:94], v[55:56], v[47:48]
	s_delay_alu instid0(VALU_DEP_2) | instskip(NEXT) | instid1(VALU_DEP_2)
	v_fma_f64 v[33:34], -v[33:34], v[57:58], v[91:92]
	v_fma_f64 v[35:36], -v[35:36], v[93:94], v[55:56]
	s_delay_alu instid0(VALU_DEP_2) | instskip(SKIP_1) | instid1(VALU_DEP_2)
	v_div_fmas_f64 v[33:34], v[33:34], v[45:46], v[57:58]
	s_mov_b32 vcc_lo, s7
	v_div_fmas_f64 v[45:46], v[35:36], v[47:48], v[93:94]
	s_delay_alu instid0(VALU_DEP_2) | instskip(NEXT) | instid1(VALU_DEP_2)
	v_div_fixup_f64 v[35:36], v[33:34], v[37:38], v[25:26]
	v_div_fixup_f64 v[33:34], v[45:46], v[39:40], v[27:28]
.LBB51_66:                              ;   in Loop: Header=BB51_4 Depth=1
	s_or_b32 exec_lo, exec_lo, s36
.LBB51_67:                              ;   in Loop: Header=BB51_4 Depth=1
	s_and_not1_saveexec_b32 s7, s17
	s_cbranch_execz .LBB51_69
; %bb.68:                               ;   in Loop: Header=BB51_4 Depth=1
	v_div_scale_f64 v[33:34], null, v[31:32], v[31:32], v[29:30]
	v_div_scale_f64 v[47:48], vcc_lo, v[29:30], v[31:32], v[29:30]
	s_delay_alu instid0(VALU_DEP_2) | instskip(SKIP_2) | instid1(VALU_DEP_1)
	v_rcp_f64_e32 v[35:36], v[33:34]
	s_waitcnt_depctr 0xfff
	v_fma_f64 v[45:46], -v[33:34], v[35:36], 1.0
	v_fma_f64 v[35:36], v[35:36], v[45:46], v[35:36]
	s_delay_alu instid0(VALU_DEP_1) | instskip(NEXT) | instid1(VALU_DEP_1)
	v_fma_f64 v[45:46], -v[33:34], v[35:36], 1.0
	v_fma_f64 v[35:36], v[35:36], v[45:46], v[35:36]
	s_delay_alu instid0(VALU_DEP_1) | instskip(NEXT) | instid1(VALU_DEP_1)
	v_mul_f64 v[45:46], v[47:48], v[35:36]
	v_fma_f64 v[33:34], -v[33:34], v[45:46], v[47:48]
	s_delay_alu instid0(VALU_DEP_1) | instskip(NEXT) | instid1(VALU_DEP_1)
	v_div_fmas_f64 v[33:34], v[33:34], v[35:36], v[45:46]
	v_div_fixup_f64 v[33:34], v[33:34], v[31:32], v[29:30]
	s_delay_alu instid0(VALU_DEP_1) | instskip(NEXT) | instid1(VALU_DEP_1)
	v_fma_f64 v[35:36], v[29:30], v[33:34], v[31:32]
	v_div_scale_f64 v[45:46], null, v[35:36], v[35:36], 1.0
	v_div_scale_f64 v[57:58], vcc_lo, 1.0, v[35:36], 1.0
	s_delay_alu instid0(VALU_DEP_2) | instskip(SKIP_2) | instid1(VALU_DEP_1)
	v_rcp_f64_e32 v[47:48], v[45:46]
	s_waitcnt_depctr 0xfff
	v_fma_f64 v[55:56], -v[45:46], v[47:48], 1.0
	v_fma_f64 v[47:48], v[47:48], v[55:56], v[47:48]
	s_delay_alu instid0(VALU_DEP_1) | instskip(NEXT) | instid1(VALU_DEP_1)
	v_fma_f64 v[55:56], -v[45:46], v[47:48], 1.0
	v_fma_f64 v[47:48], v[47:48], v[55:56], v[47:48]
	s_delay_alu instid0(VALU_DEP_1) | instskip(NEXT) | instid1(VALU_DEP_1)
	v_mul_f64 v[55:56], v[57:58], v[47:48]
	v_fma_f64 v[45:46], -v[45:46], v[55:56], v[57:58]
	s_delay_alu instid0(VALU_DEP_1) | instskip(SKIP_2) | instid1(VALU_DEP_3)
	v_div_fmas_f64 v[45:46], v[45:46], v[47:48], v[55:56]
	v_fma_f64 v[47:48], v[25:26], v[33:34], v[27:28]
	v_fma_f64 v[33:34], v[27:28], v[33:34], -v[25:26]
	v_div_fixup_f64 v[45:46], v[45:46], v[35:36], 1.0
	s_delay_alu instid0(VALU_DEP_1) | instskip(NEXT) | instid1(VALU_DEP_3)
	v_mul_f64 v[35:36], v[47:48], v[45:46]
	v_mul_f64 v[33:34], v[33:34], v[45:46]
.LBB51_69:                              ;   in Loop: Header=BB51_4 Depth=1
	s_or_b32 exec_lo, exec_lo, s7
	s_delay_alu instid0(VALU_DEP_1) | instskip(SKIP_1) | instid1(VALU_DEP_2)
	v_mul_f64 v[45:46], s[10:11], v[33:34]
	v_mul_f64 v[47:48], s[8:9], v[33:34]
	v_fma_f64 v[33:34], s[8:9], v[35:36], -v[45:46]
	s_delay_alu instid0(VALU_DEP_2)
	v_fma_f64 v[35:36], s[10:11], v[35:36], v[47:48]
	s_branch .LBB51_80
.LBB51_70:                              ;   in Loop: Header=BB51_4 Depth=1
                                        ; implicit-def: $vgpr35_vgpr36
                                        ; implicit-def: $vgpr33_vgpr34
	s_cbranch_execz .LBB51_80
; %bb.71:                               ;   in Loop: Header=BB51_4 Depth=1
                                        ; implicit-def: $vgpr35_vgpr36
                                        ; implicit-def: $vgpr33_vgpr34
	s_delay_alu instid0(VALU_DEP_1) | instskip(NEXT) | instid1(SALU_CYCLE_1)
	s_and_saveexec_b32 s7, s6
	s_xor_b32 s7, exec_lo, s7
	s_cbranch_execz .LBB51_77
; %bb.72:                               ;   in Loop: Header=BB51_4 Depth=1
	v_cmp_neq_f64_e32 vcc_lo, 0, v[29:30]
	v_cmp_neq_f64_e64 s6, 0, v[31:32]
                                        ; implicit-def: $vgpr35_vgpr36
                                        ; implicit-def: $vgpr33_vgpr34
	s_delay_alu instid0(VALU_DEP_1) | instskip(NEXT) | instid1(SALU_CYCLE_1)
	s_or_b32 s6, s6, vcc_lo
	s_and_saveexec_b32 s17, s6
	s_delay_alu instid0(SALU_CYCLE_1)
	s_xor_b32 s6, exec_lo, s17
	s_cbranch_execz .LBB51_74
; %bb.73:                               ;   in Loop: Header=BB51_4 Depth=1
	v_div_scale_f64 v[33:34], null, v[29:30], v[29:30], v[31:32]
	v_div_scale_f64 v[39:40], vcc_lo, v[31:32], v[29:30], v[31:32]
	s_delay_alu instid0(VALU_DEP_2) | instskip(SKIP_2) | instid1(VALU_DEP_1)
	v_rcp_f64_e32 v[35:36], v[33:34]
	s_waitcnt_depctr 0xfff
	v_fma_f64 v[37:38], -v[33:34], v[35:36], 1.0
	v_fma_f64 v[35:36], v[35:36], v[37:38], v[35:36]
	s_delay_alu instid0(VALU_DEP_1) | instskip(NEXT) | instid1(VALU_DEP_1)
	v_fma_f64 v[37:38], -v[33:34], v[35:36], 1.0
	v_fma_f64 v[35:36], v[35:36], v[37:38], v[35:36]
	s_delay_alu instid0(VALU_DEP_1) | instskip(NEXT) | instid1(VALU_DEP_1)
	v_mul_f64 v[37:38], v[39:40], v[35:36]
	v_fma_f64 v[33:34], -v[33:34], v[37:38], v[39:40]
	s_delay_alu instid0(VALU_DEP_1) | instskip(NEXT) | instid1(VALU_DEP_1)
	v_div_fmas_f64 v[33:34], v[33:34], v[35:36], v[37:38]
	v_div_fixup_f64 v[33:34], v[33:34], v[29:30], v[31:32]
	s_delay_alu instid0(VALU_DEP_1) | instskip(NEXT) | instid1(VALU_DEP_1)
	v_fma_f64 v[29:30], v[31:32], v[33:34], v[29:30]
	v_div_scale_f64 v[31:32], null, v[29:30], v[29:30], 1.0
	v_div_scale_f64 v[39:40], vcc_lo, 1.0, v[29:30], 1.0
	s_delay_alu instid0(VALU_DEP_2) | instskip(SKIP_2) | instid1(VALU_DEP_1)
	v_rcp_f64_e32 v[35:36], v[31:32]
	s_waitcnt_depctr 0xfff
	v_fma_f64 v[37:38], -v[31:32], v[35:36], 1.0
	v_fma_f64 v[35:36], v[35:36], v[37:38], v[35:36]
	s_delay_alu instid0(VALU_DEP_1) | instskip(NEXT) | instid1(VALU_DEP_1)
	v_fma_f64 v[37:38], -v[31:32], v[35:36], 1.0
	v_fma_f64 v[35:36], v[35:36], v[37:38], v[35:36]
	s_delay_alu instid0(VALU_DEP_1) | instskip(NEXT) | instid1(VALU_DEP_1)
	v_mul_f64 v[37:38], v[39:40], v[35:36]
	v_fma_f64 v[31:32], -v[31:32], v[37:38], v[39:40]
                                        ; implicit-def: $vgpr39_vgpr40
	s_delay_alu instid0(VALU_DEP_1) | instskip(SKIP_2) | instid1(VALU_DEP_3)
	v_div_fmas_f64 v[31:32], v[31:32], v[35:36], v[37:38]
	v_fma_f64 v[35:36], v[27:28], v[33:34], v[25:26]
	v_fma_f64 v[25:26], -v[25:26], v[33:34], v[27:28]
                                        ; implicit-def: $vgpr37_vgpr38
	v_div_fixup_f64 v[29:30], v[31:32], v[29:30], 1.0
	s_delay_alu instid0(VALU_DEP_1) | instskip(NEXT) | instid1(VALU_DEP_3)
	v_mul_f64 v[33:34], v[35:36], v[29:30]
	v_mul_f64 v[35:36], v[25:26], v[29:30]
                                        ; implicit-def: $vgpr25_vgpr26
.LBB51_74:                              ;   in Loop: Header=BB51_4 Depth=1
	s_and_not1_saveexec_b32 s17, s6
	s_cbranch_execz .LBB51_76
; %bb.75:                               ;   in Loop: Header=BB51_4 Depth=1
	v_div_scale_f64 v[29:30], null, v[37:38], v[37:38], v[25:26]
	v_div_scale_f64 v[31:32], null, v[39:40], v[39:40], v[27:28]
	v_div_scale_f64 v[55:56], vcc_lo, v[25:26], v[37:38], v[25:26]
	s_delay_alu instid0(VALU_DEP_3) | instskip(NEXT) | instid1(VALU_DEP_2)
	v_rcp_f64_e32 v[33:34], v[29:30]
	v_rcp_f64_e32 v[35:36], v[31:32]
	s_waitcnt_depctr 0xfff
	v_fma_f64 v[45:46], -v[29:30], v[33:34], 1.0
	v_fma_f64 v[47:48], -v[31:32], v[35:36], 1.0
	s_delay_alu instid0(VALU_DEP_2) | instskip(NEXT) | instid1(VALU_DEP_2)
	v_fma_f64 v[33:34], v[33:34], v[45:46], v[33:34]
	v_fma_f64 v[35:36], v[35:36], v[47:48], v[35:36]
	s_delay_alu instid0(VALU_DEP_2) | instskip(NEXT) | instid1(VALU_DEP_2)
	v_fma_f64 v[45:46], -v[29:30], v[33:34], 1.0
	v_fma_f64 v[47:48], -v[31:32], v[35:36], 1.0
	s_delay_alu instid0(VALU_DEP_2) | instskip(SKIP_1) | instid1(VALU_DEP_3)
	v_fma_f64 v[33:34], v[33:34], v[45:46], v[33:34]
	v_div_scale_f64 v[45:46], s6, v[27:28], v[39:40], v[27:28]
	v_fma_f64 v[35:36], v[35:36], v[47:48], v[35:36]
	s_delay_alu instid0(VALU_DEP_3) | instskip(NEXT) | instid1(VALU_DEP_2)
	v_mul_f64 v[47:48], v[55:56], v[33:34]
	v_mul_f64 v[57:58], v[45:46], v[35:36]
	s_delay_alu instid0(VALU_DEP_2) | instskip(NEXT) | instid1(VALU_DEP_2)
	v_fma_f64 v[29:30], -v[29:30], v[47:48], v[55:56]
	v_fma_f64 v[31:32], -v[31:32], v[57:58], v[45:46]
	s_delay_alu instid0(VALU_DEP_2) | instskip(SKIP_1) | instid1(VALU_DEP_2)
	v_div_fmas_f64 v[29:30], v[29:30], v[33:34], v[47:48]
	s_mov_b32 vcc_lo, s6
	v_div_fmas_f64 v[31:32], v[31:32], v[35:36], v[57:58]
	s_delay_alu instid0(VALU_DEP_2) | instskip(NEXT) | instid1(VALU_DEP_2)
	v_div_fixup_f64 v[33:34], v[29:30], v[37:38], v[25:26]
	v_div_fixup_f64 v[35:36], v[31:32], v[39:40], v[27:28]
.LBB51_76:                              ;   in Loop: Header=BB51_4 Depth=1
	s_or_b32 exec_lo, exec_lo, s17
                                        ; implicit-def: $vgpr31_vgpr32
                                        ; implicit-def: $vgpr25_vgpr26
.LBB51_77:                              ;   in Loop: Header=BB51_4 Depth=1
	s_and_not1_saveexec_b32 s6, s7
	s_cbranch_execz .LBB51_79
; %bb.78:                               ;   in Loop: Header=BB51_4 Depth=1
	v_div_scale_f64 v[33:34], null, v[31:32], v[31:32], v[29:30]
	v_div_scale_f64 v[39:40], vcc_lo, v[29:30], v[31:32], v[29:30]
	s_delay_alu instid0(VALU_DEP_2) | instskip(SKIP_2) | instid1(VALU_DEP_1)
	v_rcp_f64_e32 v[35:36], v[33:34]
	s_waitcnt_depctr 0xfff
	v_fma_f64 v[37:38], -v[33:34], v[35:36], 1.0
	v_fma_f64 v[35:36], v[35:36], v[37:38], v[35:36]
	s_delay_alu instid0(VALU_DEP_1) | instskip(NEXT) | instid1(VALU_DEP_1)
	v_fma_f64 v[37:38], -v[33:34], v[35:36], 1.0
	v_fma_f64 v[35:36], v[35:36], v[37:38], v[35:36]
	s_delay_alu instid0(VALU_DEP_1) | instskip(NEXT) | instid1(VALU_DEP_1)
	v_mul_f64 v[37:38], v[39:40], v[35:36]
	v_fma_f64 v[33:34], -v[33:34], v[37:38], v[39:40]
	s_delay_alu instid0(VALU_DEP_1) | instskip(NEXT) | instid1(VALU_DEP_1)
	v_div_fmas_f64 v[33:34], v[33:34], v[35:36], v[37:38]
	v_div_fixup_f64 v[33:34], v[33:34], v[31:32], v[29:30]
	s_delay_alu instid0(VALU_DEP_1) | instskip(NEXT) | instid1(VALU_DEP_1)
	v_fma_f64 v[29:30], v[29:30], v[33:34], v[31:32]
	v_div_scale_f64 v[31:32], null, v[29:30], v[29:30], 1.0
	v_div_scale_f64 v[39:40], vcc_lo, 1.0, v[29:30], 1.0
	s_delay_alu instid0(VALU_DEP_2) | instskip(SKIP_2) | instid1(VALU_DEP_1)
	v_rcp_f64_e32 v[35:36], v[31:32]
	s_waitcnt_depctr 0xfff
	v_fma_f64 v[37:38], -v[31:32], v[35:36], 1.0
	v_fma_f64 v[35:36], v[35:36], v[37:38], v[35:36]
	s_delay_alu instid0(VALU_DEP_1) | instskip(NEXT) | instid1(VALU_DEP_1)
	v_fma_f64 v[37:38], -v[31:32], v[35:36], 1.0
	v_fma_f64 v[35:36], v[35:36], v[37:38], v[35:36]
	s_delay_alu instid0(VALU_DEP_1) | instskip(NEXT) | instid1(VALU_DEP_1)
	v_mul_f64 v[37:38], v[39:40], v[35:36]
	v_fma_f64 v[31:32], -v[31:32], v[37:38], v[39:40]
	s_delay_alu instid0(VALU_DEP_1) | instskip(SKIP_2) | instid1(VALU_DEP_3)
	v_div_fmas_f64 v[31:32], v[31:32], v[35:36], v[37:38]
	v_fma_f64 v[35:36], v[25:26], v[33:34], v[27:28]
	v_fma_f64 v[25:26], v[27:28], v[33:34], -v[25:26]
	v_div_fixup_f64 v[29:30], v[31:32], v[29:30], 1.0
	s_delay_alu instid0(VALU_DEP_1) | instskip(NEXT) | instid1(VALU_DEP_3)
	v_mul_f64 v[33:34], v[35:36], v[29:30]
	v_mul_f64 v[35:36], v[25:26], v[29:30]
.LBB51_79:                              ;   in Loop: Header=BB51_4 Depth=1
	s_or_b32 exec_lo, exec_lo, s6
.LBB51_80:                              ;   in Loop: Header=BB51_4 Depth=1
	v_cmp_gt_f64_e32 vcc_lo, 0, v[21:22]
	v_cmp_gt_f64_e64 s6, 0, v[23:24]
	v_xor_b32_e32 v25, 0x80000000, v22
	v_xor_b32_e32 v27, 0x80000000, v24
	s_delay_alu instid0(VALU_DEP_2) | instskip(NEXT) | instid1(VALU_DEP_2)
	v_cndmask_b32_e32 v26, v22, v25, vcc_lo
	v_cndmask_b32_e64 v28, v24, v27, s6
	v_cndmask_b32_e32 v25, v21, v21, vcc_lo
	v_cndmask_b32_e64 v27, v23, v23, s6
	s_and_not1_b32 vcc_lo, exec_lo, s34
	s_delay_alu instid0(VALU_DEP_1)
	v_cmp_ge_f64_e64 s6, v[25:26], v[27:28]
	s_cbranch_vccnz .LBB51_90
; %bb.81:                               ;   in Loop: Header=BB51_4 Depth=1
                                        ; implicit-def: $vgpr29_vgpr30
                                        ; implicit-def: $vgpr31_vgpr32
	s_delay_alu instid0(VALU_DEP_1) | instskip(NEXT) | instid1(SALU_CYCLE_1)
	s_and_saveexec_b32 s7, s6
	s_xor_b32 s17, exec_lo, s7
	s_cbranch_execz .LBB51_87
; %bb.82:                               ;   in Loop: Header=BB51_4 Depth=1
	v_cmp_neq_f64_e32 vcc_lo, 0, v[21:22]
	v_cmp_neq_f64_e64 s7, 0, v[23:24]
                                        ; implicit-def: $vgpr29_vgpr30
                                        ; implicit-def: $vgpr31_vgpr32
	s_delay_alu instid0(VALU_DEP_1) | instskip(NEXT) | instid1(SALU_CYCLE_1)
	s_or_b32 s7, s7, vcc_lo
	s_and_saveexec_b32 s36, s7
	s_delay_alu instid0(SALU_CYCLE_1)
	s_xor_b32 s7, exec_lo, s36
	s_cbranch_execz .LBB51_84
; %bb.83:                               ;   in Loop: Header=BB51_4 Depth=1
	v_div_scale_f64 v[29:30], null, v[21:22], v[21:22], v[23:24]
	v_div_scale_f64 v[39:40], vcc_lo, v[23:24], v[21:22], v[23:24]
	s_delay_alu instid0(VALU_DEP_2) | instskip(SKIP_2) | instid1(VALU_DEP_1)
	v_rcp_f64_e32 v[31:32], v[29:30]
	s_waitcnt_depctr 0xfff
	v_fma_f64 v[37:38], -v[29:30], v[31:32], 1.0
	v_fma_f64 v[31:32], v[31:32], v[37:38], v[31:32]
	s_delay_alu instid0(VALU_DEP_1) | instskip(NEXT) | instid1(VALU_DEP_1)
	v_fma_f64 v[37:38], -v[29:30], v[31:32], 1.0
	v_fma_f64 v[31:32], v[31:32], v[37:38], v[31:32]
	s_delay_alu instid0(VALU_DEP_1) | instskip(NEXT) | instid1(VALU_DEP_1)
	v_mul_f64 v[37:38], v[39:40], v[31:32]
	v_fma_f64 v[29:30], -v[29:30], v[37:38], v[39:40]
	s_delay_alu instid0(VALU_DEP_1) | instskip(NEXT) | instid1(VALU_DEP_1)
	v_div_fmas_f64 v[29:30], v[29:30], v[31:32], v[37:38]
	v_div_fixup_f64 v[29:30], v[29:30], v[21:22], v[23:24]
	s_delay_alu instid0(VALU_DEP_1) | instskip(NEXT) | instid1(VALU_DEP_1)
	v_fma_f64 v[31:32], v[23:24], v[29:30], v[21:22]
	v_div_scale_f64 v[37:38], null, v[31:32], v[31:32], 1.0
	v_div_scale_f64 v[47:48], vcc_lo, 1.0, v[31:32], 1.0
	s_delay_alu instid0(VALU_DEP_2) | instskip(SKIP_2) | instid1(VALU_DEP_1)
	v_rcp_f64_e32 v[39:40], v[37:38]
	s_waitcnt_depctr 0xfff
	v_fma_f64 v[45:46], -v[37:38], v[39:40], 1.0
	v_fma_f64 v[39:40], v[39:40], v[45:46], v[39:40]
	s_delay_alu instid0(VALU_DEP_1) | instskip(NEXT) | instid1(VALU_DEP_1)
	v_fma_f64 v[45:46], -v[37:38], v[39:40], 1.0
	v_fma_f64 v[39:40], v[39:40], v[45:46], v[39:40]
	s_delay_alu instid0(VALU_DEP_1) | instskip(NEXT) | instid1(VALU_DEP_1)
	v_mul_f64 v[45:46], v[47:48], v[39:40]
	v_fma_f64 v[37:38], -v[37:38], v[45:46], v[47:48]
	s_delay_alu instid0(VALU_DEP_1) | instskip(SKIP_2) | instid1(VALU_DEP_3)
	v_div_fmas_f64 v[37:38], v[37:38], v[39:40], v[45:46]
	v_fma_f64 v[39:40], v[19:20], v[29:30], v[17:18]
	v_fma_f64 v[29:30], -v[17:18], v[29:30], v[19:20]
	v_div_fixup_f64 v[37:38], v[37:38], v[31:32], 1.0
	s_delay_alu instid0(VALU_DEP_1) | instskip(NEXT) | instid1(VALU_DEP_3)
	v_mul_f64 v[31:32], v[39:40], v[37:38]
	v_mul_f64 v[29:30], v[29:30], v[37:38]
.LBB51_84:                              ;   in Loop: Header=BB51_4 Depth=1
	s_and_not1_saveexec_b32 s36, s7
	s_cbranch_execz .LBB51_86
; %bb.85:                               ;   in Loop: Header=BB51_4 Depth=1
	v_div_scale_f64 v[29:30], null, v[25:26], v[25:26], v[17:18]
	v_div_scale_f64 v[31:32], null, v[27:28], v[27:28], v[19:20]
	v_div_scale_f64 v[55:56], vcc_lo, v[17:18], v[25:26], v[17:18]
	s_delay_alu instid0(VALU_DEP_3) | instskip(NEXT) | instid1(VALU_DEP_2)
	v_rcp_f64_e32 v[37:38], v[29:30]
	v_rcp_f64_e32 v[39:40], v[31:32]
	s_waitcnt_depctr 0xfff
	v_fma_f64 v[45:46], -v[29:30], v[37:38], 1.0
	v_fma_f64 v[47:48], -v[31:32], v[39:40], 1.0
	s_delay_alu instid0(VALU_DEP_2) | instskip(NEXT) | instid1(VALU_DEP_2)
	v_fma_f64 v[37:38], v[37:38], v[45:46], v[37:38]
	v_fma_f64 v[39:40], v[39:40], v[47:48], v[39:40]
	s_delay_alu instid0(VALU_DEP_2) | instskip(NEXT) | instid1(VALU_DEP_2)
	v_fma_f64 v[45:46], -v[29:30], v[37:38], 1.0
	v_fma_f64 v[47:48], -v[31:32], v[39:40], 1.0
	s_delay_alu instid0(VALU_DEP_2) | instskip(SKIP_1) | instid1(VALU_DEP_3)
	v_fma_f64 v[37:38], v[37:38], v[45:46], v[37:38]
	v_div_scale_f64 v[45:46], s7, v[19:20], v[27:28], v[19:20]
	v_fma_f64 v[39:40], v[39:40], v[47:48], v[39:40]
	s_delay_alu instid0(VALU_DEP_3) | instskip(NEXT) | instid1(VALU_DEP_2)
	v_mul_f64 v[47:48], v[55:56], v[37:38]
	v_mul_f64 v[57:58], v[45:46], v[39:40]
	s_delay_alu instid0(VALU_DEP_2) | instskip(NEXT) | instid1(VALU_DEP_2)
	v_fma_f64 v[29:30], -v[29:30], v[47:48], v[55:56]
	v_fma_f64 v[31:32], -v[31:32], v[57:58], v[45:46]
	s_delay_alu instid0(VALU_DEP_2) | instskip(SKIP_1) | instid1(VALU_DEP_2)
	v_div_fmas_f64 v[29:30], v[29:30], v[37:38], v[47:48]
	s_mov_b32 vcc_lo, s7
	v_div_fmas_f64 v[37:38], v[31:32], v[39:40], v[57:58]
	s_delay_alu instid0(VALU_DEP_2) | instskip(NEXT) | instid1(VALU_DEP_2)
	v_div_fixup_f64 v[31:32], v[29:30], v[25:26], v[17:18]
	v_div_fixup_f64 v[29:30], v[37:38], v[27:28], v[19:20]
.LBB51_86:                              ;   in Loop: Header=BB51_4 Depth=1
	s_or_b32 exec_lo, exec_lo, s36
.LBB51_87:                              ;   in Loop: Header=BB51_4 Depth=1
	s_and_not1_saveexec_b32 s7, s17
	s_cbranch_execz .LBB51_89
; %bb.88:                               ;   in Loop: Header=BB51_4 Depth=1
	v_div_scale_f64 v[29:30], null, v[23:24], v[23:24], v[21:22]
	v_div_scale_f64 v[39:40], vcc_lo, v[21:22], v[23:24], v[21:22]
	s_delay_alu instid0(VALU_DEP_2) | instskip(SKIP_2) | instid1(VALU_DEP_1)
	v_rcp_f64_e32 v[31:32], v[29:30]
	s_waitcnt_depctr 0xfff
	v_fma_f64 v[37:38], -v[29:30], v[31:32], 1.0
	v_fma_f64 v[31:32], v[31:32], v[37:38], v[31:32]
	s_delay_alu instid0(VALU_DEP_1) | instskip(NEXT) | instid1(VALU_DEP_1)
	v_fma_f64 v[37:38], -v[29:30], v[31:32], 1.0
	v_fma_f64 v[31:32], v[31:32], v[37:38], v[31:32]
	s_delay_alu instid0(VALU_DEP_1) | instskip(NEXT) | instid1(VALU_DEP_1)
	v_mul_f64 v[37:38], v[39:40], v[31:32]
	v_fma_f64 v[29:30], -v[29:30], v[37:38], v[39:40]
	s_delay_alu instid0(VALU_DEP_1) | instskip(NEXT) | instid1(VALU_DEP_1)
	v_div_fmas_f64 v[29:30], v[29:30], v[31:32], v[37:38]
	v_div_fixup_f64 v[29:30], v[29:30], v[23:24], v[21:22]
	s_delay_alu instid0(VALU_DEP_1) | instskip(NEXT) | instid1(VALU_DEP_1)
	v_fma_f64 v[31:32], v[21:22], v[29:30], v[23:24]
	v_div_scale_f64 v[37:38], null, v[31:32], v[31:32], 1.0
	v_div_scale_f64 v[47:48], vcc_lo, 1.0, v[31:32], 1.0
	s_delay_alu instid0(VALU_DEP_2) | instskip(SKIP_2) | instid1(VALU_DEP_1)
	v_rcp_f64_e32 v[39:40], v[37:38]
	s_waitcnt_depctr 0xfff
	v_fma_f64 v[45:46], -v[37:38], v[39:40], 1.0
	v_fma_f64 v[39:40], v[39:40], v[45:46], v[39:40]
	s_delay_alu instid0(VALU_DEP_1) | instskip(NEXT) | instid1(VALU_DEP_1)
	v_fma_f64 v[45:46], -v[37:38], v[39:40], 1.0
	v_fma_f64 v[39:40], v[39:40], v[45:46], v[39:40]
	s_delay_alu instid0(VALU_DEP_1) | instskip(NEXT) | instid1(VALU_DEP_1)
	v_mul_f64 v[45:46], v[47:48], v[39:40]
	v_fma_f64 v[37:38], -v[37:38], v[45:46], v[47:48]
	s_delay_alu instid0(VALU_DEP_1) | instskip(SKIP_2) | instid1(VALU_DEP_3)
	v_div_fmas_f64 v[37:38], v[37:38], v[39:40], v[45:46]
	v_fma_f64 v[39:40], v[17:18], v[29:30], v[19:20]
	v_fma_f64 v[29:30], v[19:20], v[29:30], -v[17:18]
	v_div_fixup_f64 v[37:38], v[37:38], v[31:32], 1.0
	s_delay_alu instid0(VALU_DEP_1) | instskip(NEXT) | instid1(VALU_DEP_3)
	v_mul_f64 v[31:32], v[39:40], v[37:38]
	v_mul_f64 v[29:30], v[29:30], v[37:38]
.LBB51_89:                              ;   in Loop: Header=BB51_4 Depth=1
	s_or_b32 exec_lo, exec_lo, s7
	s_delay_alu instid0(VALU_DEP_1) | instskip(SKIP_1) | instid1(VALU_DEP_2)
	v_mul_f64 v[37:38], s[10:11], v[29:30]
	v_mul_f64 v[39:40], s[8:9], v[29:30]
	v_fma_f64 v[29:30], s[8:9], v[31:32], -v[37:38]
	s_delay_alu instid0(VALU_DEP_2)
	v_fma_f64 v[31:32], s[10:11], v[31:32], v[39:40]
	s_branch .LBB51_100
.LBB51_90:                              ;   in Loop: Header=BB51_4 Depth=1
                                        ; implicit-def: $vgpr31_vgpr32
                                        ; implicit-def: $vgpr29_vgpr30
	s_cbranch_execz .LBB51_100
; %bb.91:                               ;   in Loop: Header=BB51_4 Depth=1
                                        ; implicit-def: $vgpr31_vgpr32
                                        ; implicit-def: $vgpr29_vgpr30
	s_delay_alu instid0(VALU_DEP_1) | instskip(NEXT) | instid1(SALU_CYCLE_1)
	s_and_saveexec_b32 s7, s6
	s_xor_b32 s7, exec_lo, s7
	s_cbranch_execz .LBB51_97
; %bb.92:                               ;   in Loop: Header=BB51_4 Depth=1
	v_cmp_neq_f64_e32 vcc_lo, 0, v[21:22]
	v_cmp_neq_f64_e64 s6, 0, v[23:24]
                                        ; implicit-def: $vgpr31_vgpr32
                                        ; implicit-def: $vgpr29_vgpr30
	s_delay_alu instid0(VALU_DEP_1) | instskip(NEXT) | instid1(SALU_CYCLE_1)
	s_or_b32 s6, s6, vcc_lo
	s_and_saveexec_b32 s17, s6
	s_delay_alu instid0(SALU_CYCLE_1)
	s_xor_b32 s6, exec_lo, s17
	s_cbranch_execz .LBB51_94
; %bb.93:                               ;   in Loop: Header=BB51_4 Depth=1
	v_div_scale_f64 v[25:26], null, v[21:22], v[21:22], v[23:24]
	v_div_scale_f64 v[31:32], vcc_lo, v[23:24], v[21:22], v[23:24]
	s_delay_alu instid0(VALU_DEP_2) | instskip(SKIP_2) | instid1(VALU_DEP_1)
	v_rcp_f64_e32 v[27:28], v[25:26]
	s_waitcnt_depctr 0xfff
	v_fma_f64 v[29:30], -v[25:26], v[27:28], 1.0
	v_fma_f64 v[27:28], v[27:28], v[29:30], v[27:28]
	s_delay_alu instid0(VALU_DEP_1) | instskip(NEXT) | instid1(VALU_DEP_1)
	v_fma_f64 v[29:30], -v[25:26], v[27:28], 1.0
	v_fma_f64 v[27:28], v[27:28], v[29:30], v[27:28]
	s_delay_alu instid0(VALU_DEP_1) | instskip(NEXT) | instid1(VALU_DEP_1)
	v_mul_f64 v[29:30], v[31:32], v[27:28]
	v_fma_f64 v[25:26], -v[25:26], v[29:30], v[31:32]
	s_delay_alu instid0(VALU_DEP_1) | instskip(NEXT) | instid1(VALU_DEP_1)
	v_div_fmas_f64 v[25:26], v[25:26], v[27:28], v[29:30]
	v_div_fixup_f64 v[25:26], v[25:26], v[21:22], v[23:24]
	s_delay_alu instid0(VALU_DEP_1) | instskip(NEXT) | instid1(VALU_DEP_1)
	v_fma_f64 v[21:22], v[23:24], v[25:26], v[21:22]
	v_div_scale_f64 v[23:24], null, v[21:22], v[21:22], 1.0
	v_div_scale_f64 v[31:32], vcc_lo, 1.0, v[21:22], 1.0
	s_delay_alu instid0(VALU_DEP_2) | instskip(SKIP_2) | instid1(VALU_DEP_1)
	v_rcp_f64_e32 v[27:28], v[23:24]
	s_waitcnt_depctr 0xfff
	v_fma_f64 v[29:30], -v[23:24], v[27:28], 1.0
	v_fma_f64 v[27:28], v[27:28], v[29:30], v[27:28]
	s_delay_alu instid0(VALU_DEP_1) | instskip(NEXT) | instid1(VALU_DEP_1)
	v_fma_f64 v[29:30], -v[23:24], v[27:28], 1.0
	v_fma_f64 v[27:28], v[27:28], v[29:30], v[27:28]
	s_delay_alu instid0(VALU_DEP_1) | instskip(NEXT) | instid1(VALU_DEP_1)
	v_mul_f64 v[29:30], v[31:32], v[27:28]
	v_fma_f64 v[23:24], -v[23:24], v[29:30], v[31:32]
	s_delay_alu instid0(VALU_DEP_1) | instskip(SKIP_2) | instid1(VALU_DEP_3)
	v_div_fmas_f64 v[23:24], v[23:24], v[27:28], v[29:30]
	v_fma_f64 v[27:28], v[19:20], v[25:26], v[17:18]
	v_fma_f64 v[17:18], -v[17:18], v[25:26], v[19:20]
                                        ; implicit-def: $vgpr25_vgpr26
	v_div_fixup_f64 v[21:22], v[23:24], v[21:22], 1.0
	s_delay_alu instid0(VALU_DEP_1) | instskip(NEXT) | instid1(VALU_DEP_3)
	v_mul_f64 v[29:30], v[27:28], v[21:22]
	v_mul_f64 v[31:32], v[17:18], v[21:22]
                                        ; implicit-def: $vgpr17_vgpr18
                                        ; implicit-def: $vgpr27_vgpr28
.LBB51_94:                              ;   in Loop: Header=BB51_4 Depth=1
	s_and_not1_saveexec_b32 s17, s6
	s_cbranch_execz .LBB51_96
; %bb.95:                               ;   in Loop: Header=BB51_4 Depth=1
	v_div_scale_f64 v[21:22], null, v[25:26], v[25:26], v[17:18]
	v_div_scale_f64 v[23:24], null, v[27:28], v[27:28], v[19:20]
	v_div_scale_f64 v[45:46], vcc_lo, v[17:18], v[25:26], v[17:18]
	s_delay_alu instid0(VALU_DEP_3) | instskip(NEXT) | instid1(VALU_DEP_2)
	v_rcp_f64_e32 v[29:30], v[21:22]
	v_rcp_f64_e32 v[31:32], v[23:24]
	s_waitcnt_depctr 0xfff
	v_fma_f64 v[37:38], -v[21:22], v[29:30], 1.0
	v_fma_f64 v[39:40], -v[23:24], v[31:32], 1.0
	s_delay_alu instid0(VALU_DEP_2) | instskip(NEXT) | instid1(VALU_DEP_2)
	v_fma_f64 v[29:30], v[29:30], v[37:38], v[29:30]
	v_fma_f64 v[31:32], v[31:32], v[39:40], v[31:32]
	s_delay_alu instid0(VALU_DEP_2) | instskip(NEXT) | instid1(VALU_DEP_2)
	v_fma_f64 v[37:38], -v[21:22], v[29:30], 1.0
	v_fma_f64 v[39:40], -v[23:24], v[31:32], 1.0
	s_delay_alu instid0(VALU_DEP_2) | instskip(SKIP_1) | instid1(VALU_DEP_3)
	v_fma_f64 v[29:30], v[29:30], v[37:38], v[29:30]
	v_div_scale_f64 v[37:38], s6, v[19:20], v[27:28], v[19:20]
	v_fma_f64 v[31:32], v[31:32], v[39:40], v[31:32]
	s_delay_alu instid0(VALU_DEP_3) | instskip(NEXT) | instid1(VALU_DEP_2)
	v_mul_f64 v[39:40], v[45:46], v[29:30]
	v_mul_f64 v[47:48], v[37:38], v[31:32]
	s_delay_alu instid0(VALU_DEP_2) | instskip(NEXT) | instid1(VALU_DEP_2)
	v_fma_f64 v[21:22], -v[21:22], v[39:40], v[45:46]
	v_fma_f64 v[23:24], -v[23:24], v[47:48], v[37:38]
	s_delay_alu instid0(VALU_DEP_2) | instskip(SKIP_1) | instid1(VALU_DEP_2)
	v_div_fmas_f64 v[21:22], v[21:22], v[29:30], v[39:40]
	s_mov_b32 vcc_lo, s6
	v_div_fmas_f64 v[23:24], v[23:24], v[31:32], v[47:48]
	s_delay_alu instid0(VALU_DEP_2) | instskip(NEXT) | instid1(VALU_DEP_2)
	v_div_fixup_f64 v[29:30], v[21:22], v[25:26], v[17:18]
	v_div_fixup_f64 v[31:32], v[23:24], v[27:28], v[19:20]
.LBB51_96:                              ;   in Loop: Header=BB51_4 Depth=1
	s_or_b32 exec_lo, exec_lo, s17
                                        ; implicit-def: $vgpr23_vgpr24
                                        ; implicit-def: $vgpr17_vgpr18
.LBB51_97:                              ;   in Loop: Header=BB51_4 Depth=1
	s_and_not1_saveexec_b32 s6, s7
	s_cbranch_execz .LBB51_99
; %bb.98:                               ;   in Loop: Header=BB51_4 Depth=1
	v_div_scale_f64 v[25:26], null, v[23:24], v[23:24], v[21:22]
	v_div_scale_f64 v[31:32], vcc_lo, v[21:22], v[23:24], v[21:22]
	s_delay_alu instid0(VALU_DEP_2) | instskip(SKIP_2) | instid1(VALU_DEP_1)
	v_rcp_f64_e32 v[27:28], v[25:26]
	s_waitcnt_depctr 0xfff
	v_fma_f64 v[29:30], -v[25:26], v[27:28], 1.0
	v_fma_f64 v[27:28], v[27:28], v[29:30], v[27:28]
	s_delay_alu instid0(VALU_DEP_1) | instskip(NEXT) | instid1(VALU_DEP_1)
	v_fma_f64 v[29:30], -v[25:26], v[27:28], 1.0
	v_fma_f64 v[27:28], v[27:28], v[29:30], v[27:28]
	s_delay_alu instid0(VALU_DEP_1) | instskip(NEXT) | instid1(VALU_DEP_1)
	v_mul_f64 v[29:30], v[31:32], v[27:28]
	v_fma_f64 v[25:26], -v[25:26], v[29:30], v[31:32]
	s_delay_alu instid0(VALU_DEP_1) | instskip(NEXT) | instid1(VALU_DEP_1)
	v_div_fmas_f64 v[25:26], v[25:26], v[27:28], v[29:30]
	v_div_fixup_f64 v[25:26], v[25:26], v[23:24], v[21:22]
	s_delay_alu instid0(VALU_DEP_1) | instskip(NEXT) | instid1(VALU_DEP_1)
	v_fma_f64 v[21:22], v[21:22], v[25:26], v[23:24]
	v_div_scale_f64 v[23:24], null, v[21:22], v[21:22], 1.0
	v_div_scale_f64 v[31:32], vcc_lo, 1.0, v[21:22], 1.0
	s_delay_alu instid0(VALU_DEP_2) | instskip(SKIP_2) | instid1(VALU_DEP_1)
	v_rcp_f64_e32 v[27:28], v[23:24]
	s_waitcnt_depctr 0xfff
	v_fma_f64 v[29:30], -v[23:24], v[27:28], 1.0
	v_fma_f64 v[27:28], v[27:28], v[29:30], v[27:28]
	s_delay_alu instid0(VALU_DEP_1) | instskip(NEXT) | instid1(VALU_DEP_1)
	v_fma_f64 v[29:30], -v[23:24], v[27:28], 1.0
	v_fma_f64 v[27:28], v[27:28], v[29:30], v[27:28]
	s_delay_alu instid0(VALU_DEP_1) | instskip(NEXT) | instid1(VALU_DEP_1)
	v_mul_f64 v[29:30], v[31:32], v[27:28]
	v_fma_f64 v[23:24], -v[23:24], v[29:30], v[31:32]
	s_delay_alu instid0(VALU_DEP_1) | instskip(SKIP_2) | instid1(VALU_DEP_3)
	v_div_fmas_f64 v[23:24], v[23:24], v[27:28], v[29:30]
	v_fma_f64 v[27:28], v[17:18], v[25:26], v[19:20]
	v_fma_f64 v[17:18], v[19:20], v[25:26], -v[17:18]
	v_div_fixup_f64 v[21:22], v[23:24], v[21:22], 1.0
	s_delay_alu instid0(VALU_DEP_1) | instskip(NEXT) | instid1(VALU_DEP_3)
	v_mul_f64 v[29:30], v[27:28], v[21:22]
	v_mul_f64 v[31:32], v[17:18], v[21:22]
.LBB51_99:                              ;   in Loop: Header=BB51_4 Depth=1
	s_or_b32 exec_lo, exec_lo, s6
.LBB51_100:                             ;   in Loop: Header=BB51_4 Depth=1
	s_and_saveexec_b32 s6, s2
	s_delay_alu instid0(SALU_CYCLE_1)
	s_xor_b32 s2, exec_lo, s6
	s_cbranch_execnz .LBB51_104
; %bb.101:                              ;   in Loop: Header=BB51_4 Depth=1
	s_or_b32 exec_lo, exec_lo, s2
	s_and_saveexec_b32 s2, s3
	s_cbranch_execnz .LBB51_105
.LBB51_102:                             ;   in Loop: Header=BB51_4 Depth=1
	s_or_b32 exec_lo, exec_lo, s2
	s_and_saveexec_b32 s2, s4
	s_cbranch_execnz .LBB51_106
.LBB51_103:                             ;   in Loop: Header=BB51_4 Depth=1
	s_or_b32 exec_lo, exec_lo, s2
	s_and_saveexec_b32 s2, s5
	s_cbranch_execz .LBB51_3
	s_branch .LBB51_107
.LBB51_104:                             ;   in Loop: Header=BB51_4 Depth=1
	v_add_f64 v[3:4], v[3:4], v[53:54]
	v_add_f64 v[1:2], v[1:2], v[51:52]
	v_add_co_u32 v17, vcc_lo, v69, s14
	v_add_co_ci_u32_e32 v18, vcc_lo, s15, v70, vcc_lo
	global_store_b128 v[17:18], v[1:4], off offset:-8
	s_or_b32 exec_lo, exec_lo, s2
	s_and_saveexec_b32 s2, s3
	s_cbranch_execz .LBB51_102
.LBB51_105:                             ;   in Loop: Header=BB51_4 Depth=1
	v_add_f64 v[3:4], v[7:8], v[43:44]
	v_add_f64 v[1:2], v[5:6], v[41:42]
	v_add_co_u32 v5, vcc_lo, v65, s14
	v_add_co_ci_u32_e32 v6, vcc_lo, s15, v66, vcc_lo
	global_store_b128 v[5:6], v[1:4], off
	s_or_b32 exec_lo, exec_lo, s2
	s_and_saveexec_b32 s2, s4
	s_cbranch_execz .LBB51_103
.LBB51_106:                             ;   in Loop: Header=BB51_4 Depth=1
	v_add_f64 v[3:4], v[11:12], v[35:36]
	v_add_f64 v[1:2], v[9:10], v[33:34]
	v_add_co_u32 v5, vcc_lo, v81, s14
	v_add_co_ci_u32_e32 v6, vcc_lo, s15, v82, vcc_lo
	global_store_b128 v[5:6], v[1:4], off
	s_or_b32 exec_lo, exec_lo, s2
	s_and_saveexec_b32 s2, s5
	s_cbranch_execz .LBB51_3
.LBB51_107:                             ;   in Loop: Header=BB51_4 Depth=1
	s_delay_alu instid0(VALU_DEP_1) | instskip(NEXT) | instid1(VALU_DEP_3)
	v_add_f64 v[3:4], v[15:16], v[31:32]
	v_add_f64 v[1:2], v[13:14], v[29:30]
	v_add_co_u32 v5, vcc_lo, v83, s14
	v_add_co_ci_u32_e32 v6, vcc_lo, s15, v84, vcc_lo
	global_store_b128 v[5:6], v[1:4], off offset:-8
	s_branch .LBB51_3
.LBB51_108:
	s_mov_b32 s16, 0
.LBB51_109:
	s_delay_alu instid0(SALU_CYCLE_1)
	s_and_not1_b32 vcc_lo, exec_lo, s16
	s_cbranch_vccnz .LBB51_193
; %bb.110:
	v_dual_mov_b32 v49, 0 :: v_dual_lshlrev_b32 v48, 2, v0
	s_mov_b32 s2, 0
	s_mov_b32 s3, exec_lo
	s_delay_alu instid0(VALU_DEP_1)
	v_cmpx_gt_i64_e64 s[12:13], v[48:49]
	s_cbranch_execz .LBB51_193
; %bb.111:
	s_waitcnt lgkmcnt(0)
	v_cmp_neq_f64_e64 s4, s[8:9], 1.0
	v_cmp_neq_f64_e64 s5, s[10:11], 0
	s_load_b32 s0, s[0:1], 0xc0c
	v_lshlrev_b32_e32 v58, 6, v0
	s_waitcnt lgkmcnt(0)
	s_and_b32 s0, s0, 0xffff
	s_delay_alu instid0(SALU_CYCLE_1) | instskip(SKIP_1) | instid1(VALU_DEP_3)
	v_add_lshl_u32 v48, v0, s0, 2
	s_lshl_b32 s3, s0, 2
	s_or_b32 s4, s4, s5
	s_lshl_b32 s5, s0, 6
	s_branch .LBB51_114
.LBB51_112:                             ;   in Loop: Header=BB51_114 Depth=1
	s_or_b32 exec_lo, exec_lo, s0
.LBB51_113:                             ;   in Loop: Header=BB51_114 Depth=1
	v_add_f64 v[10:11], v[10:11], v[52:53]
	v_add_f64 v[8:9], v[8:9], v[50:51]
	;; [unrolled: 1-line block ×8, first 2 shown]
	v_cmp_le_i64_e32 vcc_lo, s[12:13], v[48:49]
	v_cmp_lt_u64_e64 s0, 0xffff, v[48:49]
	v_add_co_u32 v16, s1, s28, v58
	s_delay_alu instid0(VALU_DEP_1)
	v_add_co_ci_u32_e64 v17, null, s29, 0, s1
	s_clause 0x3
	global_store_b128 v[16:17], v[8:11], off
	global_store_b128 v[16:17], v[4:7], off offset:16
	global_store_b128 v[16:17], v[12:15], off offset:32
	;; [unrolled: 1-line block ×3, first 2 shown]
	s_or_b32 s0, vcc_lo, s0
	s_add_u32 s22, s22, s5
	s_addc_u32 s23, s23, 0
	s_add_u32 s28, s28, s5
	s_addc_u32 s29, s29, 0
	;; [unrolled: 2-line block ×3, first 2 shown]
	v_add_co_u32 v48, vcc_lo, v48, s3
	s_add_u32 s26, s26, s5
	s_addc_u32 s27, s27, 0
	v_add_co_ci_u32_e32 v49, vcc_lo, 0, v49, vcc_lo
	s_and_b32 s0, exec_lo, s0
	s_delay_alu instid0(SALU_CYCLE_1) | instskip(NEXT) | instid1(SALU_CYCLE_1)
	s_or_b32 s2, s0, s2
	s_and_not1_b32 exec_lo, exec_lo, s2
	s_cbranch_execz .LBB51_193
.LBB51_114:                             ; =>This Inner Loop Header: Depth=1
	v_add_co_u32 v28, s0, s26, v58
	s_delay_alu instid0(VALU_DEP_1) | instskip(SKIP_1) | instid1(VALU_DEP_1)
	v_add_co_ci_u32_e64 v29, null, s27, 0, s0
	v_add_co_u32 v8, s0, s22, v58
	v_add_co_ci_u32_e64 v9, null, s23, 0, s0
	s_clause 0x1
	global_load_b128 v[44:47], v[28:29], off
	global_load_b128 v[36:39], v[28:29], off offset:16
	v_add_co_u32 v20, s0, s24, v58
	s_delay_alu instid0(VALU_DEP_1)
	v_add_co_ci_u32_e64 v21, null, s25, 0, s0
	s_clause 0x3
	global_load_b128 v[0:3], v[8:9], off offset:48
	global_load_b128 v[12:15], v[8:9], off offset:32
	;; [unrolled: 1-line block ×3, first 2 shown]
	global_load_b128 v[8:11], v[8:9], off
	s_clause 0x3
	global_load_b128 v[16:19], v[20:21], off offset:48
	global_load_b128 v[24:27], v[20:21], off offset:32
	;; [unrolled: 1-line block ×3, first 2 shown]
	global_load_b128 v[40:43], v[20:21], off
	s_clause 0x1
	global_load_b128 v[20:23], v[28:29], off offset:48
	global_load_b128 v[28:31], v[28:29], off offset:32
	s_waitcnt vmcnt(11)
	v_cmp_gt_f64_e32 vcc_lo, 0, v[44:45]
	v_xor_b32_e32 v50, 0x80000000, v45
	v_mov_b32_e32 v54, v44
	v_xor_b32_e32 v51, 0x80000000, v47
	s_delay_alu instid0(VALU_DEP_3) | instskip(SKIP_1) | instid1(VALU_DEP_3)
	v_dual_mov_b32 v56, v46 :: v_dual_cndmask_b32 v55, v45, v50
	v_cmp_gt_f64_e32 vcc_lo, 0, v[46:47]
	v_cndmask_b32_e32 v57, v47, v51, vcc_lo
	s_and_b32 vcc_lo, exec_lo, s4
	s_delay_alu instid0(VALU_DEP_1)
	v_cmp_ge_f64_e64 s0, v[54:55], v[56:57]
	s_cbranch_vccz .LBB51_124
; %bb.115:                              ;   in Loop: Header=BB51_114 Depth=1
                                        ; implicit-def: $vgpr50_vgpr51
                                        ; implicit-def: $vgpr52_vgpr53
	s_delay_alu instid0(VALU_DEP_1) | instskip(NEXT) | instid1(SALU_CYCLE_1)
	s_and_saveexec_b32 s1, s0
	s_xor_b32 s6, exec_lo, s1
	s_cbranch_execz .LBB51_121
; %bb.116:                              ;   in Loop: Header=BB51_114 Depth=1
	v_cmp_neq_f64_e32 vcc_lo, 0, v[44:45]
	v_cmp_neq_f64_e64 s1, 0, v[46:47]
                                        ; implicit-def: $vgpr50_vgpr51
                                        ; implicit-def: $vgpr52_vgpr53
	s_delay_alu instid0(VALU_DEP_1) | instskip(NEXT) | instid1(SALU_CYCLE_1)
	s_or_b32 s1, vcc_lo, s1
	s_and_saveexec_b32 s7, s1
	s_delay_alu instid0(SALU_CYCLE_1)
	s_xor_b32 s1, exec_lo, s7
	s_cbranch_execz .LBB51_118
; %bb.117:                              ;   in Loop: Header=BB51_114 Depth=1
	v_div_scale_f64 v[50:51], null, v[44:45], v[44:45], v[46:47]
	v_div_scale_f64 v[61:62], vcc_lo, v[46:47], v[44:45], v[46:47]
	s_delay_alu instid0(VALU_DEP_2) | instskip(SKIP_2) | instid1(VALU_DEP_1)
	v_rcp_f64_e32 v[52:53], v[50:51]
	s_waitcnt_depctr 0xfff
	v_fma_f64 v[59:60], -v[50:51], v[52:53], 1.0
	v_fma_f64 v[52:53], v[52:53], v[59:60], v[52:53]
	s_delay_alu instid0(VALU_DEP_1) | instskip(NEXT) | instid1(VALU_DEP_1)
	v_fma_f64 v[59:60], -v[50:51], v[52:53], 1.0
	v_fma_f64 v[52:53], v[52:53], v[59:60], v[52:53]
	s_delay_alu instid0(VALU_DEP_1) | instskip(NEXT) | instid1(VALU_DEP_1)
	v_mul_f64 v[59:60], v[61:62], v[52:53]
	v_fma_f64 v[50:51], -v[50:51], v[59:60], v[61:62]
	s_delay_alu instid0(VALU_DEP_1) | instskip(NEXT) | instid1(VALU_DEP_1)
	v_div_fmas_f64 v[50:51], v[50:51], v[52:53], v[59:60]
	v_div_fixup_f64 v[50:51], v[50:51], v[44:45], v[46:47]
	s_delay_alu instid0(VALU_DEP_1) | instskip(NEXT) | instid1(VALU_DEP_1)
	v_fma_f64 v[52:53], v[46:47], v[50:51], v[44:45]
	v_div_scale_f64 v[59:60], null, v[52:53], v[52:53], 1.0
	v_div_scale_f64 v[65:66], vcc_lo, 1.0, v[52:53], 1.0
	s_delay_alu instid0(VALU_DEP_2) | instskip(SKIP_2) | instid1(VALU_DEP_1)
	v_rcp_f64_e32 v[61:62], v[59:60]
	s_waitcnt_depctr 0xfff
	v_fma_f64 v[63:64], -v[59:60], v[61:62], 1.0
	v_fma_f64 v[61:62], v[61:62], v[63:64], v[61:62]
	s_delay_alu instid0(VALU_DEP_1) | instskip(NEXT) | instid1(VALU_DEP_1)
	v_fma_f64 v[63:64], -v[59:60], v[61:62], 1.0
	v_fma_f64 v[61:62], v[61:62], v[63:64], v[61:62]
	s_delay_alu instid0(VALU_DEP_1) | instskip(NEXT) | instid1(VALU_DEP_1)
	v_mul_f64 v[63:64], v[65:66], v[61:62]
	v_fma_f64 v[59:60], -v[59:60], v[63:64], v[65:66]
	s_delay_alu instid0(VALU_DEP_1) | instskip(SKIP_3) | instid1(VALU_DEP_3)
	v_div_fmas_f64 v[59:60], v[59:60], v[61:62], v[63:64]
	s_waitcnt vmcnt(2)
	v_fma_f64 v[61:62], v[42:43], v[50:51], v[40:41]
	v_fma_f64 v[50:51], -v[40:41], v[50:51], v[42:43]
	v_div_fixup_f64 v[59:60], v[59:60], v[52:53], 1.0
	s_delay_alu instid0(VALU_DEP_1) | instskip(NEXT) | instid1(VALU_DEP_3)
	v_mul_f64 v[52:53], v[61:62], v[59:60]
	v_mul_f64 v[50:51], v[50:51], v[59:60]
.LBB51_118:                             ;   in Loop: Header=BB51_114 Depth=1
	s_and_not1_saveexec_b32 s7, s1
	s_cbranch_execz .LBB51_120
; %bb.119:                              ;   in Loop: Header=BB51_114 Depth=1
	s_waitcnt vmcnt(2)
	v_div_scale_f64 v[50:51], null, v[54:55], v[54:55], v[40:41]
	v_div_scale_f64 v[52:53], null, v[56:57], v[56:57], v[42:43]
	v_div_scale_f64 v[67:68], vcc_lo, v[40:41], v[54:55], v[40:41]
	s_delay_alu instid0(VALU_DEP_3) | instskip(NEXT) | instid1(VALU_DEP_2)
	v_rcp_f64_e32 v[59:60], v[50:51]
	v_rcp_f64_e32 v[61:62], v[52:53]
	s_waitcnt_depctr 0xfff
	v_fma_f64 v[63:64], -v[50:51], v[59:60], 1.0
	v_fma_f64 v[65:66], -v[52:53], v[61:62], 1.0
	s_delay_alu instid0(VALU_DEP_2) | instskip(NEXT) | instid1(VALU_DEP_2)
	v_fma_f64 v[59:60], v[59:60], v[63:64], v[59:60]
	v_fma_f64 v[61:62], v[61:62], v[65:66], v[61:62]
	s_delay_alu instid0(VALU_DEP_2) | instskip(NEXT) | instid1(VALU_DEP_2)
	v_fma_f64 v[63:64], -v[50:51], v[59:60], 1.0
	v_fma_f64 v[65:66], -v[52:53], v[61:62], 1.0
	s_delay_alu instid0(VALU_DEP_2) | instskip(SKIP_1) | instid1(VALU_DEP_3)
	v_fma_f64 v[59:60], v[59:60], v[63:64], v[59:60]
	v_div_scale_f64 v[63:64], s1, v[42:43], v[56:57], v[42:43]
	v_fma_f64 v[61:62], v[61:62], v[65:66], v[61:62]
	s_delay_alu instid0(VALU_DEP_3) | instskip(NEXT) | instid1(VALU_DEP_2)
	v_mul_f64 v[65:66], v[67:68], v[59:60]
	v_mul_f64 v[69:70], v[63:64], v[61:62]
	s_delay_alu instid0(VALU_DEP_2) | instskip(NEXT) | instid1(VALU_DEP_2)
	v_fma_f64 v[50:51], -v[50:51], v[65:66], v[67:68]
	v_fma_f64 v[52:53], -v[52:53], v[69:70], v[63:64]
	s_delay_alu instid0(VALU_DEP_2) | instskip(SKIP_1) | instid1(VALU_DEP_2)
	v_div_fmas_f64 v[50:51], v[50:51], v[59:60], v[65:66]
	s_mov_b32 vcc_lo, s1
	v_div_fmas_f64 v[59:60], v[52:53], v[61:62], v[69:70]
	s_delay_alu instid0(VALU_DEP_2) | instskip(NEXT) | instid1(VALU_DEP_2)
	v_div_fixup_f64 v[52:53], v[50:51], v[54:55], v[40:41]
	v_div_fixup_f64 v[50:51], v[59:60], v[56:57], v[42:43]
.LBB51_120:                             ;   in Loop: Header=BB51_114 Depth=1
	s_or_b32 exec_lo, exec_lo, s7
.LBB51_121:                             ;   in Loop: Header=BB51_114 Depth=1
	s_and_not1_saveexec_b32 s1, s6
	s_cbranch_execz .LBB51_123
; %bb.122:                              ;   in Loop: Header=BB51_114 Depth=1
	v_div_scale_f64 v[50:51], null, v[46:47], v[46:47], v[44:45]
	v_div_scale_f64 v[61:62], vcc_lo, v[44:45], v[46:47], v[44:45]
	s_delay_alu instid0(VALU_DEP_2) | instskip(SKIP_2) | instid1(VALU_DEP_1)
	v_rcp_f64_e32 v[52:53], v[50:51]
	s_waitcnt_depctr 0xfff
	v_fma_f64 v[59:60], -v[50:51], v[52:53], 1.0
	v_fma_f64 v[52:53], v[52:53], v[59:60], v[52:53]
	s_delay_alu instid0(VALU_DEP_1) | instskip(NEXT) | instid1(VALU_DEP_1)
	v_fma_f64 v[59:60], -v[50:51], v[52:53], 1.0
	v_fma_f64 v[52:53], v[52:53], v[59:60], v[52:53]
	s_delay_alu instid0(VALU_DEP_1) | instskip(NEXT) | instid1(VALU_DEP_1)
	v_mul_f64 v[59:60], v[61:62], v[52:53]
	v_fma_f64 v[50:51], -v[50:51], v[59:60], v[61:62]
	s_delay_alu instid0(VALU_DEP_1) | instskip(NEXT) | instid1(VALU_DEP_1)
	v_div_fmas_f64 v[50:51], v[50:51], v[52:53], v[59:60]
	v_div_fixup_f64 v[50:51], v[50:51], v[46:47], v[44:45]
	s_delay_alu instid0(VALU_DEP_1) | instskip(NEXT) | instid1(VALU_DEP_1)
	v_fma_f64 v[52:53], v[44:45], v[50:51], v[46:47]
	v_div_scale_f64 v[59:60], null, v[52:53], v[52:53], 1.0
	v_div_scale_f64 v[65:66], vcc_lo, 1.0, v[52:53], 1.0
	s_delay_alu instid0(VALU_DEP_2) | instskip(SKIP_2) | instid1(VALU_DEP_1)
	v_rcp_f64_e32 v[61:62], v[59:60]
	s_waitcnt_depctr 0xfff
	v_fma_f64 v[63:64], -v[59:60], v[61:62], 1.0
	v_fma_f64 v[61:62], v[61:62], v[63:64], v[61:62]
	s_delay_alu instid0(VALU_DEP_1) | instskip(NEXT) | instid1(VALU_DEP_1)
	v_fma_f64 v[63:64], -v[59:60], v[61:62], 1.0
	v_fma_f64 v[61:62], v[61:62], v[63:64], v[61:62]
	s_delay_alu instid0(VALU_DEP_1) | instskip(NEXT) | instid1(VALU_DEP_1)
	v_mul_f64 v[63:64], v[65:66], v[61:62]
	v_fma_f64 v[59:60], -v[59:60], v[63:64], v[65:66]
	s_delay_alu instid0(VALU_DEP_1) | instskip(SKIP_3) | instid1(VALU_DEP_3)
	v_div_fmas_f64 v[59:60], v[59:60], v[61:62], v[63:64]
	s_waitcnt vmcnt(2)
	v_fma_f64 v[61:62], v[40:41], v[50:51], v[42:43]
	v_fma_f64 v[50:51], v[42:43], v[50:51], -v[40:41]
	v_div_fixup_f64 v[59:60], v[59:60], v[52:53], 1.0
	s_delay_alu instid0(VALU_DEP_1) | instskip(NEXT) | instid1(VALU_DEP_3)
	v_mul_f64 v[52:53], v[61:62], v[59:60]
	v_mul_f64 v[50:51], v[50:51], v[59:60]
.LBB51_123:                             ;   in Loop: Header=BB51_114 Depth=1
	s_or_b32 exec_lo, exec_lo, s1
	s_delay_alu instid0(VALU_DEP_1) | instskip(SKIP_1) | instid1(VALU_DEP_2)
	v_mul_f64 v[59:60], s[10:11], v[50:51]
	v_mul_f64 v[61:62], s[8:9], v[50:51]
	v_fma_f64 v[50:51], s[8:9], v[52:53], -v[59:60]
	s_delay_alu instid0(VALU_DEP_2)
	v_fma_f64 v[52:53], s[10:11], v[52:53], v[61:62]
	s_branch .LBB51_134
.LBB51_124:                             ;   in Loop: Header=BB51_114 Depth=1
                                        ; implicit-def: $vgpr52_vgpr53
                                        ; implicit-def: $vgpr50_vgpr51
	s_cbranch_execz .LBB51_134
; %bb.125:                              ;   in Loop: Header=BB51_114 Depth=1
                                        ; implicit-def: $vgpr52_vgpr53
                                        ; implicit-def: $vgpr50_vgpr51
	s_delay_alu instid0(VALU_DEP_1) | instskip(NEXT) | instid1(SALU_CYCLE_1)
	s_and_saveexec_b32 s1, s0
	s_xor_b32 s1, exec_lo, s1
	s_cbranch_execz .LBB51_131
; %bb.126:                              ;   in Loop: Header=BB51_114 Depth=1
	v_cmp_neq_f64_e32 vcc_lo, 0, v[44:45]
	v_cmp_neq_f64_e64 s0, 0, v[46:47]
                                        ; implicit-def: $vgpr52_vgpr53
                                        ; implicit-def: $vgpr50_vgpr51
	s_delay_alu instid0(VALU_DEP_1) | instskip(NEXT) | instid1(SALU_CYCLE_1)
	s_or_b32 s0, vcc_lo, s0
	s_and_saveexec_b32 s6, s0
	s_delay_alu instid0(SALU_CYCLE_1)
	s_xor_b32 s0, exec_lo, s6
	s_cbranch_execz .LBB51_128
; %bb.127:                              ;   in Loop: Header=BB51_114 Depth=1
	v_div_scale_f64 v[50:51], null, v[44:45], v[44:45], v[46:47]
	v_div_scale_f64 v[56:57], vcc_lo, v[46:47], v[44:45], v[46:47]
	s_delay_alu instid0(VALU_DEP_2) | instskip(SKIP_2) | instid1(VALU_DEP_1)
	v_rcp_f64_e32 v[52:53], v[50:51]
	s_waitcnt_depctr 0xfff
	v_fma_f64 v[54:55], -v[50:51], v[52:53], 1.0
	v_fma_f64 v[52:53], v[52:53], v[54:55], v[52:53]
	s_delay_alu instid0(VALU_DEP_1) | instskip(NEXT) | instid1(VALU_DEP_1)
	v_fma_f64 v[54:55], -v[50:51], v[52:53], 1.0
	v_fma_f64 v[52:53], v[52:53], v[54:55], v[52:53]
	s_delay_alu instid0(VALU_DEP_1) | instskip(NEXT) | instid1(VALU_DEP_1)
	v_mul_f64 v[54:55], v[56:57], v[52:53]
	v_fma_f64 v[50:51], -v[50:51], v[54:55], v[56:57]
	s_delay_alu instid0(VALU_DEP_1) | instskip(NEXT) | instid1(VALU_DEP_1)
	v_div_fmas_f64 v[50:51], v[50:51], v[52:53], v[54:55]
	v_div_fixup_f64 v[50:51], v[50:51], v[44:45], v[46:47]
	s_delay_alu instid0(VALU_DEP_1) | instskip(NEXT) | instid1(VALU_DEP_1)
	v_fma_f64 v[44:45], v[46:47], v[50:51], v[44:45]
	v_div_scale_f64 v[46:47], null, v[44:45], v[44:45], 1.0
	v_div_scale_f64 v[56:57], vcc_lo, 1.0, v[44:45], 1.0
	s_delay_alu instid0(VALU_DEP_2) | instskip(SKIP_2) | instid1(VALU_DEP_1)
	v_rcp_f64_e32 v[52:53], v[46:47]
	s_waitcnt_depctr 0xfff
	v_fma_f64 v[54:55], -v[46:47], v[52:53], 1.0
	v_fma_f64 v[52:53], v[52:53], v[54:55], v[52:53]
	s_delay_alu instid0(VALU_DEP_1) | instskip(NEXT) | instid1(VALU_DEP_1)
	v_fma_f64 v[54:55], -v[46:47], v[52:53], 1.0
	v_fma_f64 v[52:53], v[52:53], v[54:55], v[52:53]
	s_delay_alu instid0(VALU_DEP_1) | instskip(NEXT) | instid1(VALU_DEP_1)
	v_mul_f64 v[54:55], v[56:57], v[52:53]
	v_fma_f64 v[46:47], -v[46:47], v[54:55], v[56:57]
                                        ; implicit-def: $vgpr56_vgpr57
	s_delay_alu instid0(VALU_DEP_1) | instskip(SKIP_3) | instid1(VALU_DEP_3)
	v_div_fmas_f64 v[46:47], v[46:47], v[52:53], v[54:55]
	s_waitcnt vmcnt(2)
	v_fma_f64 v[52:53], v[42:43], v[50:51], v[40:41]
	v_fma_f64 v[40:41], -v[40:41], v[50:51], v[42:43]
                                        ; implicit-def: $vgpr54_vgpr55
	v_div_fixup_f64 v[44:45], v[46:47], v[44:45], 1.0
	s_delay_alu instid0(VALU_DEP_1) | instskip(NEXT) | instid1(VALU_DEP_3)
	v_mul_f64 v[50:51], v[52:53], v[44:45]
	v_mul_f64 v[52:53], v[40:41], v[44:45]
                                        ; implicit-def: $vgpr40_vgpr41
.LBB51_128:                             ;   in Loop: Header=BB51_114 Depth=1
	s_and_not1_saveexec_b32 s6, s0
	s_cbranch_execz .LBB51_130
; %bb.129:                              ;   in Loop: Header=BB51_114 Depth=1
	s_waitcnt vmcnt(2)
	v_div_scale_f64 v[44:45], null, v[54:55], v[54:55], v[40:41]
	v_div_scale_f64 v[46:47], null, v[56:57], v[56:57], v[42:43]
	v_div_scale_f64 v[63:64], vcc_lo, v[40:41], v[54:55], v[40:41]
	s_delay_alu instid0(VALU_DEP_3) | instskip(NEXT) | instid1(VALU_DEP_2)
	v_rcp_f64_e32 v[50:51], v[44:45]
	v_rcp_f64_e32 v[52:53], v[46:47]
	s_waitcnt_depctr 0xfff
	v_fma_f64 v[59:60], -v[44:45], v[50:51], 1.0
	v_fma_f64 v[61:62], -v[46:47], v[52:53], 1.0
	s_delay_alu instid0(VALU_DEP_2) | instskip(NEXT) | instid1(VALU_DEP_2)
	v_fma_f64 v[50:51], v[50:51], v[59:60], v[50:51]
	v_fma_f64 v[52:53], v[52:53], v[61:62], v[52:53]
	s_delay_alu instid0(VALU_DEP_2) | instskip(NEXT) | instid1(VALU_DEP_2)
	v_fma_f64 v[59:60], -v[44:45], v[50:51], 1.0
	v_fma_f64 v[61:62], -v[46:47], v[52:53], 1.0
	s_delay_alu instid0(VALU_DEP_2) | instskip(SKIP_1) | instid1(VALU_DEP_3)
	v_fma_f64 v[50:51], v[50:51], v[59:60], v[50:51]
	v_div_scale_f64 v[59:60], s0, v[42:43], v[56:57], v[42:43]
	v_fma_f64 v[52:53], v[52:53], v[61:62], v[52:53]
	s_delay_alu instid0(VALU_DEP_3) | instskip(NEXT) | instid1(VALU_DEP_2)
	v_mul_f64 v[61:62], v[63:64], v[50:51]
	v_mul_f64 v[65:66], v[59:60], v[52:53]
	s_delay_alu instid0(VALU_DEP_2) | instskip(NEXT) | instid1(VALU_DEP_2)
	v_fma_f64 v[44:45], -v[44:45], v[61:62], v[63:64]
	v_fma_f64 v[46:47], -v[46:47], v[65:66], v[59:60]
	s_delay_alu instid0(VALU_DEP_2) | instskip(SKIP_1) | instid1(VALU_DEP_2)
	v_div_fmas_f64 v[44:45], v[44:45], v[50:51], v[61:62]
	s_mov_b32 vcc_lo, s0
	v_div_fmas_f64 v[46:47], v[46:47], v[52:53], v[65:66]
	s_delay_alu instid0(VALU_DEP_2) | instskip(NEXT) | instid1(VALU_DEP_2)
	v_div_fixup_f64 v[50:51], v[44:45], v[54:55], v[40:41]
	v_div_fixup_f64 v[52:53], v[46:47], v[56:57], v[42:43]
.LBB51_130:                             ;   in Loop: Header=BB51_114 Depth=1
	s_or_b32 exec_lo, exec_lo, s6
                                        ; implicit-def: $vgpr46_vgpr47
                                        ; implicit-def: $vgpr40_vgpr41
.LBB51_131:                             ;   in Loop: Header=BB51_114 Depth=1
	s_and_not1_saveexec_b32 s0, s1
	s_cbranch_execz .LBB51_133
; %bb.132:                              ;   in Loop: Header=BB51_114 Depth=1
	v_div_scale_f64 v[50:51], null, v[46:47], v[46:47], v[44:45]
	v_div_scale_f64 v[56:57], vcc_lo, v[44:45], v[46:47], v[44:45]
	s_delay_alu instid0(VALU_DEP_2) | instskip(SKIP_2) | instid1(VALU_DEP_1)
	v_rcp_f64_e32 v[52:53], v[50:51]
	s_waitcnt_depctr 0xfff
	v_fma_f64 v[54:55], -v[50:51], v[52:53], 1.0
	v_fma_f64 v[52:53], v[52:53], v[54:55], v[52:53]
	s_delay_alu instid0(VALU_DEP_1) | instskip(NEXT) | instid1(VALU_DEP_1)
	v_fma_f64 v[54:55], -v[50:51], v[52:53], 1.0
	v_fma_f64 v[52:53], v[52:53], v[54:55], v[52:53]
	s_delay_alu instid0(VALU_DEP_1) | instskip(NEXT) | instid1(VALU_DEP_1)
	v_mul_f64 v[54:55], v[56:57], v[52:53]
	v_fma_f64 v[50:51], -v[50:51], v[54:55], v[56:57]
	s_delay_alu instid0(VALU_DEP_1) | instskip(NEXT) | instid1(VALU_DEP_1)
	v_div_fmas_f64 v[50:51], v[50:51], v[52:53], v[54:55]
	v_div_fixup_f64 v[50:51], v[50:51], v[46:47], v[44:45]
	s_delay_alu instid0(VALU_DEP_1) | instskip(NEXT) | instid1(VALU_DEP_1)
	v_fma_f64 v[44:45], v[44:45], v[50:51], v[46:47]
	v_div_scale_f64 v[46:47], null, v[44:45], v[44:45], 1.0
	v_div_scale_f64 v[56:57], vcc_lo, 1.0, v[44:45], 1.0
	s_delay_alu instid0(VALU_DEP_2) | instskip(SKIP_2) | instid1(VALU_DEP_1)
	v_rcp_f64_e32 v[52:53], v[46:47]
	s_waitcnt_depctr 0xfff
	v_fma_f64 v[54:55], -v[46:47], v[52:53], 1.0
	v_fma_f64 v[52:53], v[52:53], v[54:55], v[52:53]
	s_delay_alu instid0(VALU_DEP_1) | instskip(NEXT) | instid1(VALU_DEP_1)
	v_fma_f64 v[54:55], -v[46:47], v[52:53], 1.0
	v_fma_f64 v[52:53], v[52:53], v[54:55], v[52:53]
	s_delay_alu instid0(VALU_DEP_1) | instskip(NEXT) | instid1(VALU_DEP_1)
	v_mul_f64 v[54:55], v[56:57], v[52:53]
	v_fma_f64 v[46:47], -v[46:47], v[54:55], v[56:57]
	s_delay_alu instid0(VALU_DEP_1) | instskip(SKIP_3) | instid1(VALU_DEP_3)
	v_div_fmas_f64 v[46:47], v[46:47], v[52:53], v[54:55]
	s_waitcnt vmcnt(2)
	v_fma_f64 v[52:53], v[40:41], v[50:51], v[42:43]
	v_fma_f64 v[40:41], v[42:43], v[50:51], -v[40:41]
	v_div_fixup_f64 v[44:45], v[46:47], v[44:45], 1.0
	s_delay_alu instid0(VALU_DEP_1) | instskip(NEXT) | instid1(VALU_DEP_3)
	v_mul_f64 v[50:51], v[52:53], v[44:45]
	v_mul_f64 v[52:53], v[40:41], v[44:45]
.LBB51_133:                             ;   in Loop: Header=BB51_114 Depth=1
	s_or_b32 exec_lo, exec_lo, s0
.LBB51_134:                             ;   in Loop: Header=BB51_114 Depth=1
	s_waitcnt vmcnt(10)
	v_cmp_gt_f64_e32 vcc_lo, 0, v[36:37]
	s_waitcnt vmcnt(2)
	v_xor_b32_e32 v40, 0x80000000, v37
	v_mov_b32_e32 v44, v36
	v_xor_b32_e32 v41, 0x80000000, v39
	s_delay_alu instid0(VALU_DEP_3) | instskip(SKIP_1) | instid1(VALU_DEP_3)
	v_dual_mov_b32 v46, v38 :: v_dual_cndmask_b32 v45, v37, v40
	v_cmp_gt_f64_e32 vcc_lo, 0, v[38:39]
	v_cndmask_b32_e32 v47, v39, v41, vcc_lo
	s_and_not1_b32 vcc_lo, exec_lo, s4
	s_delay_alu instid0(VALU_DEP_1)
	v_cmp_ge_f64_e64 s0, v[44:45], v[46:47]
	s_cbranch_vccnz .LBB51_144
; %bb.135:                              ;   in Loop: Header=BB51_114 Depth=1
                                        ; implicit-def: $vgpr40_vgpr41
                                        ; implicit-def: $vgpr42_vgpr43
	s_delay_alu instid0(VALU_DEP_1) | instskip(NEXT) | instid1(SALU_CYCLE_1)
	s_and_saveexec_b32 s1, s0
	s_xor_b32 s6, exec_lo, s1
	s_cbranch_execz .LBB51_141
; %bb.136:                              ;   in Loop: Header=BB51_114 Depth=1
	v_cmp_neq_f64_e32 vcc_lo, 0, v[36:37]
	v_cmp_neq_f64_e64 s1, 0, v[38:39]
                                        ; implicit-def: $vgpr40_vgpr41
                                        ; implicit-def: $vgpr42_vgpr43
	s_delay_alu instid0(VALU_DEP_1) | instskip(NEXT) | instid1(SALU_CYCLE_1)
	s_or_b32 s1, vcc_lo, s1
	s_and_saveexec_b32 s7, s1
	s_delay_alu instid0(SALU_CYCLE_1)
	s_xor_b32 s1, exec_lo, s7
	s_cbranch_execz .LBB51_138
; %bb.137:                              ;   in Loop: Header=BB51_114 Depth=1
	v_div_scale_f64 v[40:41], null, v[36:37], v[36:37], v[38:39]
	v_div_scale_f64 v[56:57], vcc_lo, v[38:39], v[36:37], v[38:39]
	s_delay_alu instid0(VALU_DEP_2) | instskip(SKIP_2) | instid1(VALU_DEP_1)
	v_rcp_f64_e32 v[42:43], v[40:41]
	s_waitcnt_depctr 0xfff
	v_fma_f64 v[54:55], -v[40:41], v[42:43], 1.0
	v_fma_f64 v[42:43], v[42:43], v[54:55], v[42:43]
	s_delay_alu instid0(VALU_DEP_1) | instskip(NEXT) | instid1(VALU_DEP_1)
	v_fma_f64 v[54:55], -v[40:41], v[42:43], 1.0
	v_fma_f64 v[42:43], v[42:43], v[54:55], v[42:43]
	s_delay_alu instid0(VALU_DEP_1) | instskip(NEXT) | instid1(VALU_DEP_1)
	v_mul_f64 v[54:55], v[56:57], v[42:43]
	v_fma_f64 v[40:41], -v[40:41], v[54:55], v[56:57]
	s_delay_alu instid0(VALU_DEP_1) | instskip(NEXT) | instid1(VALU_DEP_1)
	v_div_fmas_f64 v[40:41], v[40:41], v[42:43], v[54:55]
	v_div_fixup_f64 v[40:41], v[40:41], v[36:37], v[38:39]
	s_delay_alu instid0(VALU_DEP_1) | instskip(NEXT) | instid1(VALU_DEP_1)
	v_fma_f64 v[42:43], v[38:39], v[40:41], v[36:37]
	v_div_scale_f64 v[54:55], null, v[42:43], v[42:43], 1.0
	v_div_scale_f64 v[61:62], vcc_lo, 1.0, v[42:43], 1.0
	s_delay_alu instid0(VALU_DEP_2) | instskip(SKIP_2) | instid1(VALU_DEP_1)
	v_rcp_f64_e32 v[56:57], v[54:55]
	s_waitcnt_depctr 0xfff
	v_fma_f64 v[59:60], -v[54:55], v[56:57], 1.0
	v_fma_f64 v[56:57], v[56:57], v[59:60], v[56:57]
	s_delay_alu instid0(VALU_DEP_1) | instskip(NEXT) | instid1(VALU_DEP_1)
	v_fma_f64 v[59:60], -v[54:55], v[56:57], 1.0
	v_fma_f64 v[56:57], v[56:57], v[59:60], v[56:57]
	s_delay_alu instid0(VALU_DEP_1) | instskip(NEXT) | instid1(VALU_DEP_1)
	v_mul_f64 v[59:60], v[61:62], v[56:57]
	v_fma_f64 v[54:55], -v[54:55], v[59:60], v[61:62]
	s_delay_alu instid0(VALU_DEP_1) | instskip(SKIP_2) | instid1(VALU_DEP_3)
	v_div_fmas_f64 v[54:55], v[54:55], v[56:57], v[59:60]
	v_fma_f64 v[56:57], v[34:35], v[40:41], v[32:33]
	v_fma_f64 v[40:41], -v[32:33], v[40:41], v[34:35]
	v_div_fixup_f64 v[54:55], v[54:55], v[42:43], 1.0
	s_delay_alu instid0(VALU_DEP_1) | instskip(NEXT) | instid1(VALU_DEP_3)
	v_mul_f64 v[42:43], v[56:57], v[54:55]
	v_mul_f64 v[40:41], v[40:41], v[54:55]
.LBB51_138:                             ;   in Loop: Header=BB51_114 Depth=1
	s_and_not1_saveexec_b32 s7, s1
	s_cbranch_execz .LBB51_140
; %bb.139:                              ;   in Loop: Header=BB51_114 Depth=1
	v_div_scale_f64 v[40:41], null, v[44:45], v[44:45], v[32:33]
	v_div_scale_f64 v[42:43], null, v[46:47], v[46:47], v[34:35]
	v_div_scale_f64 v[63:64], vcc_lo, v[32:33], v[44:45], v[32:33]
	s_delay_alu instid0(VALU_DEP_3) | instskip(NEXT) | instid1(VALU_DEP_2)
	v_rcp_f64_e32 v[54:55], v[40:41]
	v_rcp_f64_e32 v[56:57], v[42:43]
	s_waitcnt_depctr 0xfff
	v_fma_f64 v[59:60], -v[40:41], v[54:55], 1.0
	v_fma_f64 v[61:62], -v[42:43], v[56:57], 1.0
	s_delay_alu instid0(VALU_DEP_2) | instskip(NEXT) | instid1(VALU_DEP_2)
	v_fma_f64 v[54:55], v[54:55], v[59:60], v[54:55]
	v_fma_f64 v[56:57], v[56:57], v[61:62], v[56:57]
	s_delay_alu instid0(VALU_DEP_2) | instskip(NEXT) | instid1(VALU_DEP_2)
	v_fma_f64 v[59:60], -v[40:41], v[54:55], 1.0
	v_fma_f64 v[61:62], -v[42:43], v[56:57], 1.0
	s_delay_alu instid0(VALU_DEP_2) | instskip(SKIP_1) | instid1(VALU_DEP_3)
	v_fma_f64 v[54:55], v[54:55], v[59:60], v[54:55]
	v_div_scale_f64 v[59:60], s1, v[34:35], v[46:47], v[34:35]
	v_fma_f64 v[56:57], v[56:57], v[61:62], v[56:57]
	s_delay_alu instid0(VALU_DEP_3) | instskip(NEXT) | instid1(VALU_DEP_2)
	v_mul_f64 v[61:62], v[63:64], v[54:55]
	v_mul_f64 v[65:66], v[59:60], v[56:57]
	s_delay_alu instid0(VALU_DEP_2) | instskip(NEXT) | instid1(VALU_DEP_2)
	v_fma_f64 v[40:41], -v[40:41], v[61:62], v[63:64]
	v_fma_f64 v[42:43], -v[42:43], v[65:66], v[59:60]
	s_delay_alu instid0(VALU_DEP_2) | instskip(SKIP_1) | instid1(VALU_DEP_2)
	v_div_fmas_f64 v[40:41], v[40:41], v[54:55], v[61:62]
	s_mov_b32 vcc_lo, s1
	v_div_fmas_f64 v[54:55], v[42:43], v[56:57], v[65:66]
	s_delay_alu instid0(VALU_DEP_2) | instskip(NEXT) | instid1(VALU_DEP_2)
	v_div_fixup_f64 v[42:43], v[40:41], v[44:45], v[32:33]
	v_div_fixup_f64 v[40:41], v[54:55], v[46:47], v[34:35]
.LBB51_140:                             ;   in Loop: Header=BB51_114 Depth=1
	s_or_b32 exec_lo, exec_lo, s7
.LBB51_141:                             ;   in Loop: Header=BB51_114 Depth=1
	s_and_not1_saveexec_b32 s1, s6
	s_cbranch_execz .LBB51_143
; %bb.142:                              ;   in Loop: Header=BB51_114 Depth=1
	v_div_scale_f64 v[40:41], null, v[38:39], v[38:39], v[36:37]
	v_div_scale_f64 v[56:57], vcc_lo, v[36:37], v[38:39], v[36:37]
	s_delay_alu instid0(VALU_DEP_2) | instskip(SKIP_2) | instid1(VALU_DEP_1)
	v_rcp_f64_e32 v[42:43], v[40:41]
	s_waitcnt_depctr 0xfff
	v_fma_f64 v[54:55], -v[40:41], v[42:43], 1.0
	v_fma_f64 v[42:43], v[42:43], v[54:55], v[42:43]
	s_delay_alu instid0(VALU_DEP_1) | instskip(NEXT) | instid1(VALU_DEP_1)
	v_fma_f64 v[54:55], -v[40:41], v[42:43], 1.0
	v_fma_f64 v[42:43], v[42:43], v[54:55], v[42:43]
	s_delay_alu instid0(VALU_DEP_1) | instskip(NEXT) | instid1(VALU_DEP_1)
	v_mul_f64 v[54:55], v[56:57], v[42:43]
	v_fma_f64 v[40:41], -v[40:41], v[54:55], v[56:57]
	s_delay_alu instid0(VALU_DEP_1) | instskip(NEXT) | instid1(VALU_DEP_1)
	v_div_fmas_f64 v[40:41], v[40:41], v[42:43], v[54:55]
	v_div_fixup_f64 v[40:41], v[40:41], v[38:39], v[36:37]
	s_delay_alu instid0(VALU_DEP_1) | instskip(NEXT) | instid1(VALU_DEP_1)
	v_fma_f64 v[42:43], v[36:37], v[40:41], v[38:39]
	v_div_scale_f64 v[54:55], null, v[42:43], v[42:43], 1.0
	v_div_scale_f64 v[61:62], vcc_lo, 1.0, v[42:43], 1.0
	s_delay_alu instid0(VALU_DEP_2) | instskip(SKIP_2) | instid1(VALU_DEP_1)
	v_rcp_f64_e32 v[56:57], v[54:55]
	s_waitcnt_depctr 0xfff
	v_fma_f64 v[59:60], -v[54:55], v[56:57], 1.0
	v_fma_f64 v[56:57], v[56:57], v[59:60], v[56:57]
	s_delay_alu instid0(VALU_DEP_1) | instskip(NEXT) | instid1(VALU_DEP_1)
	v_fma_f64 v[59:60], -v[54:55], v[56:57], 1.0
	v_fma_f64 v[56:57], v[56:57], v[59:60], v[56:57]
	s_delay_alu instid0(VALU_DEP_1) | instskip(NEXT) | instid1(VALU_DEP_1)
	v_mul_f64 v[59:60], v[61:62], v[56:57]
	v_fma_f64 v[54:55], -v[54:55], v[59:60], v[61:62]
	s_delay_alu instid0(VALU_DEP_1) | instskip(SKIP_2) | instid1(VALU_DEP_3)
	v_div_fmas_f64 v[54:55], v[54:55], v[56:57], v[59:60]
	v_fma_f64 v[56:57], v[32:33], v[40:41], v[34:35]
	v_fma_f64 v[40:41], v[34:35], v[40:41], -v[32:33]
	v_div_fixup_f64 v[54:55], v[54:55], v[42:43], 1.0
	s_delay_alu instid0(VALU_DEP_1) | instskip(NEXT) | instid1(VALU_DEP_3)
	v_mul_f64 v[42:43], v[56:57], v[54:55]
	v_mul_f64 v[40:41], v[40:41], v[54:55]
.LBB51_143:                             ;   in Loop: Header=BB51_114 Depth=1
	s_or_b32 exec_lo, exec_lo, s1
	s_delay_alu instid0(VALU_DEP_1) | instskip(SKIP_1) | instid1(VALU_DEP_2)
	v_mul_f64 v[54:55], s[10:11], v[40:41]
	v_mul_f64 v[56:57], s[8:9], v[40:41]
	v_fma_f64 v[40:41], s[8:9], v[42:43], -v[54:55]
	s_delay_alu instid0(VALU_DEP_2)
	v_fma_f64 v[42:43], s[10:11], v[42:43], v[56:57]
	s_branch .LBB51_154
.LBB51_144:                             ;   in Loop: Header=BB51_114 Depth=1
                                        ; implicit-def: $vgpr42_vgpr43
                                        ; implicit-def: $vgpr40_vgpr41
	s_cbranch_execz .LBB51_154
; %bb.145:                              ;   in Loop: Header=BB51_114 Depth=1
                                        ; implicit-def: $vgpr42_vgpr43
                                        ; implicit-def: $vgpr40_vgpr41
	s_delay_alu instid0(VALU_DEP_1) | instskip(NEXT) | instid1(SALU_CYCLE_1)
	s_and_saveexec_b32 s1, s0
	s_xor_b32 s1, exec_lo, s1
	s_cbranch_execz .LBB51_151
; %bb.146:                              ;   in Loop: Header=BB51_114 Depth=1
	v_cmp_neq_f64_e32 vcc_lo, 0, v[36:37]
	v_cmp_neq_f64_e64 s0, 0, v[38:39]
                                        ; implicit-def: $vgpr42_vgpr43
                                        ; implicit-def: $vgpr40_vgpr41
	s_delay_alu instid0(VALU_DEP_1) | instskip(NEXT) | instid1(SALU_CYCLE_1)
	s_or_b32 s0, vcc_lo, s0
	s_and_saveexec_b32 s6, s0
	s_delay_alu instid0(SALU_CYCLE_1)
	s_xor_b32 s0, exec_lo, s6
	s_cbranch_execz .LBB51_148
; %bb.147:                              ;   in Loop: Header=BB51_114 Depth=1
	v_div_scale_f64 v[40:41], null, v[36:37], v[36:37], v[38:39]
	v_div_scale_f64 v[46:47], vcc_lo, v[38:39], v[36:37], v[38:39]
	s_delay_alu instid0(VALU_DEP_2) | instskip(SKIP_2) | instid1(VALU_DEP_1)
	v_rcp_f64_e32 v[42:43], v[40:41]
	s_waitcnt_depctr 0xfff
	v_fma_f64 v[44:45], -v[40:41], v[42:43], 1.0
	v_fma_f64 v[42:43], v[42:43], v[44:45], v[42:43]
	s_delay_alu instid0(VALU_DEP_1) | instskip(NEXT) | instid1(VALU_DEP_1)
	v_fma_f64 v[44:45], -v[40:41], v[42:43], 1.0
	v_fma_f64 v[42:43], v[42:43], v[44:45], v[42:43]
	s_delay_alu instid0(VALU_DEP_1) | instskip(NEXT) | instid1(VALU_DEP_1)
	v_mul_f64 v[44:45], v[46:47], v[42:43]
	v_fma_f64 v[40:41], -v[40:41], v[44:45], v[46:47]
	s_delay_alu instid0(VALU_DEP_1) | instskip(NEXT) | instid1(VALU_DEP_1)
	v_div_fmas_f64 v[40:41], v[40:41], v[42:43], v[44:45]
	v_div_fixup_f64 v[40:41], v[40:41], v[36:37], v[38:39]
	s_delay_alu instid0(VALU_DEP_1) | instskip(NEXT) | instid1(VALU_DEP_1)
	v_fma_f64 v[36:37], v[38:39], v[40:41], v[36:37]
	v_div_scale_f64 v[38:39], null, v[36:37], v[36:37], 1.0
	v_div_scale_f64 v[46:47], vcc_lo, 1.0, v[36:37], 1.0
	s_delay_alu instid0(VALU_DEP_2) | instskip(SKIP_2) | instid1(VALU_DEP_1)
	v_rcp_f64_e32 v[42:43], v[38:39]
	s_waitcnt_depctr 0xfff
	v_fma_f64 v[44:45], -v[38:39], v[42:43], 1.0
	v_fma_f64 v[42:43], v[42:43], v[44:45], v[42:43]
	s_delay_alu instid0(VALU_DEP_1) | instskip(NEXT) | instid1(VALU_DEP_1)
	v_fma_f64 v[44:45], -v[38:39], v[42:43], 1.0
	v_fma_f64 v[42:43], v[42:43], v[44:45], v[42:43]
	s_delay_alu instid0(VALU_DEP_1) | instskip(NEXT) | instid1(VALU_DEP_1)
	v_mul_f64 v[44:45], v[46:47], v[42:43]
	v_fma_f64 v[38:39], -v[38:39], v[44:45], v[46:47]
                                        ; implicit-def: $vgpr46_vgpr47
	s_delay_alu instid0(VALU_DEP_1) | instskip(SKIP_2) | instid1(VALU_DEP_3)
	v_div_fmas_f64 v[38:39], v[38:39], v[42:43], v[44:45]
	v_fma_f64 v[42:43], v[34:35], v[40:41], v[32:33]
	v_fma_f64 v[32:33], -v[32:33], v[40:41], v[34:35]
                                        ; implicit-def: $vgpr44_vgpr45
	v_div_fixup_f64 v[36:37], v[38:39], v[36:37], 1.0
	s_delay_alu instid0(VALU_DEP_1) | instskip(NEXT) | instid1(VALU_DEP_3)
	v_mul_f64 v[40:41], v[42:43], v[36:37]
	v_mul_f64 v[42:43], v[32:33], v[36:37]
                                        ; implicit-def: $vgpr32_vgpr33
.LBB51_148:                             ;   in Loop: Header=BB51_114 Depth=1
	s_and_not1_saveexec_b32 s6, s0
	s_cbranch_execz .LBB51_150
; %bb.149:                              ;   in Loop: Header=BB51_114 Depth=1
	v_div_scale_f64 v[36:37], null, v[44:45], v[44:45], v[32:33]
	v_div_scale_f64 v[38:39], null, v[46:47], v[46:47], v[34:35]
	v_div_scale_f64 v[59:60], vcc_lo, v[32:33], v[44:45], v[32:33]
	s_delay_alu instid0(VALU_DEP_3) | instskip(NEXT) | instid1(VALU_DEP_2)
	v_rcp_f64_e32 v[40:41], v[36:37]
	v_rcp_f64_e32 v[42:43], v[38:39]
	s_waitcnt_depctr 0xfff
	v_fma_f64 v[54:55], -v[36:37], v[40:41], 1.0
	v_fma_f64 v[56:57], -v[38:39], v[42:43], 1.0
	s_delay_alu instid0(VALU_DEP_2) | instskip(NEXT) | instid1(VALU_DEP_2)
	v_fma_f64 v[40:41], v[40:41], v[54:55], v[40:41]
	v_fma_f64 v[42:43], v[42:43], v[56:57], v[42:43]
	s_delay_alu instid0(VALU_DEP_2) | instskip(NEXT) | instid1(VALU_DEP_2)
	v_fma_f64 v[54:55], -v[36:37], v[40:41], 1.0
	v_fma_f64 v[56:57], -v[38:39], v[42:43], 1.0
	s_delay_alu instid0(VALU_DEP_2) | instskip(SKIP_1) | instid1(VALU_DEP_3)
	v_fma_f64 v[40:41], v[40:41], v[54:55], v[40:41]
	v_div_scale_f64 v[54:55], s0, v[34:35], v[46:47], v[34:35]
	v_fma_f64 v[42:43], v[42:43], v[56:57], v[42:43]
	s_delay_alu instid0(VALU_DEP_3) | instskip(NEXT) | instid1(VALU_DEP_2)
	v_mul_f64 v[56:57], v[59:60], v[40:41]
	v_mul_f64 v[61:62], v[54:55], v[42:43]
	s_delay_alu instid0(VALU_DEP_2) | instskip(NEXT) | instid1(VALU_DEP_2)
	v_fma_f64 v[36:37], -v[36:37], v[56:57], v[59:60]
	v_fma_f64 v[38:39], -v[38:39], v[61:62], v[54:55]
	s_delay_alu instid0(VALU_DEP_2) | instskip(SKIP_1) | instid1(VALU_DEP_2)
	v_div_fmas_f64 v[36:37], v[36:37], v[40:41], v[56:57]
	s_mov_b32 vcc_lo, s0
	v_div_fmas_f64 v[38:39], v[38:39], v[42:43], v[61:62]
	s_delay_alu instid0(VALU_DEP_2) | instskip(NEXT) | instid1(VALU_DEP_2)
	v_div_fixup_f64 v[40:41], v[36:37], v[44:45], v[32:33]
	v_div_fixup_f64 v[42:43], v[38:39], v[46:47], v[34:35]
.LBB51_150:                             ;   in Loop: Header=BB51_114 Depth=1
	s_or_b32 exec_lo, exec_lo, s6
                                        ; implicit-def: $vgpr38_vgpr39
                                        ; implicit-def: $vgpr32_vgpr33
.LBB51_151:                             ;   in Loop: Header=BB51_114 Depth=1
	s_and_not1_saveexec_b32 s0, s1
	s_cbranch_execz .LBB51_153
; %bb.152:                              ;   in Loop: Header=BB51_114 Depth=1
	v_div_scale_f64 v[40:41], null, v[38:39], v[38:39], v[36:37]
	v_div_scale_f64 v[46:47], vcc_lo, v[36:37], v[38:39], v[36:37]
	s_delay_alu instid0(VALU_DEP_2) | instskip(SKIP_2) | instid1(VALU_DEP_1)
	v_rcp_f64_e32 v[42:43], v[40:41]
	s_waitcnt_depctr 0xfff
	v_fma_f64 v[44:45], -v[40:41], v[42:43], 1.0
	v_fma_f64 v[42:43], v[42:43], v[44:45], v[42:43]
	s_delay_alu instid0(VALU_DEP_1) | instskip(NEXT) | instid1(VALU_DEP_1)
	v_fma_f64 v[44:45], -v[40:41], v[42:43], 1.0
	v_fma_f64 v[42:43], v[42:43], v[44:45], v[42:43]
	s_delay_alu instid0(VALU_DEP_1) | instskip(NEXT) | instid1(VALU_DEP_1)
	v_mul_f64 v[44:45], v[46:47], v[42:43]
	v_fma_f64 v[40:41], -v[40:41], v[44:45], v[46:47]
	s_delay_alu instid0(VALU_DEP_1) | instskip(NEXT) | instid1(VALU_DEP_1)
	v_div_fmas_f64 v[40:41], v[40:41], v[42:43], v[44:45]
	v_div_fixup_f64 v[40:41], v[40:41], v[38:39], v[36:37]
	s_delay_alu instid0(VALU_DEP_1) | instskip(NEXT) | instid1(VALU_DEP_1)
	v_fma_f64 v[36:37], v[36:37], v[40:41], v[38:39]
	v_div_scale_f64 v[38:39], null, v[36:37], v[36:37], 1.0
	v_div_scale_f64 v[46:47], vcc_lo, 1.0, v[36:37], 1.0
	s_delay_alu instid0(VALU_DEP_2) | instskip(SKIP_2) | instid1(VALU_DEP_1)
	v_rcp_f64_e32 v[42:43], v[38:39]
	s_waitcnt_depctr 0xfff
	v_fma_f64 v[44:45], -v[38:39], v[42:43], 1.0
	v_fma_f64 v[42:43], v[42:43], v[44:45], v[42:43]
	s_delay_alu instid0(VALU_DEP_1) | instskip(NEXT) | instid1(VALU_DEP_1)
	v_fma_f64 v[44:45], -v[38:39], v[42:43], 1.0
	v_fma_f64 v[42:43], v[42:43], v[44:45], v[42:43]
	s_delay_alu instid0(VALU_DEP_1) | instskip(NEXT) | instid1(VALU_DEP_1)
	v_mul_f64 v[44:45], v[46:47], v[42:43]
	v_fma_f64 v[38:39], -v[38:39], v[44:45], v[46:47]
	s_delay_alu instid0(VALU_DEP_1) | instskip(SKIP_2) | instid1(VALU_DEP_3)
	v_div_fmas_f64 v[38:39], v[38:39], v[42:43], v[44:45]
	v_fma_f64 v[42:43], v[32:33], v[40:41], v[34:35]
	v_fma_f64 v[32:33], v[34:35], v[40:41], -v[32:33]
	v_div_fixup_f64 v[36:37], v[38:39], v[36:37], 1.0
	s_delay_alu instid0(VALU_DEP_1) | instskip(NEXT) | instid1(VALU_DEP_3)
	v_mul_f64 v[40:41], v[42:43], v[36:37]
	v_mul_f64 v[42:43], v[32:33], v[36:37]
.LBB51_153:                             ;   in Loop: Header=BB51_114 Depth=1
	s_or_b32 exec_lo, exec_lo, s0
.LBB51_154:                             ;   in Loop: Header=BB51_114 Depth=1
	s_waitcnt vmcnt(0)
	v_cmp_gt_f64_e32 vcc_lo, 0, v[28:29]
	v_xor_b32_e32 v32, 0x80000000, v29
	v_mov_b32_e32 v36, v28
	v_xor_b32_e32 v33, 0x80000000, v31
	s_delay_alu instid0(VALU_DEP_3) | instskip(SKIP_1) | instid1(VALU_DEP_3)
	v_dual_mov_b32 v38, v30 :: v_dual_cndmask_b32 v37, v29, v32
	v_cmp_gt_f64_e32 vcc_lo, 0, v[30:31]
	v_cndmask_b32_e32 v39, v31, v33, vcc_lo
	s_and_not1_b32 vcc_lo, exec_lo, s4
	s_delay_alu instid0(VALU_DEP_1)
	v_cmp_ge_f64_e64 s0, v[36:37], v[38:39]
	s_cbranch_vccnz .LBB51_164
; %bb.155:                              ;   in Loop: Header=BB51_114 Depth=1
                                        ; implicit-def: $vgpr32_vgpr33
                                        ; implicit-def: $vgpr34_vgpr35
	s_delay_alu instid0(VALU_DEP_1) | instskip(NEXT) | instid1(SALU_CYCLE_1)
	s_and_saveexec_b32 s1, s0
	s_xor_b32 s6, exec_lo, s1
	s_cbranch_execz .LBB51_161
; %bb.156:                              ;   in Loop: Header=BB51_114 Depth=1
	v_cmp_neq_f64_e32 vcc_lo, 0, v[28:29]
	v_cmp_neq_f64_e64 s1, 0, v[30:31]
                                        ; implicit-def: $vgpr32_vgpr33
                                        ; implicit-def: $vgpr34_vgpr35
	s_delay_alu instid0(VALU_DEP_1) | instskip(NEXT) | instid1(SALU_CYCLE_1)
	s_or_b32 s1, vcc_lo, s1
	s_and_saveexec_b32 s7, s1
	s_delay_alu instid0(SALU_CYCLE_1)
	s_xor_b32 s1, exec_lo, s7
	s_cbranch_execz .LBB51_158
; %bb.157:                              ;   in Loop: Header=BB51_114 Depth=1
	v_div_scale_f64 v[32:33], null, v[28:29], v[28:29], v[30:31]
	v_div_scale_f64 v[46:47], vcc_lo, v[30:31], v[28:29], v[30:31]
	s_delay_alu instid0(VALU_DEP_2) | instskip(SKIP_2) | instid1(VALU_DEP_1)
	v_rcp_f64_e32 v[34:35], v[32:33]
	s_waitcnt_depctr 0xfff
	v_fma_f64 v[44:45], -v[32:33], v[34:35], 1.0
	v_fma_f64 v[34:35], v[34:35], v[44:45], v[34:35]
	s_delay_alu instid0(VALU_DEP_1) | instskip(NEXT) | instid1(VALU_DEP_1)
	v_fma_f64 v[44:45], -v[32:33], v[34:35], 1.0
	v_fma_f64 v[34:35], v[34:35], v[44:45], v[34:35]
	s_delay_alu instid0(VALU_DEP_1) | instskip(NEXT) | instid1(VALU_DEP_1)
	v_mul_f64 v[44:45], v[46:47], v[34:35]
	v_fma_f64 v[32:33], -v[32:33], v[44:45], v[46:47]
	s_delay_alu instid0(VALU_DEP_1) | instskip(NEXT) | instid1(VALU_DEP_1)
	v_div_fmas_f64 v[32:33], v[32:33], v[34:35], v[44:45]
	v_div_fixup_f64 v[32:33], v[32:33], v[28:29], v[30:31]
	s_delay_alu instid0(VALU_DEP_1) | instskip(NEXT) | instid1(VALU_DEP_1)
	v_fma_f64 v[34:35], v[30:31], v[32:33], v[28:29]
	v_div_scale_f64 v[44:45], null, v[34:35], v[34:35], 1.0
	v_div_scale_f64 v[56:57], vcc_lo, 1.0, v[34:35], 1.0
	s_delay_alu instid0(VALU_DEP_2) | instskip(SKIP_2) | instid1(VALU_DEP_1)
	v_rcp_f64_e32 v[46:47], v[44:45]
	s_waitcnt_depctr 0xfff
	v_fma_f64 v[54:55], -v[44:45], v[46:47], 1.0
	v_fma_f64 v[46:47], v[46:47], v[54:55], v[46:47]
	s_delay_alu instid0(VALU_DEP_1) | instskip(NEXT) | instid1(VALU_DEP_1)
	v_fma_f64 v[54:55], -v[44:45], v[46:47], 1.0
	v_fma_f64 v[46:47], v[46:47], v[54:55], v[46:47]
	s_delay_alu instid0(VALU_DEP_1) | instskip(NEXT) | instid1(VALU_DEP_1)
	v_mul_f64 v[54:55], v[56:57], v[46:47]
	v_fma_f64 v[44:45], -v[44:45], v[54:55], v[56:57]
	s_delay_alu instid0(VALU_DEP_1) | instskip(SKIP_2) | instid1(VALU_DEP_3)
	v_div_fmas_f64 v[44:45], v[44:45], v[46:47], v[54:55]
	v_fma_f64 v[46:47], v[26:27], v[32:33], v[24:25]
	v_fma_f64 v[32:33], -v[24:25], v[32:33], v[26:27]
	v_div_fixup_f64 v[44:45], v[44:45], v[34:35], 1.0
	s_delay_alu instid0(VALU_DEP_1) | instskip(NEXT) | instid1(VALU_DEP_3)
	v_mul_f64 v[34:35], v[46:47], v[44:45]
	v_mul_f64 v[32:33], v[32:33], v[44:45]
.LBB51_158:                             ;   in Loop: Header=BB51_114 Depth=1
	s_and_not1_saveexec_b32 s7, s1
	s_cbranch_execz .LBB51_160
; %bb.159:                              ;   in Loop: Header=BB51_114 Depth=1
	v_div_scale_f64 v[32:33], null, v[36:37], v[36:37], v[24:25]
	v_div_scale_f64 v[34:35], null, v[38:39], v[38:39], v[26:27]
	v_div_scale_f64 v[59:60], vcc_lo, v[24:25], v[36:37], v[24:25]
	s_delay_alu instid0(VALU_DEP_3) | instskip(NEXT) | instid1(VALU_DEP_2)
	v_rcp_f64_e32 v[44:45], v[32:33]
	v_rcp_f64_e32 v[46:47], v[34:35]
	s_waitcnt_depctr 0xfff
	v_fma_f64 v[54:55], -v[32:33], v[44:45], 1.0
	v_fma_f64 v[56:57], -v[34:35], v[46:47], 1.0
	s_delay_alu instid0(VALU_DEP_2) | instskip(NEXT) | instid1(VALU_DEP_2)
	v_fma_f64 v[44:45], v[44:45], v[54:55], v[44:45]
	v_fma_f64 v[46:47], v[46:47], v[56:57], v[46:47]
	s_delay_alu instid0(VALU_DEP_2) | instskip(NEXT) | instid1(VALU_DEP_2)
	v_fma_f64 v[54:55], -v[32:33], v[44:45], 1.0
	v_fma_f64 v[56:57], -v[34:35], v[46:47], 1.0
	s_delay_alu instid0(VALU_DEP_2) | instskip(SKIP_1) | instid1(VALU_DEP_3)
	v_fma_f64 v[44:45], v[44:45], v[54:55], v[44:45]
	v_div_scale_f64 v[54:55], s1, v[26:27], v[38:39], v[26:27]
	v_fma_f64 v[46:47], v[46:47], v[56:57], v[46:47]
	s_delay_alu instid0(VALU_DEP_3) | instskip(NEXT) | instid1(VALU_DEP_2)
	v_mul_f64 v[56:57], v[59:60], v[44:45]
	v_mul_f64 v[61:62], v[54:55], v[46:47]
	s_delay_alu instid0(VALU_DEP_2) | instskip(NEXT) | instid1(VALU_DEP_2)
	v_fma_f64 v[32:33], -v[32:33], v[56:57], v[59:60]
	v_fma_f64 v[34:35], -v[34:35], v[61:62], v[54:55]
	s_delay_alu instid0(VALU_DEP_2) | instskip(SKIP_1) | instid1(VALU_DEP_2)
	v_div_fmas_f64 v[32:33], v[32:33], v[44:45], v[56:57]
	s_mov_b32 vcc_lo, s1
	v_div_fmas_f64 v[44:45], v[34:35], v[46:47], v[61:62]
	s_delay_alu instid0(VALU_DEP_2) | instskip(NEXT) | instid1(VALU_DEP_2)
	v_div_fixup_f64 v[34:35], v[32:33], v[36:37], v[24:25]
	v_div_fixup_f64 v[32:33], v[44:45], v[38:39], v[26:27]
.LBB51_160:                             ;   in Loop: Header=BB51_114 Depth=1
	s_or_b32 exec_lo, exec_lo, s7
.LBB51_161:                             ;   in Loop: Header=BB51_114 Depth=1
	s_and_not1_saveexec_b32 s1, s6
	s_cbranch_execz .LBB51_163
; %bb.162:                              ;   in Loop: Header=BB51_114 Depth=1
	v_div_scale_f64 v[32:33], null, v[30:31], v[30:31], v[28:29]
	v_div_scale_f64 v[46:47], vcc_lo, v[28:29], v[30:31], v[28:29]
	s_delay_alu instid0(VALU_DEP_2) | instskip(SKIP_2) | instid1(VALU_DEP_1)
	v_rcp_f64_e32 v[34:35], v[32:33]
	s_waitcnt_depctr 0xfff
	v_fma_f64 v[44:45], -v[32:33], v[34:35], 1.0
	v_fma_f64 v[34:35], v[34:35], v[44:45], v[34:35]
	s_delay_alu instid0(VALU_DEP_1) | instskip(NEXT) | instid1(VALU_DEP_1)
	v_fma_f64 v[44:45], -v[32:33], v[34:35], 1.0
	v_fma_f64 v[34:35], v[34:35], v[44:45], v[34:35]
	s_delay_alu instid0(VALU_DEP_1) | instskip(NEXT) | instid1(VALU_DEP_1)
	v_mul_f64 v[44:45], v[46:47], v[34:35]
	v_fma_f64 v[32:33], -v[32:33], v[44:45], v[46:47]
	s_delay_alu instid0(VALU_DEP_1) | instskip(NEXT) | instid1(VALU_DEP_1)
	v_div_fmas_f64 v[32:33], v[32:33], v[34:35], v[44:45]
	v_div_fixup_f64 v[32:33], v[32:33], v[30:31], v[28:29]
	s_delay_alu instid0(VALU_DEP_1) | instskip(NEXT) | instid1(VALU_DEP_1)
	v_fma_f64 v[34:35], v[28:29], v[32:33], v[30:31]
	v_div_scale_f64 v[44:45], null, v[34:35], v[34:35], 1.0
	v_div_scale_f64 v[56:57], vcc_lo, 1.0, v[34:35], 1.0
	s_delay_alu instid0(VALU_DEP_2) | instskip(SKIP_2) | instid1(VALU_DEP_1)
	v_rcp_f64_e32 v[46:47], v[44:45]
	s_waitcnt_depctr 0xfff
	v_fma_f64 v[54:55], -v[44:45], v[46:47], 1.0
	v_fma_f64 v[46:47], v[46:47], v[54:55], v[46:47]
	s_delay_alu instid0(VALU_DEP_1) | instskip(NEXT) | instid1(VALU_DEP_1)
	v_fma_f64 v[54:55], -v[44:45], v[46:47], 1.0
	v_fma_f64 v[46:47], v[46:47], v[54:55], v[46:47]
	s_delay_alu instid0(VALU_DEP_1) | instskip(NEXT) | instid1(VALU_DEP_1)
	v_mul_f64 v[54:55], v[56:57], v[46:47]
	v_fma_f64 v[44:45], -v[44:45], v[54:55], v[56:57]
	s_delay_alu instid0(VALU_DEP_1) | instskip(SKIP_2) | instid1(VALU_DEP_3)
	v_div_fmas_f64 v[44:45], v[44:45], v[46:47], v[54:55]
	v_fma_f64 v[46:47], v[24:25], v[32:33], v[26:27]
	v_fma_f64 v[32:33], v[26:27], v[32:33], -v[24:25]
	v_div_fixup_f64 v[44:45], v[44:45], v[34:35], 1.0
	s_delay_alu instid0(VALU_DEP_1) | instskip(NEXT) | instid1(VALU_DEP_3)
	v_mul_f64 v[34:35], v[46:47], v[44:45]
	v_mul_f64 v[32:33], v[32:33], v[44:45]
.LBB51_163:                             ;   in Loop: Header=BB51_114 Depth=1
	s_or_b32 exec_lo, exec_lo, s1
	s_delay_alu instid0(VALU_DEP_1) | instskip(SKIP_1) | instid1(VALU_DEP_2)
	v_mul_f64 v[44:45], s[10:11], v[32:33]
	v_mul_f64 v[46:47], s[8:9], v[32:33]
	v_fma_f64 v[32:33], s[8:9], v[34:35], -v[44:45]
	s_delay_alu instid0(VALU_DEP_2)
	v_fma_f64 v[34:35], s[10:11], v[34:35], v[46:47]
	s_branch .LBB51_174
.LBB51_164:                             ;   in Loop: Header=BB51_114 Depth=1
                                        ; implicit-def: $vgpr34_vgpr35
                                        ; implicit-def: $vgpr32_vgpr33
	s_cbranch_execz .LBB51_174
; %bb.165:                              ;   in Loop: Header=BB51_114 Depth=1
                                        ; implicit-def: $vgpr34_vgpr35
                                        ; implicit-def: $vgpr32_vgpr33
	s_delay_alu instid0(VALU_DEP_1) | instskip(NEXT) | instid1(SALU_CYCLE_1)
	s_and_saveexec_b32 s1, s0
	s_xor_b32 s1, exec_lo, s1
	s_cbranch_execz .LBB51_171
; %bb.166:                              ;   in Loop: Header=BB51_114 Depth=1
	v_cmp_neq_f64_e32 vcc_lo, 0, v[28:29]
	v_cmp_neq_f64_e64 s0, 0, v[30:31]
                                        ; implicit-def: $vgpr34_vgpr35
                                        ; implicit-def: $vgpr32_vgpr33
	s_delay_alu instid0(VALU_DEP_1) | instskip(NEXT) | instid1(SALU_CYCLE_1)
	s_or_b32 s0, vcc_lo, s0
	s_and_saveexec_b32 s6, s0
	s_delay_alu instid0(SALU_CYCLE_1)
	s_xor_b32 s0, exec_lo, s6
	s_cbranch_execz .LBB51_168
; %bb.167:                              ;   in Loop: Header=BB51_114 Depth=1
	v_div_scale_f64 v[32:33], null, v[28:29], v[28:29], v[30:31]
	v_div_scale_f64 v[38:39], vcc_lo, v[30:31], v[28:29], v[30:31]
	s_delay_alu instid0(VALU_DEP_2) | instskip(SKIP_2) | instid1(VALU_DEP_1)
	v_rcp_f64_e32 v[34:35], v[32:33]
	s_waitcnt_depctr 0xfff
	v_fma_f64 v[36:37], -v[32:33], v[34:35], 1.0
	v_fma_f64 v[34:35], v[34:35], v[36:37], v[34:35]
	s_delay_alu instid0(VALU_DEP_1) | instskip(NEXT) | instid1(VALU_DEP_1)
	v_fma_f64 v[36:37], -v[32:33], v[34:35], 1.0
	v_fma_f64 v[34:35], v[34:35], v[36:37], v[34:35]
	s_delay_alu instid0(VALU_DEP_1) | instskip(NEXT) | instid1(VALU_DEP_1)
	v_mul_f64 v[36:37], v[38:39], v[34:35]
	v_fma_f64 v[32:33], -v[32:33], v[36:37], v[38:39]
	s_delay_alu instid0(VALU_DEP_1) | instskip(NEXT) | instid1(VALU_DEP_1)
	v_div_fmas_f64 v[32:33], v[32:33], v[34:35], v[36:37]
	v_div_fixup_f64 v[32:33], v[32:33], v[28:29], v[30:31]
	s_delay_alu instid0(VALU_DEP_1) | instskip(NEXT) | instid1(VALU_DEP_1)
	v_fma_f64 v[28:29], v[30:31], v[32:33], v[28:29]
	v_div_scale_f64 v[30:31], null, v[28:29], v[28:29], 1.0
	v_div_scale_f64 v[38:39], vcc_lo, 1.0, v[28:29], 1.0
	s_delay_alu instid0(VALU_DEP_2) | instskip(SKIP_2) | instid1(VALU_DEP_1)
	v_rcp_f64_e32 v[34:35], v[30:31]
	s_waitcnt_depctr 0xfff
	v_fma_f64 v[36:37], -v[30:31], v[34:35], 1.0
	v_fma_f64 v[34:35], v[34:35], v[36:37], v[34:35]
	s_delay_alu instid0(VALU_DEP_1) | instskip(NEXT) | instid1(VALU_DEP_1)
	v_fma_f64 v[36:37], -v[30:31], v[34:35], 1.0
	v_fma_f64 v[34:35], v[34:35], v[36:37], v[34:35]
	s_delay_alu instid0(VALU_DEP_1) | instskip(NEXT) | instid1(VALU_DEP_1)
	v_mul_f64 v[36:37], v[38:39], v[34:35]
	v_fma_f64 v[30:31], -v[30:31], v[36:37], v[38:39]
                                        ; implicit-def: $vgpr38_vgpr39
	s_delay_alu instid0(VALU_DEP_1) | instskip(SKIP_2) | instid1(VALU_DEP_3)
	v_div_fmas_f64 v[30:31], v[30:31], v[34:35], v[36:37]
	v_fma_f64 v[34:35], v[26:27], v[32:33], v[24:25]
	v_fma_f64 v[24:25], -v[24:25], v[32:33], v[26:27]
                                        ; implicit-def: $vgpr36_vgpr37
	v_div_fixup_f64 v[28:29], v[30:31], v[28:29], 1.0
	s_delay_alu instid0(VALU_DEP_1) | instskip(NEXT) | instid1(VALU_DEP_3)
	v_mul_f64 v[32:33], v[34:35], v[28:29]
	v_mul_f64 v[34:35], v[24:25], v[28:29]
                                        ; implicit-def: $vgpr24_vgpr25
.LBB51_168:                             ;   in Loop: Header=BB51_114 Depth=1
	s_and_not1_saveexec_b32 s6, s0
	s_cbranch_execz .LBB51_170
; %bb.169:                              ;   in Loop: Header=BB51_114 Depth=1
	v_div_scale_f64 v[28:29], null, v[36:37], v[36:37], v[24:25]
	v_div_scale_f64 v[30:31], null, v[38:39], v[38:39], v[26:27]
	v_div_scale_f64 v[54:55], vcc_lo, v[24:25], v[36:37], v[24:25]
	s_delay_alu instid0(VALU_DEP_3) | instskip(NEXT) | instid1(VALU_DEP_2)
	v_rcp_f64_e32 v[32:33], v[28:29]
	v_rcp_f64_e32 v[34:35], v[30:31]
	s_waitcnt_depctr 0xfff
	v_fma_f64 v[44:45], -v[28:29], v[32:33], 1.0
	v_fma_f64 v[46:47], -v[30:31], v[34:35], 1.0
	s_delay_alu instid0(VALU_DEP_2) | instskip(NEXT) | instid1(VALU_DEP_2)
	v_fma_f64 v[32:33], v[32:33], v[44:45], v[32:33]
	v_fma_f64 v[34:35], v[34:35], v[46:47], v[34:35]
	s_delay_alu instid0(VALU_DEP_2) | instskip(NEXT) | instid1(VALU_DEP_2)
	v_fma_f64 v[44:45], -v[28:29], v[32:33], 1.0
	v_fma_f64 v[46:47], -v[30:31], v[34:35], 1.0
	s_delay_alu instid0(VALU_DEP_2) | instskip(SKIP_1) | instid1(VALU_DEP_3)
	v_fma_f64 v[32:33], v[32:33], v[44:45], v[32:33]
	v_div_scale_f64 v[44:45], s0, v[26:27], v[38:39], v[26:27]
	v_fma_f64 v[34:35], v[34:35], v[46:47], v[34:35]
	s_delay_alu instid0(VALU_DEP_3) | instskip(NEXT) | instid1(VALU_DEP_2)
	v_mul_f64 v[46:47], v[54:55], v[32:33]
	v_mul_f64 v[56:57], v[44:45], v[34:35]
	s_delay_alu instid0(VALU_DEP_2) | instskip(NEXT) | instid1(VALU_DEP_2)
	v_fma_f64 v[28:29], -v[28:29], v[46:47], v[54:55]
	v_fma_f64 v[30:31], -v[30:31], v[56:57], v[44:45]
	s_delay_alu instid0(VALU_DEP_2) | instskip(SKIP_1) | instid1(VALU_DEP_2)
	v_div_fmas_f64 v[28:29], v[28:29], v[32:33], v[46:47]
	s_mov_b32 vcc_lo, s0
	v_div_fmas_f64 v[30:31], v[30:31], v[34:35], v[56:57]
	s_delay_alu instid0(VALU_DEP_2) | instskip(NEXT) | instid1(VALU_DEP_2)
	v_div_fixup_f64 v[32:33], v[28:29], v[36:37], v[24:25]
	v_div_fixup_f64 v[34:35], v[30:31], v[38:39], v[26:27]
.LBB51_170:                             ;   in Loop: Header=BB51_114 Depth=1
	s_or_b32 exec_lo, exec_lo, s6
                                        ; implicit-def: $vgpr30_vgpr31
                                        ; implicit-def: $vgpr24_vgpr25
.LBB51_171:                             ;   in Loop: Header=BB51_114 Depth=1
	s_and_not1_saveexec_b32 s0, s1
	s_cbranch_execz .LBB51_173
; %bb.172:                              ;   in Loop: Header=BB51_114 Depth=1
	v_div_scale_f64 v[32:33], null, v[30:31], v[30:31], v[28:29]
	v_div_scale_f64 v[38:39], vcc_lo, v[28:29], v[30:31], v[28:29]
	s_delay_alu instid0(VALU_DEP_2) | instskip(SKIP_2) | instid1(VALU_DEP_1)
	v_rcp_f64_e32 v[34:35], v[32:33]
	s_waitcnt_depctr 0xfff
	v_fma_f64 v[36:37], -v[32:33], v[34:35], 1.0
	v_fma_f64 v[34:35], v[34:35], v[36:37], v[34:35]
	s_delay_alu instid0(VALU_DEP_1) | instskip(NEXT) | instid1(VALU_DEP_1)
	v_fma_f64 v[36:37], -v[32:33], v[34:35], 1.0
	v_fma_f64 v[34:35], v[34:35], v[36:37], v[34:35]
	s_delay_alu instid0(VALU_DEP_1) | instskip(NEXT) | instid1(VALU_DEP_1)
	v_mul_f64 v[36:37], v[38:39], v[34:35]
	v_fma_f64 v[32:33], -v[32:33], v[36:37], v[38:39]
	s_delay_alu instid0(VALU_DEP_1) | instskip(NEXT) | instid1(VALU_DEP_1)
	v_div_fmas_f64 v[32:33], v[32:33], v[34:35], v[36:37]
	v_div_fixup_f64 v[32:33], v[32:33], v[30:31], v[28:29]
	s_delay_alu instid0(VALU_DEP_1) | instskip(NEXT) | instid1(VALU_DEP_1)
	v_fma_f64 v[28:29], v[28:29], v[32:33], v[30:31]
	v_div_scale_f64 v[30:31], null, v[28:29], v[28:29], 1.0
	v_div_scale_f64 v[38:39], vcc_lo, 1.0, v[28:29], 1.0
	s_delay_alu instid0(VALU_DEP_2) | instskip(SKIP_2) | instid1(VALU_DEP_1)
	v_rcp_f64_e32 v[34:35], v[30:31]
	s_waitcnt_depctr 0xfff
	v_fma_f64 v[36:37], -v[30:31], v[34:35], 1.0
	v_fma_f64 v[34:35], v[34:35], v[36:37], v[34:35]
	s_delay_alu instid0(VALU_DEP_1) | instskip(NEXT) | instid1(VALU_DEP_1)
	v_fma_f64 v[36:37], -v[30:31], v[34:35], 1.0
	v_fma_f64 v[34:35], v[34:35], v[36:37], v[34:35]
	s_delay_alu instid0(VALU_DEP_1) | instskip(NEXT) | instid1(VALU_DEP_1)
	v_mul_f64 v[36:37], v[38:39], v[34:35]
	v_fma_f64 v[30:31], -v[30:31], v[36:37], v[38:39]
	s_delay_alu instid0(VALU_DEP_1) | instskip(SKIP_2) | instid1(VALU_DEP_3)
	v_div_fmas_f64 v[30:31], v[30:31], v[34:35], v[36:37]
	v_fma_f64 v[34:35], v[24:25], v[32:33], v[26:27]
	v_fma_f64 v[24:25], v[26:27], v[32:33], -v[24:25]
	v_div_fixup_f64 v[28:29], v[30:31], v[28:29], 1.0
	s_delay_alu instid0(VALU_DEP_1) | instskip(NEXT) | instid1(VALU_DEP_3)
	v_mul_f64 v[32:33], v[34:35], v[28:29]
	v_mul_f64 v[34:35], v[24:25], v[28:29]
.LBB51_173:                             ;   in Loop: Header=BB51_114 Depth=1
	s_or_b32 exec_lo, exec_lo, s0
.LBB51_174:                             ;   in Loop: Header=BB51_114 Depth=1
	v_cmp_gt_f64_e32 vcc_lo, 0, v[20:21]
	v_xor_b32_e32 v25, 0x80000000, v21
	v_mov_b32_e32 v24, v20
	v_xor_b32_e32 v26, 0x80000000, v23
	s_delay_alu instid0(VALU_DEP_3) | instskip(SKIP_1) | instid1(VALU_DEP_3)
	v_cndmask_b32_e32 v25, v21, v25, vcc_lo
	v_cmp_gt_f64_e32 vcc_lo, 0, v[22:23]
	v_dual_cndmask_b32 v27, v23, v26 :: v_dual_mov_b32 v26, v22
	s_and_not1_b32 vcc_lo, exec_lo, s4
	s_delay_alu instid0(VALU_DEP_1)
	v_cmp_ge_f64_e64 s0, v[24:25], v[26:27]
	s_cbranch_vccnz .LBB51_184
; %bb.175:                              ;   in Loop: Header=BB51_114 Depth=1
                                        ; implicit-def: $vgpr28_vgpr29
                                        ; implicit-def: $vgpr30_vgpr31
	s_delay_alu instid0(VALU_DEP_1) | instskip(NEXT) | instid1(SALU_CYCLE_1)
	s_and_saveexec_b32 s1, s0
	s_xor_b32 s6, exec_lo, s1
	s_cbranch_execz .LBB51_181
; %bb.176:                              ;   in Loop: Header=BB51_114 Depth=1
	v_cmp_neq_f64_e32 vcc_lo, 0, v[20:21]
	v_cmp_neq_f64_e64 s1, 0, v[22:23]
                                        ; implicit-def: $vgpr28_vgpr29
                                        ; implicit-def: $vgpr30_vgpr31
	s_delay_alu instid0(VALU_DEP_1) | instskip(NEXT) | instid1(SALU_CYCLE_1)
	s_or_b32 s1, vcc_lo, s1
	s_and_saveexec_b32 s7, s1
	s_delay_alu instid0(SALU_CYCLE_1)
	s_xor_b32 s1, exec_lo, s7
	s_cbranch_execz .LBB51_178
; %bb.177:                              ;   in Loop: Header=BB51_114 Depth=1
	v_div_scale_f64 v[28:29], null, v[20:21], v[20:21], v[22:23]
	v_div_scale_f64 v[38:39], vcc_lo, v[22:23], v[20:21], v[22:23]
	s_delay_alu instid0(VALU_DEP_2) | instskip(SKIP_2) | instid1(VALU_DEP_1)
	v_rcp_f64_e32 v[30:31], v[28:29]
	s_waitcnt_depctr 0xfff
	v_fma_f64 v[36:37], -v[28:29], v[30:31], 1.0
	v_fma_f64 v[30:31], v[30:31], v[36:37], v[30:31]
	s_delay_alu instid0(VALU_DEP_1) | instskip(NEXT) | instid1(VALU_DEP_1)
	v_fma_f64 v[36:37], -v[28:29], v[30:31], 1.0
	v_fma_f64 v[30:31], v[30:31], v[36:37], v[30:31]
	s_delay_alu instid0(VALU_DEP_1) | instskip(NEXT) | instid1(VALU_DEP_1)
	v_mul_f64 v[36:37], v[38:39], v[30:31]
	v_fma_f64 v[28:29], -v[28:29], v[36:37], v[38:39]
	s_delay_alu instid0(VALU_DEP_1) | instskip(NEXT) | instid1(VALU_DEP_1)
	v_div_fmas_f64 v[28:29], v[28:29], v[30:31], v[36:37]
	v_div_fixup_f64 v[28:29], v[28:29], v[20:21], v[22:23]
	s_delay_alu instid0(VALU_DEP_1) | instskip(NEXT) | instid1(VALU_DEP_1)
	v_fma_f64 v[30:31], v[22:23], v[28:29], v[20:21]
	v_div_scale_f64 v[36:37], null, v[30:31], v[30:31], 1.0
	v_div_scale_f64 v[46:47], vcc_lo, 1.0, v[30:31], 1.0
	s_delay_alu instid0(VALU_DEP_2) | instskip(SKIP_2) | instid1(VALU_DEP_1)
	v_rcp_f64_e32 v[38:39], v[36:37]
	s_waitcnt_depctr 0xfff
	v_fma_f64 v[44:45], -v[36:37], v[38:39], 1.0
	v_fma_f64 v[38:39], v[38:39], v[44:45], v[38:39]
	s_delay_alu instid0(VALU_DEP_1) | instskip(NEXT) | instid1(VALU_DEP_1)
	v_fma_f64 v[44:45], -v[36:37], v[38:39], 1.0
	v_fma_f64 v[38:39], v[38:39], v[44:45], v[38:39]
	s_delay_alu instid0(VALU_DEP_1) | instskip(NEXT) | instid1(VALU_DEP_1)
	v_mul_f64 v[44:45], v[46:47], v[38:39]
	v_fma_f64 v[36:37], -v[36:37], v[44:45], v[46:47]
	s_delay_alu instid0(VALU_DEP_1) | instskip(SKIP_2) | instid1(VALU_DEP_3)
	v_div_fmas_f64 v[36:37], v[36:37], v[38:39], v[44:45]
	v_fma_f64 v[38:39], v[18:19], v[28:29], v[16:17]
	v_fma_f64 v[28:29], -v[16:17], v[28:29], v[18:19]
	v_div_fixup_f64 v[36:37], v[36:37], v[30:31], 1.0
	s_delay_alu instid0(VALU_DEP_1) | instskip(NEXT) | instid1(VALU_DEP_3)
	v_mul_f64 v[30:31], v[38:39], v[36:37]
	v_mul_f64 v[28:29], v[28:29], v[36:37]
.LBB51_178:                             ;   in Loop: Header=BB51_114 Depth=1
	s_and_not1_saveexec_b32 s7, s1
	s_cbranch_execz .LBB51_180
; %bb.179:                              ;   in Loop: Header=BB51_114 Depth=1
	v_div_scale_f64 v[28:29], null, v[24:25], v[24:25], v[16:17]
	v_div_scale_f64 v[30:31], null, v[26:27], v[26:27], v[18:19]
	v_div_scale_f64 v[54:55], vcc_lo, v[16:17], v[24:25], v[16:17]
	s_delay_alu instid0(VALU_DEP_3) | instskip(NEXT) | instid1(VALU_DEP_2)
	v_rcp_f64_e32 v[36:37], v[28:29]
	v_rcp_f64_e32 v[38:39], v[30:31]
	s_waitcnt_depctr 0xfff
	v_fma_f64 v[44:45], -v[28:29], v[36:37], 1.0
	v_fma_f64 v[46:47], -v[30:31], v[38:39], 1.0
	s_delay_alu instid0(VALU_DEP_2) | instskip(NEXT) | instid1(VALU_DEP_2)
	v_fma_f64 v[36:37], v[36:37], v[44:45], v[36:37]
	v_fma_f64 v[38:39], v[38:39], v[46:47], v[38:39]
	s_delay_alu instid0(VALU_DEP_2) | instskip(NEXT) | instid1(VALU_DEP_2)
	v_fma_f64 v[44:45], -v[28:29], v[36:37], 1.0
	v_fma_f64 v[46:47], -v[30:31], v[38:39], 1.0
	s_delay_alu instid0(VALU_DEP_2) | instskip(SKIP_1) | instid1(VALU_DEP_3)
	v_fma_f64 v[36:37], v[36:37], v[44:45], v[36:37]
	v_div_scale_f64 v[44:45], s1, v[18:19], v[26:27], v[18:19]
	v_fma_f64 v[38:39], v[38:39], v[46:47], v[38:39]
	s_delay_alu instid0(VALU_DEP_3) | instskip(NEXT) | instid1(VALU_DEP_2)
	v_mul_f64 v[46:47], v[54:55], v[36:37]
	v_mul_f64 v[56:57], v[44:45], v[38:39]
	s_delay_alu instid0(VALU_DEP_2) | instskip(NEXT) | instid1(VALU_DEP_2)
	v_fma_f64 v[28:29], -v[28:29], v[46:47], v[54:55]
	v_fma_f64 v[30:31], -v[30:31], v[56:57], v[44:45]
	s_delay_alu instid0(VALU_DEP_2) | instskip(SKIP_1) | instid1(VALU_DEP_2)
	v_div_fmas_f64 v[28:29], v[28:29], v[36:37], v[46:47]
	s_mov_b32 vcc_lo, s1
	v_div_fmas_f64 v[36:37], v[30:31], v[38:39], v[56:57]
	s_delay_alu instid0(VALU_DEP_2) | instskip(NEXT) | instid1(VALU_DEP_2)
	v_div_fixup_f64 v[30:31], v[28:29], v[24:25], v[16:17]
	v_div_fixup_f64 v[28:29], v[36:37], v[26:27], v[18:19]
.LBB51_180:                             ;   in Loop: Header=BB51_114 Depth=1
	s_or_b32 exec_lo, exec_lo, s7
.LBB51_181:                             ;   in Loop: Header=BB51_114 Depth=1
	s_and_not1_saveexec_b32 s1, s6
	s_cbranch_execz .LBB51_183
; %bb.182:                              ;   in Loop: Header=BB51_114 Depth=1
	v_div_scale_f64 v[28:29], null, v[22:23], v[22:23], v[20:21]
	v_div_scale_f64 v[38:39], vcc_lo, v[20:21], v[22:23], v[20:21]
	s_delay_alu instid0(VALU_DEP_2) | instskip(SKIP_2) | instid1(VALU_DEP_1)
	v_rcp_f64_e32 v[30:31], v[28:29]
	s_waitcnt_depctr 0xfff
	v_fma_f64 v[36:37], -v[28:29], v[30:31], 1.0
	v_fma_f64 v[30:31], v[30:31], v[36:37], v[30:31]
	s_delay_alu instid0(VALU_DEP_1) | instskip(NEXT) | instid1(VALU_DEP_1)
	v_fma_f64 v[36:37], -v[28:29], v[30:31], 1.0
	v_fma_f64 v[30:31], v[30:31], v[36:37], v[30:31]
	s_delay_alu instid0(VALU_DEP_1) | instskip(NEXT) | instid1(VALU_DEP_1)
	v_mul_f64 v[36:37], v[38:39], v[30:31]
	v_fma_f64 v[28:29], -v[28:29], v[36:37], v[38:39]
	s_delay_alu instid0(VALU_DEP_1) | instskip(NEXT) | instid1(VALU_DEP_1)
	v_div_fmas_f64 v[28:29], v[28:29], v[30:31], v[36:37]
	v_div_fixup_f64 v[28:29], v[28:29], v[22:23], v[20:21]
	s_delay_alu instid0(VALU_DEP_1) | instskip(NEXT) | instid1(VALU_DEP_1)
	v_fma_f64 v[30:31], v[20:21], v[28:29], v[22:23]
	v_div_scale_f64 v[36:37], null, v[30:31], v[30:31], 1.0
	v_div_scale_f64 v[46:47], vcc_lo, 1.0, v[30:31], 1.0
	s_delay_alu instid0(VALU_DEP_2) | instskip(SKIP_2) | instid1(VALU_DEP_1)
	v_rcp_f64_e32 v[38:39], v[36:37]
	s_waitcnt_depctr 0xfff
	v_fma_f64 v[44:45], -v[36:37], v[38:39], 1.0
	v_fma_f64 v[38:39], v[38:39], v[44:45], v[38:39]
	s_delay_alu instid0(VALU_DEP_1) | instskip(NEXT) | instid1(VALU_DEP_1)
	v_fma_f64 v[44:45], -v[36:37], v[38:39], 1.0
	v_fma_f64 v[38:39], v[38:39], v[44:45], v[38:39]
	s_delay_alu instid0(VALU_DEP_1) | instskip(NEXT) | instid1(VALU_DEP_1)
	v_mul_f64 v[44:45], v[46:47], v[38:39]
	v_fma_f64 v[36:37], -v[36:37], v[44:45], v[46:47]
	s_delay_alu instid0(VALU_DEP_1) | instskip(SKIP_2) | instid1(VALU_DEP_3)
	v_div_fmas_f64 v[36:37], v[36:37], v[38:39], v[44:45]
	v_fma_f64 v[38:39], v[16:17], v[28:29], v[18:19]
	v_fma_f64 v[28:29], v[18:19], v[28:29], -v[16:17]
	v_div_fixup_f64 v[36:37], v[36:37], v[30:31], 1.0
	s_delay_alu instid0(VALU_DEP_1) | instskip(NEXT) | instid1(VALU_DEP_3)
	v_mul_f64 v[30:31], v[38:39], v[36:37]
	v_mul_f64 v[28:29], v[28:29], v[36:37]
.LBB51_183:                             ;   in Loop: Header=BB51_114 Depth=1
	s_or_b32 exec_lo, exec_lo, s1
	s_delay_alu instid0(VALU_DEP_1) | instskip(SKIP_1) | instid1(VALU_DEP_2)
	v_mul_f64 v[36:37], s[10:11], v[28:29]
	v_mul_f64 v[38:39], s[8:9], v[28:29]
	v_fma_f64 v[28:29], s[8:9], v[30:31], -v[36:37]
	s_delay_alu instid0(VALU_DEP_2)
	v_fma_f64 v[30:31], s[10:11], v[30:31], v[38:39]
	s_branch .LBB51_113
.LBB51_184:                             ;   in Loop: Header=BB51_114 Depth=1
                                        ; implicit-def: $vgpr30_vgpr31
                                        ; implicit-def: $vgpr28_vgpr29
	s_cbranch_execz .LBB51_113
; %bb.185:                              ;   in Loop: Header=BB51_114 Depth=1
                                        ; implicit-def: $vgpr30_vgpr31
                                        ; implicit-def: $vgpr28_vgpr29
	s_delay_alu instid0(VALU_DEP_1) | instskip(NEXT) | instid1(SALU_CYCLE_1)
	s_and_saveexec_b32 s1, s0
	s_xor_b32 s1, exec_lo, s1
	s_cbranch_execz .LBB51_191
; %bb.186:                              ;   in Loop: Header=BB51_114 Depth=1
	v_cmp_neq_f64_e32 vcc_lo, 0, v[20:21]
	v_cmp_neq_f64_e64 s0, 0, v[22:23]
                                        ; implicit-def: $vgpr30_vgpr31
                                        ; implicit-def: $vgpr28_vgpr29
	s_delay_alu instid0(VALU_DEP_1) | instskip(NEXT) | instid1(SALU_CYCLE_1)
	s_or_b32 s0, vcc_lo, s0
	s_and_saveexec_b32 s6, s0
	s_delay_alu instid0(SALU_CYCLE_1)
	s_xor_b32 s0, exec_lo, s6
	s_cbranch_execz .LBB51_188
; %bb.187:                              ;   in Loop: Header=BB51_114 Depth=1
	v_div_scale_f64 v[24:25], null, v[20:21], v[20:21], v[22:23]
	v_div_scale_f64 v[30:31], vcc_lo, v[22:23], v[20:21], v[22:23]
	s_delay_alu instid0(VALU_DEP_2) | instskip(SKIP_2) | instid1(VALU_DEP_1)
	v_rcp_f64_e32 v[26:27], v[24:25]
	s_waitcnt_depctr 0xfff
	v_fma_f64 v[28:29], -v[24:25], v[26:27], 1.0
	v_fma_f64 v[26:27], v[26:27], v[28:29], v[26:27]
	s_delay_alu instid0(VALU_DEP_1) | instskip(NEXT) | instid1(VALU_DEP_1)
	v_fma_f64 v[28:29], -v[24:25], v[26:27], 1.0
	v_fma_f64 v[26:27], v[26:27], v[28:29], v[26:27]
	s_delay_alu instid0(VALU_DEP_1) | instskip(NEXT) | instid1(VALU_DEP_1)
	v_mul_f64 v[28:29], v[30:31], v[26:27]
	v_fma_f64 v[24:25], -v[24:25], v[28:29], v[30:31]
	s_delay_alu instid0(VALU_DEP_1) | instskip(NEXT) | instid1(VALU_DEP_1)
	v_div_fmas_f64 v[24:25], v[24:25], v[26:27], v[28:29]
	v_div_fixup_f64 v[24:25], v[24:25], v[20:21], v[22:23]
	s_delay_alu instid0(VALU_DEP_1) | instskip(NEXT) | instid1(VALU_DEP_1)
	v_fma_f64 v[20:21], v[22:23], v[24:25], v[20:21]
	v_div_scale_f64 v[22:23], null, v[20:21], v[20:21], 1.0
	v_div_scale_f64 v[30:31], vcc_lo, 1.0, v[20:21], 1.0
	s_delay_alu instid0(VALU_DEP_2) | instskip(SKIP_2) | instid1(VALU_DEP_1)
	v_rcp_f64_e32 v[26:27], v[22:23]
	s_waitcnt_depctr 0xfff
	v_fma_f64 v[28:29], -v[22:23], v[26:27], 1.0
	v_fma_f64 v[26:27], v[26:27], v[28:29], v[26:27]
	s_delay_alu instid0(VALU_DEP_1) | instskip(NEXT) | instid1(VALU_DEP_1)
	v_fma_f64 v[28:29], -v[22:23], v[26:27], 1.0
	v_fma_f64 v[26:27], v[26:27], v[28:29], v[26:27]
	s_delay_alu instid0(VALU_DEP_1) | instskip(NEXT) | instid1(VALU_DEP_1)
	v_mul_f64 v[28:29], v[30:31], v[26:27]
	v_fma_f64 v[22:23], -v[22:23], v[28:29], v[30:31]
	s_delay_alu instid0(VALU_DEP_1) | instskip(SKIP_2) | instid1(VALU_DEP_3)
	v_div_fmas_f64 v[22:23], v[22:23], v[26:27], v[28:29]
	v_fma_f64 v[26:27], v[18:19], v[24:25], v[16:17]
	v_fma_f64 v[16:17], -v[16:17], v[24:25], v[18:19]
                                        ; implicit-def: $vgpr24_vgpr25
	v_div_fixup_f64 v[20:21], v[22:23], v[20:21], 1.0
	s_delay_alu instid0(VALU_DEP_1) | instskip(NEXT) | instid1(VALU_DEP_3)
	v_mul_f64 v[28:29], v[26:27], v[20:21]
	v_mul_f64 v[30:31], v[16:17], v[20:21]
                                        ; implicit-def: $vgpr16_vgpr17
                                        ; implicit-def: $vgpr26_vgpr27
.LBB51_188:                             ;   in Loop: Header=BB51_114 Depth=1
	s_and_not1_saveexec_b32 s6, s0
	s_cbranch_execz .LBB51_190
; %bb.189:                              ;   in Loop: Header=BB51_114 Depth=1
	v_div_scale_f64 v[20:21], null, v[24:25], v[24:25], v[16:17]
	v_div_scale_f64 v[22:23], null, v[26:27], v[26:27], v[18:19]
	v_div_scale_f64 v[44:45], vcc_lo, v[16:17], v[24:25], v[16:17]
	s_delay_alu instid0(VALU_DEP_3) | instskip(NEXT) | instid1(VALU_DEP_2)
	v_rcp_f64_e32 v[28:29], v[20:21]
	v_rcp_f64_e32 v[30:31], v[22:23]
	s_waitcnt_depctr 0xfff
	v_fma_f64 v[36:37], -v[20:21], v[28:29], 1.0
	v_fma_f64 v[38:39], -v[22:23], v[30:31], 1.0
	s_delay_alu instid0(VALU_DEP_2) | instskip(NEXT) | instid1(VALU_DEP_2)
	v_fma_f64 v[28:29], v[28:29], v[36:37], v[28:29]
	v_fma_f64 v[30:31], v[30:31], v[38:39], v[30:31]
	s_delay_alu instid0(VALU_DEP_2) | instskip(NEXT) | instid1(VALU_DEP_2)
	v_fma_f64 v[36:37], -v[20:21], v[28:29], 1.0
	v_fma_f64 v[38:39], -v[22:23], v[30:31], 1.0
	s_delay_alu instid0(VALU_DEP_2) | instskip(SKIP_1) | instid1(VALU_DEP_3)
	v_fma_f64 v[28:29], v[28:29], v[36:37], v[28:29]
	v_div_scale_f64 v[36:37], s0, v[18:19], v[26:27], v[18:19]
	v_fma_f64 v[30:31], v[30:31], v[38:39], v[30:31]
	s_delay_alu instid0(VALU_DEP_3) | instskip(NEXT) | instid1(VALU_DEP_2)
	v_mul_f64 v[38:39], v[44:45], v[28:29]
	v_mul_f64 v[46:47], v[36:37], v[30:31]
	s_delay_alu instid0(VALU_DEP_2) | instskip(NEXT) | instid1(VALU_DEP_2)
	v_fma_f64 v[20:21], -v[20:21], v[38:39], v[44:45]
	v_fma_f64 v[22:23], -v[22:23], v[46:47], v[36:37]
	s_delay_alu instid0(VALU_DEP_2) | instskip(SKIP_1) | instid1(VALU_DEP_2)
	v_div_fmas_f64 v[20:21], v[20:21], v[28:29], v[38:39]
	s_mov_b32 vcc_lo, s0
	v_div_fmas_f64 v[22:23], v[22:23], v[30:31], v[46:47]
	s_delay_alu instid0(VALU_DEP_2) | instskip(NEXT) | instid1(VALU_DEP_2)
	v_div_fixup_f64 v[28:29], v[20:21], v[24:25], v[16:17]
	v_div_fixup_f64 v[30:31], v[22:23], v[26:27], v[18:19]
.LBB51_190:                             ;   in Loop: Header=BB51_114 Depth=1
	s_or_b32 exec_lo, exec_lo, s6
                                        ; implicit-def: $vgpr22_vgpr23
                                        ; implicit-def: $vgpr16_vgpr17
.LBB51_191:                             ;   in Loop: Header=BB51_114 Depth=1
	s_and_not1_saveexec_b32 s0, s1
	s_cbranch_execz .LBB51_112
; %bb.192:                              ;   in Loop: Header=BB51_114 Depth=1
	v_div_scale_f64 v[24:25], null, v[22:23], v[22:23], v[20:21]
	v_div_scale_f64 v[30:31], vcc_lo, v[20:21], v[22:23], v[20:21]
	s_delay_alu instid0(VALU_DEP_2) | instskip(SKIP_2) | instid1(VALU_DEP_1)
	v_rcp_f64_e32 v[26:27], v[24:25]
	s_waitcnt_depctr 0xfff
	v_fma_f64 v[28:29], -v[24:25], v[26:27], 1.0
	v_fma_f64 v[26:27], v[26:27], v[28:29], v[26:27]
	s_delay_alu instid0(VALU_DEP_1) | instskip(NEXT) | instid1(VALU_DEP_1)
	v_fma_f64 v[28:29], -v[24:25], v[26:27], 1.0
	v_fma_f64 v[26:27], v[26:27], v[28:29], v[26:27]
	s_delay_alu instid0(VALU_DEP_1) | instskip(NEXT) | instid1(VALU_DEP_1)
	v_mul_f64 v[28:29], v[30:31], v[26:27]
	v_fma_f64 v[24:25], -v[24:25], v[28:29], v[30:31]
	s_delay_alu instid0(VALU_DEP_1) | instskip(NEXT) | instid1(VALU_DEP_1)
	v_div_fmas_f64 v[24:25], v[24:25], v[26:27], v[28:29]
	v_div_fixup_f64 v[24:25], v[24:25], v[22:23], v[20:21]
	s_delay_alu instid0(VALU_DEP_1) | instskip(NEXT) | instid1(VALU_DEP_1)
	v_fma_f64 v[20:21], v[20:21], v[24:25], v[22:23]
	v_div_scale_f64 v[22:23], null, v[20:21], v[20:21], 1.0
	v_div_scale_f64 v[30:31], vcc_lo, 1.0, v[20:21], 1.0
	s_delay_alu instid0(VALU_DEP_2) | instskip(SKIP_2) | instid1(VALU_DEP_1)
	v_rcp_f64_e32 v[26:27], v[22:23]
	s_waitcnt_depctr 0xfff
	v_fma_f64 v[28:29], -v[22:23], v[26:27], 1.0
	v_fma_f64 v[26:27], v[26:27], v[28:29], v[26:27]
	s_delay_alu instid0(VALU_DEP_1) | instskip(NEXT) | instid1(VALU_DEP_1)
	v_fma_f64 v[28:29], -v[22:23], v[26:27], 1.0
	v_fma_f64 v[26:27], v[26:27], v[28:29], v[26:27]
	s_delay_alu instid0(VALU_DEP_1) | instskip(NEXT) | instid1(VALU_DEP_1)
	v_mul_f64 v[28:29], v[30:31], v[26:27]
	v_fma_f64 v[22:23], -v[22:23], v[28:29], v[30:31]
	s_delay_alu instid0(VALU_DEP_1) | instskip(SKIP_2) | instid1(VALU_DEP_3)
	v_div_fmas_f64 v[22:23], v[22:23], v[26:27], v[28:29]
	v_fma_f64 v[26:27], v[16:17], v[24:25], v[18:19]
	v_fma_f64 v[16:17], v[18:19], v[24:25], -v[16:17]
	v_div_fixup_f64 v[20:21], v[22:23], v[20:21], 1.0
	s_delay_alu instid0(VALU_DEP_1) | instskip(NEXT) | instid1(VALU_DEP_3)
	v_mul_f64 v[28:29], v[26:27], v[20:21]
	v_mul_f64 v[30:31], v[16:17], v[20:21]
	s_branch .LBB51_112
.LBB51_193:
	s_nop 0
	s_sendmsg sendmsg(MSG_DEALLOC_VGPRS)
	s_endpgm
	.section	.rodata,"a",@progbits
	.p2align	6, 0x0
	.amdhsa_kernel _ZN2at6native12_GLOBAL__N_125multi_tensor_apply_kernelINS1_18TensorListMetadataILi4EEENS1_24PointwiseOpScalarFunctorIN3c107complexIdEELi4ELi3ELi3EEEJSt7dividesIS8_ES8_EEEvT_T0_DpT1_
		.amdhsa_group_segment_fixed_size 0
		.amdhsa_private_segment_fixed_size 0
		.amdhsa_kernarg_size 3328
		.amdhsa_user_sgpr_count 15
		.amdhsa_user_sgpr_dispatch_ptr 0
		.amdhsa_user_sgpr_queue_ptr 0
		.amdhsa_user_sgpr_kernarg_segment_ptr 1
		.amdhsa_user_sgpr_dispatch_id 0
		.amdhsa_user_sgpr_private_segment_size 0
		.amdhsa_wavefront_size32 1
		.amdhsa_uses_dynamic_stack 0
		.amdhsa_enable_private_segment 0
		.amdhsa_system_sgpr_workgroup_id_x 1
		.amdhsa_system_sgpr_workgroup_id_y 0
		.amdhsa_system_sgpr_workgroup_id_z 0
		.amdhsa_system_sgpr_workgroup_info 0
		.amdhsa_system_vgpr_workitem_id 0
		.amdhsa_next_free_vgpr 103
		.amdhsa_next_free_sgpr 37
		.amdhsa_reserve_vcc 1
		.amdhsa_float_round_mode_32 0
		.amdhsa_float_round_mode_16_64 0
		.amdhsa_float_denorm_mode_32 3
		.amdhsa_float_denorm_mode_16_64 3
		.amdhsa_dx10_clamp 1
		.amdhsa_ieee_mode 1
		.amdhsa_fp16_overflow 0
		.amdhsa_workgroup_processor_mode 1
		.amdhsa_memory_ordered 1
		.amdhsa_forward_progress 0
		.amdhsa_shared_vgpr_count 0
		.amdhsa_exception_fp_ieee_invalid_op 0
		.amdhsa_exception_fp_denorm_src 0
		.amdhsa_exception_fp_ieee_div_zero 0
		.amdhsa_exception_fp_ieee_overflow 0
		.amdhsa_exception_fp_ieee_underflow 0
		.amdhsa_exception_fp_ieee_inexact 0
		.amdhsa_exception_int_div_zero 0
	.end_amdhsa_kernel
	.section	.text._ZN2at6native12_GLOBAL__N_125multi_tensor_apply_kernelINS1_18TensorListMetadataILi4EEENS1_24PointwiseOpScalarFunctorIN3c107complexIdEELi4ELi3ELi3EEEJSt7dividesIS8_ES8_EEEvT_T0_DpT1_,"axG",@progbits,_ZN2at6native12_GLOBAL__N_125multi_tensor_apply_kernelINS1_18TensorListMetadataILi4EEENS1_24PointwiseOpScalarFunctorIN3c107complexIdEELi4ELi3ELi3EEEJSt7dividesIS8_ES8_EEEvT_T0_DpT1_,comdat
.Lfunc_end51:
	.size	_ZN2at6native12_GLOBAL__N_125multi_tensor_apply_kernelINS1_18TensorListMetadataILi4EEENS1_24PointwiseOpScalarFunctorIN3c107complexIdEELi4ELi3ELi3EEEJSt7dividesIS8_ES8_EEEvT_T0_DpT1_, .Lfunc_end51-_ZN2at6native12_GLOBAL__N_125multi_tensor_apply_kernelINS1_18TensorListMetadataILi4EEENS1_24PointwiseOpScalarFunctorIN3c107complexIdEELi4ELi3ELi3EEEJSt7dividesIS8_ES8_EEEvT_T0_DpT1_
                                        ; -- End function
	.section	.AMDGPU.csdata,"",@progbits
; Kernel info:
; codeLenInByte = 16044
; NumSgprs: 39
; NumVgprs: 103
; ScratchSize: 0
; MemoryBound: 1
; FloatMode: 240
; IeeeMode: 1
; LDSByteSize: 0 bytes/workgroup (compile time only)
; SGPRBlocks: 4
; VGPRBlocks: 12
; NumSGPRsForWavesPerEU: 39
; NumVGPRsForWavesPerEU: 103
; Occupancy: 12
; WaveLimiterHint : 0
; COMPUTE_PGM_RSRC2:SCRATCH_EN: 0
; COMPUTE_PGM_RSRC2:USER_SGPR: 15
; COMPUTE_PGM_RSRC2:TRAP_HANDLER: 0
; COMPUTE_PGM_RSRC2:TGID_X_EN: 1
; COMPUTE_PGM_RSRC2:TGID_Y_EN: 0
; COMPUTE_PGM_RSRC2:TGID_Z_EN: 0
; COMPUTE_PGM_RSRC2:TIDIG_COMP_CNT: 0
	.section	.text._ZN2at6native12_GLOBAL__N_125multi_tensor_apply_kernelINS1_18TensorListMetadataILi4EEENS1_24PointwiseOpScalarFunctorIN3c107complexIfEELi4ELi3ELi3EEEJSt7dividesIS8_ES8_EEEvT_T0_DpT1_,"axG",@progbits,_ZN2at6native12_GLOBAL__N_125multi_tensor_apply_kernelINS1_18TensorListMetadataILi4EEENS1_24PointwiseOpScalarFunctorIN3c107complexIfEELi4ELi3ELi3EEEJSt7dividesIS8_ES8_EEEvT_T0_DpT1_,comdat
	.globl	_ZN2at6native12_GLOBAL__N_125multi_tensor_apply_kernelINS1_18TensorListMetadataILi4EEENS1_24PointwiseOpScalarFunctorIN3c107complexIfEELi4ELi3ELi3EEEJSt7dividesIS8_ES8_EEEvT_T0_DpT1_ ; -- Begin function _ZN2at6native12_GLOBAL__N_125multi_tensor_apply_kernelINS1_18TensorListMetadataILi4EEENS1_24PointwiseOpScalarFunctorIN3c107complexIfEELi4ELi3ELi3EEEJSt7dividesIS8_ES8_EEEvT_T0_DpT1_
	.p2align	8
	.type	_ZN2at6native12_GLOBAL__N_125multi_tensor_apply_kernelINS1_18TensorListMetadataILi4EEENS1_24PointwiseOpScalarFunctorIN3c107complexIfEELi4ELi3ELi3EEEJSt7dividesIS8_ES8_EEEvT_T0_DpT1_,@function
_ZN2at6native12_GLOBAL__N_125multi_tensor_apply_kernelINS1_18TensorListMetadataILi4EEENS1_24PointwiseOpScalarFunctorIN3c107complexIfEELi4ELi3ELi3EEEJSt7dividesIS8_ES8_EEEvT_T0_DpT1_: ; @_ZN2at6native12_GLOBAL__N_125multi_tensor_apply_kernelINS1_18TensorListMetadataILi4EEENS1_24PointwiseOpScalarFunctorIN3c107complexIfEELi4ELi3ELi3EEEJSt7dividesIS8_ES8_EEEvT_T0_DpT1_
; %bb.0:
	v_mov_b32_e32 v1, s15
	s_add_u32 s2, s0, s15
	s_mul_hi_u32 s3, s15, 3
	s_mul_i32 s15, s15, 3
	s_addc_u32 s4, s1, 0
	global_load_u8 v1, v1, s[0:1] offset:1440
	s_add_u32 s2, s2, s15
	s_addc_u32 s3, s4, s3
	s_load_b32 s10, s[2:3], 0x6e0
	s_waitcnt lgkmcnt(0)
	s_ashr_i32 s11, s10, 31
	s_delay_alu instid0(SALU_CYCLE_1) | instskip(SKIP_2) | instid1(VALU_DEP_1)
	s_lshl_b64 s[12:13], s[10:11], 19
	s_waitcnt vmcnt(0)
	v_readfirstlane_b32 s2, v1
	s_lshl_b32 s8, s2, 3
	s_clause 0x4
	s_load_b64 s[2:3], s[0:1], s8 offset:0x0
	s_load_b64 s[4:5], s[0:1], s8 offset:0x120
	;; [unrolled: 1-line block ×5, first 2 shown]
	s_waitcnt lgkmcnt(0)
	s_add_u32 s20, s2, s12
	s_addc_u32 s21, s3, s13
	s_add_u32 s22, s4, s12
	s_addc_u32 s23, s5, s13
	s_and_b32 s16, s22, 31
	s_add_u32 s24, s6, s12
	s_addc_u32 s25, s7, s13
	s_add_u32 s26, s18, s12
	s_addc_u32 s27, s19, s13
	s_or_b32 s8, s26, s24
	s_delay_alu instid0(SALU_CYCLE_1)
	s_and_b32 s17, s8, 31
	s_load_b64 s[8:9], s[0:1], 0xbf0
	s_cmp_eq_u32 s17, 0
	s_mov_b32 s17, 0
	s_cselect_b32 s30, -1, 0
	s_and_b32 s28, s20, 31
	s_cmp_eq_u64 s[16:17], 0
	s_mov_b32 s29, s17
	s_cselect_b32 s16, -1, 0
	s_lshl_b64 s[10:11], s[10:11], 16
	s_and_b32 s30, s30, s16
	s_sub_u32 s10, s14, s10
	s_subb_u32 s11, s15, s11
	s_and_b32 s16, s14, 3
	s_delay_alu instid0(SALU_CYCLE_1) | instskip(NEXT) | instid1(SALU_CYCLE_1)
	s_or_b64 s[14:15], s[28:29], s[16:17]
	s_cmp_eq_u64 s[14:15], 0
	s_cselect_b32 s14, -1, 0
	s_delay_alu instid0(SALU_CYCLE_1) | instskip(NEXT) | instid1(SALU_CYCLE_1)
	s_and_b32 s14, s30, s14
	s_and_b32 vcc_lo, exec_lo, s14
	s_mov_b32 s14, -1
	s_cbranch_vccnz .LBB52_109
; %bb.1:
	v_cmp_lt_i64_e64 s14, s[10:11], 1
	s_delay_alu instid0(VALU_DEP_1)
	s_and_b32 vcc_lo, exec_lo, s14
	s_cbranch_vccnz .LBB52_108
; %bb.2:
	s_load_b32 s14, s[0:1], 0xc04
	v_dual_mov_b32 v1, 0 :: v_dual_lshlrev_b32 v2, 3, v0
	v_cmp_gt_u64_e64 s16, 0x10000, s[10:11]
	s_waitcnt lgkmcnt(0)
	v_cmp_neq_f32_e64 s31, s8, 1.0
	s_mov_b32 s15, 0
	v_mov_b32_e32 v3, v1
	v_add_co_u32 v27, s17, s2, v2
	s_delay_alu instid0(VALU_DEP_1) | instskip(SKIP_1) | instid1(VALU_DEP_1)
	v_add_co_ci_u32_e64 v28, null, s3, 0, s17
	v_add_co_u32 v29, s17, s4, v2
	v_add_co_ci_u32_e64 v30, null, s5, 0, s17
	s_and_b32 s28, s14, 0xffff
	s_and_b32 s14, s16, exec_lo
	s_cselect_b32 s17, s11, 0
	s_cselect_b32 s16, s10, 0x10000
	s_and_b32 s14, s9, 0x7fffffff
	s_lshl_b32 s29, s28, 1
	s_cmp_lg_u32 s14, 0
	v_add_co_u32 v6, s14, v2, s18
	v_mad_u64_u32 v[4:5], null, s28, 24, v[2:3]
	v_add_co_ci_u32_e64 v7, null, 0, s19, s14
	s_delay_alu instid0(VALU_DEP_3) | instskip(SKIP_1) | instid1(VALU_DEP_2)
	v_add_co_u32 v33, vcc_lo, v6, 4
	s_cselect_b32 s14, -1, 0
	v_add_co_ci_u32_e32 v34, vcc_lo, 0, v7, vcc_lo
	s_delay_alu instid0(VALU_DEP_4)
	v_add_co_u32 v35, vcc_lo, s2, v4
	v_add_co_ci_u32_e32 v36, vcc_lo, s3, v5, vcc_lo
	v_add_co_u32 v37, vcc_lo, s4, v4
	v_add_co_ci_u32_e32 v38, vcc_lo, s5, v5, vcc_lo
	v_add_co_u32 v39, vcc_lo, s6, v4
	s_or_b32 s31, s31, s14
	v_add_co_u32 v31, s14, s6, v2
	v_add_co_ci_u32_e32 v40, vcc_lo, s7, v5, vcc_lo
	v_add_co_u32 v3, vcc_lo, v4, s18
	v_add_co_ci_u32_e64 v32, null, s7, 0, s14
	s_lshl_b32 s14, s28, 4
	v_add_co_ci_u32_e32 v4, vcc_lo, s19, v5, vcc_lo
	v_add_co_u32 v2, s14, s14, v2
	s_delay_alu instid0(VALU_DEP_1) | instskip(SKIP_1) | instid1(VALU_DEP_4)
	v_add_co_ci_u32_e64 v5, null, 0, 0, s14
	v_add_co_u32 v41, vcc_lo, v3, 4
	v_add_co_ci_u32_e32 v42, vcc_lo, 0, v4, vcc_lo
	s_delay_alu instid0(VALU_DEP_4) | instskip(NEXT) | instid1(VALU_DEP_4)
	v_add_co_u32 v43, vcc_lo, s2, v2
	v_add_co_ci_u32_e32 v44, vcc_lo, s3, v5, vcc_lo
	v_add_co_u32 v45, vcc_lo, s4, v2
	v_add_co_ci_u32_e32 v46, vcc_lo, s5, v5, vcc_lo
	v_add_lshl_u32 v3, v0, s28, 3
	v_add_co_u32 v47, vcc_lo, s6, v2
	v_add_co_ci_u32_e32 v48, vcc_lo, s7, v5, vcc_lo
	v_add_co_u32 v2, vcc_lo, v2, s18
	s_delay_alu instid0(VALU_DEP_4)
	v_add_co_u32 v53, s2, s2, v3
	v_add_co_ci_u32_e32 v4, vcc_lo, s19, v5, vcc_lo
	v_add_co_ci_u32_e64 v54, null, s3, 0, s2
	v_add_co_u32 v55, s2, s4, v3
	v_add_co_u32 v49, s14, s18, v3
	v_add_co_u32 v51, vcc_lo, v2, 4
	v_add_co_ci_u32_e64 v56, null, s5, 0, s2
	v_add_co_u32 v57, s2, s6, v3
	v_mov_b32_e32 v2, v1
	v_add_co_ci_u32_e64 v50, null, s19, 0, s14
	v_add_co_ci_u32_e32 v52, vcc_lo, 0, v4, vcc_lo
	v_add_co_ci_u32_e64 v58, null, s7, 0, s2
	v_mov_b32_e32 v1, v0
	s_lshl_b32 s14, s28, 2
	s_mul_i32 s30, s28, 3
	s_lshl_b32 s33, s28, 5
	s_mov_b64 s[18:19], s[14:15]
	s_branch .LBB52_4
.LBB52_3:                               ;   in Loop: Header=BB52_4 Depth=1
	s_or_b32 exec_lo, exec_lo, s2
	v_add_co_u32 v27, vcc_lo, v27, s33
	v_add_co_ci_u32_e32 v28, vcc_lo, 0, v28, vcc_lo
	v_add_co_u32 v29, vcc_lo, v29, s33
	v_add_co_ci_u32_e32 v30, vcc_lo, 0, v30, vcc_lo
	;; [unrolled: 2-line block ×15, first 2 shown]
	v_cmp_ge_i64_e64 s2, s[18:19], s[10:11]
	v_cmp_lt_u64_e64 s3, 0xffff, s[18:19]
	v_add_co_u32 v55, vcc_lo, v55, s33
	v_add_co_ci_u32_e32 v56, vcc_lo, 0, v56, vcc_lo
	v_add_co_u32 v57, vcc_lo, v57, s33
	v_add_co_ci_u32_e32 v58, vcc_lo, 0, v58, vcc_lo
	s_or_b32 s2, s2, s3
	s_add_u32 s18, s18, s14
	s_addc_u32 s19, s19, 0
	s_and_b32 vcc_lo, exec_lo, s2
	s_cbranch_vccnz .LBB52_108
.LBB52_4:                               ; =>This Inner Loop Header: Depth=1
	v_cmp_gt_u64_e64 s2, s[16:17], v[1:2]
	v_dual_mov_b32 v24, 0 :: v_dual_mov_b32 v23, 0
	v_dual_mov_b32 v4, 0 :: v_dual_mov_b32 v3, 0
	s_delay_alu instid0(VALU_DEP_3)
	s_and_saveexec_b32 s3, s2
	s_cbranch_execz .LBB52_6
; %bb.5:                                ;   in Loop: Header=BB52_4 Depth=1
	v_add_co_u32 v3, vcc_lo, v27, s12
	v_add_co_ci_u32_e32 v4, vcc_lo, s13, v28, vcc_lo
	v_add_co_u32 v5, vcc_lo, v29, s12
	v_add_co_ci_u32_e32 v6, vcc_lo, s13, v30, vcc_lo
	global_load_b64 v[3:4], v[3:4], off
	global_load_b64 v[23:24], v[5:6], off
.LBB52_6:                               ;   in Loop: Header=BB52_4 Depth=1
	s_or_b32 exec_lo, exec_lo, s3
	v_dual_mov_b32 v20, 0 :: v_dual_mov_b32 v25, 0
	v_mov_b32_e32 v26, 0
	s_and_saveexec_b32 s3, s2
	s_cbranch_execz .LBB52_8
; %bb.7:                                ;   in Loop: Header=BB52_4 Depth=1
	v_add_co_u32 v5, vcc_lo, v31, s12
	v_add_co_ci_u32_e32 v6, vcc_lo, s13, v32, vcc_lo
	global_load_b64 v[25:26], v[5:6], off
.LBB52_8:                               ;   in Loop: Header=BB52_4 Depth=1
	s_or_b32 exec_lo, exec_lo, s3
	v_add_co_u32 v5, vcc_lo, s28, v1
	v_add_co_ci_u32_e32 v6, vcc_lo, 0, v2, vcc_lo
	v_mov_b32_e32 v19, 0
	s_delay_alu instid0(VALU_DEP_2) | instskip(SKIP_1) | instid1(VALU_DEP_2)
	v_cmp_gt_u64_e64 s3, s[16:17], v[5:6]
	v_dual_mov_b32 v6, 0 :: v_dual_mov_b32 v5, 0
	s_and_saveexec_b32 s4, s3
	s_cbranch_execz .LBB52_10
; %bb.9:                                ;   in Loop: Header=BB52_4 Depth=1
	v_add_co_u32 v5, vcc_lo, v53, s12
	v_add_co_ci_u32_e32 v6, vcc_lo, s13, v54, vcc_lo
	v_add_co_u32 v7, vcc_lo, v55, s12
	v_add_co_ci_u32_e32 v8, vcc_lo, s13, v56, vcc_lo
	global_load_b64 v[5:6], v[5:6], off
	global_load_b64 v[19:20], v[7:8], off
.LBB52_10:                              ;   in Loop: Header=BB52_4 Depth=1
	s_or_b32 exec_lo, exec_lo, s4
	v_dual_mov_b32 v16, 0 :: v_dual_mov_b32 v21, 0
	v_mov_b32_e32 v22, 0
	s_and_saveexec_b32 s4, s3
	s_cbranch_execz .LBB52_12
; %bb.11:                               ;   in Loop: Header=BB52_4 Depth=1
	v_add_co_u32 v7, vcc_lo, v57, s12
	v_add_co_ci_u32_e32 v8, vcc_lo, s13, v58, vcc_lo
	global_load_b64 v[21:22], v[7:8], off
.LBB52_12:                              ;   in Loop: Header=BB52_4 Depth=1
	s_or_b32 exec_lo, exec_lo, s4
	v_add_co_u32 v7, vcc_lo, s29, v1
	v_add_co_ci_u32_e32 v8, vcc_lo, 0, v2, vcc_lo
	v_mov_b32_e32 v15, 0
	s_delay_alu instid0(VALU_DEP_2) | instskip(SKIP_1) | instid1(VALU_DEP_2)
	v_cmp_gt_u64_e64 s4, s[16:17], v[7:8]
	v_dual_mov_b32 v8, 0 :: v_dual_mov_b32 v7, 0
	s_and_saveexec_b32 s5, s4
	s_cbranch_execz .LBB52_14
; %bb.13:                               ;   in Loop: Header=BB52_4 Depth=1
	v_add_co_u32 v7, vcc_lo, v43, s12
	v_add_co_ci_u32_e32 v8, vcc_lo, s13, v44, vcc_lo
	v_add_co_u32 v9, vcc_lo, v45, s12
	v_add_co_ci_u32_e32 v10, vcc_lo, s13, v46, vcc_lo
	global_load_b64 v[7:8], v[7:8], off
	global_load_b64 v[15:16], v[9:10], off
.LBB52_14:                              ;   in Loop: Header=BB52_4 Depth=1
	s_or_b32 exec_lo, exec_lo, s5
	v_dual_mov_b32 v12, 0 :: v_dual_mov_b32 v17, 0
	v_mov_b32_e32 v18, 0
	s_and_saveexec_b32 s5, s4
	s_cbranch_execz .LBB52_16
; %bb.15:                               ;   in Loop: Header=BB52_4 Depth=1
	v_add_co_u32 v9, vcc_lo, v47, s12
	v_add_co_ci_u32_e32 v10, vcc_lo, s13, v48, vcc_lo
	global_load_b64 v[17:18], v[9:10], off
.LBB52_16:                              ;   in Loop: Header=BB52_4 Depth=1
	s_or_b32 exec_lo, exec_lo, s5
	v_add_co_u32 v9, vcc_lo, s30, v1
	v_add_co_ci_u32_e32 v10, vcc_lo, 0, v2, vcc_lo
	v_mov_b32_e32 v11, 0
	s_delay_alu instid0(VALU_DEP_2) | instskip(SKIP_1) | instid1(VALU_DEP_2)
	v_cmp_gt_u64_e64 s5, s[16:17], v[9:10]
	v_dual_mov_b32 v10, 0 :: v_dual_mov_b32 v9, 0
	s_and_saveexec_b32 s6, s5
	s_cbranch_execz .LBB52_18
; %bb.17:                               ;   in Loop: Header=BB52_4 Depth=1
	v_add_co_u32 v9, vcc_lo, v35, s12
	v_add_co_ci_u32_e32 v10, vcc_lo, s13, v36, vcc_lo
	v_add_co_u32 v11, vcc_lo, v37, s12
	v_add_co_ci_u32_e32 v12, vcc_lo, s13, v38, vcc_lo
	global_load_b64 v[9:10], v[9:10], off
	global_load_b64 v[11:12], v[11:12], off
.LBB52_18:                              ;   in Loop: Header=BB52_4 Depth=1
	s_or_b32 exec_lo, exec_lo, s6
	v_dual_mov_b32 v14, 0 :: v_dual_mov_b32 v13, 0
	s_and_saveexec_b32 s6, s5
	s_cbranch_execz .LBB52_20
; %bb.19:                               ;   in Loop: Header=BB52_4 Depth=1
	v_add_co_u32 v13, vcc_lo, v39, s12
	v_add_co_ci_u32_e32 v14, vcc_lo, s13, v40, vcc_lo
	global_load_b64 v[13:14], v[13:14], off
.LBB52_20:                              ;   in Loop: Header=BB52_4 Depth=1
	s_or_b32 exec_lo, exec_lo, s6
	s_waitcnt vmcnt(0)
	v_cmp_gt_f32_e32 vcc_lo, 0, v25
	v_cndmask_b32_e64 v61, v25, -v25, vcc_lo
	v_cmp_gt_f32_e32 vcc_lo, 0, v26
	v_cndmask_b32_e64 v62, v26, -v26, vcc_lo
	s_and_b32 vcc_lo, exec_lo, s31
	s_delay_alu instid0(VALU_DEP_1)
	v_cmp_ge_f32_e64 s6, v61, v62
	s_cbranch_vccz .LBB52_30
; %bb.21:                               ;   in Loop: Header=BB52_4 Depth=1
                                        ; implicit-def: $vgpr59
                                        ; implicit-def: $vgpr63
	s_delay_alu instid0(VALU_DEP_1) | instskip(NEXT) | instid1(SALU_CYCLE_1)
	s_and_saveexec_b32 s7, s6
	s_xor_b32 s15, exec_lo, s7
	s_cbranch_execz .LBB52_27
; %bb.22:                               ;   in Loop: Header=BB52_4 Depth=1
	v_cmp_neq_f32_e32 vcc_lo, 0, v25
	v_cmp_neq_f32_e64 s7, 0, v26
                                        ; implicit-def: $vgpr59
                                        ; implicit-def: $vgpr63
	s_delay_alu instid0(VALU_DEP_1) | instskip(NEXT) | instid1(SALU_CYCLE_1)
	s_or_b32 s7, s7, vcc_lo
	s_and_saveexec_b32 s34, s7
	s_delay_alu instid0(SALU_CYCLE_1)
	s_xor_b32 s7, exec_lo, s34
	s_cbranch_execz .LBB52_24
; %bb.23:                               ;   in Loop: Header=BB52_4 Depth=1
	v_div_scale_f32 v59, null, v25, v25, v26
	v_div_scale_f32 v64, vcc_lo, v26, v25, v26
	s_delay_alu instid0(VALU_DEP_2) | instskip(SKIP_2) | instid1(VALU_DEP_1)
	v_rcp_f32_e32 v60, v59
	s_waitcnt_depctr 0xfff
	v_fma_f32 v63, -v59, v60, 1.0
	v_fmac_f32_e32 v60, v63, v60
	s_delay_alu instid0(VALU_DEP_1) | instskip(NEXT) | instid1(VALU_DEP_1)
	v_mul_f32_e32 v63, v64, v60
	v_fma_f32 v65, -v59, v63, v64
	s_delay_alu instid0(VALU_DEP_1) | instskip(NEXT) | instid1(VALU_DEP_1)
	v_fmac_f32_e32 v63, v65, v60
	v_fma_f32 v59, -v59, v63, v64
	s_delay_alu instid0(VALU_DEP_1) | instskip(NEXT) | instid1(VALU_DEP_1)
	v_div_fmas_f32 v59, v59, v60, v63
	v_div_fixup_f32 v59, v59, v25, v26
	s_delay_alu instid0(VALU_DEP_1) | instskip(NEXT) | instid1(VALU_DEP_1)
	v_fma_f32 v60, v26, v59, v25
	v_div_scale_f32 v63, null, v60, v60, 1.0
	v_div_scale_f32 v66, vcc_lo, 1.0, v60, 1.0
	s_delay_alu instid0(VALU_DEP_2) | instskip(SKIP_2) | instid1(VALU_DEP_1)
	v_rcp_f32_e32 v64, v63
	s_waitcnt_depctr 0xfff
	v_fma_f32 v65, -v63, v64, 1.0
	v_fmac_f32_e32 v64, v65, v64
	s_delay_alu instid0(VALU_DEP_1) | instskip(NEXT) | instid1(VALU_DEP_1)
	v_mul_f32_e32 v65, v66, v64
	v_fma_f32 v67, -v63, v65, v66
	s_delay_alu instid0(VALU_DEP_1) | instskip(NEXT) | instid1(VALU_DEP_1)
	v_fmac_f32_e32 v65, v67, v64
	v_fma_f32 v63, -v63, v65, v66
	s_delay_alu instid0(VALU_DEP_1) | instskip(SKIP_2) | instid1(VALU_DEP_3)
	v_div_fmas_f32 v63, v63, v64, v65
	v_fma_f32 v64, v24, v59, v23
	v_fma_f32 v59, -v23, v59, v24
	v_div_fixup_f32 v60, v63, v60, 1.0
	s_delay_alu instid0(VALU_DEP_1) | instskip(NEXT) | instid1(VALU_DEP_3)
	v_mul_f32_e32 v63, v64, v60
	v_mul_f32_e32 v59, v59, v60
.LBB52_24:                              ;   in Loop: Header=BB52_4 Depth=1
	s_and_not1_saveexec_b32 s34, s7
	s_cbranch_execz .LBB52_26
; %bb.25:                               ;   in Loop: Header=BB52_4 Depth=1
	v_div_scale_f32 v59, null, v61, v61, v23
	v_div_scale_f32 v60, null, v62, v62, v24
	v_div_scale_f32 v67, vcc_lo, v23, v61, v23
	s_delay_alu instid0(VALU_DEP_3) | instskip(NEXT) | instid1(VALU_DEP_2)
	v_rcp_f32_e32 v63, v59
	v_rcp_f32_e32 v64, v60
	s_waitcnt_depctr 0xfff
	v_fma_f32 v65, -v59, v63, 1.0
	v_fma_f32 v66, -v60, v64, 1.0
	s_delay_alu instid0(VALU_DEP_1) | instskip(SKIP_1) | instid1(VALU_DEP_2)
	v_dual_fmac_f32 v63, v65, v63 :: v_dual_fmac_f32 v64, v66, v64
	v_div_scale_f32 v65, s7, v24, v62, v24
	v_mul_f32_e32 v66, v67, v63
	s_delay_alu instid0(VALU_DEP_2) | instskip(NEXT) | instid1(VALU_DEP_2)
	v_mul_f32_e32 v68, v65, v64
	v_fma_f32 v69, -v59, v66, v67
	s_delay_alu instid0(VALU_DEP_2) | instskip(NEXT) | instid1(VALU_DEP_2)
	v_fma_f32 v70, -v60, v68, v65
	v_fmac_f32_e32 v66, v69, v63
	s_delay_alu instid0(VALU_DEP_2) | instskip(NEXT) | instid1(VALU_DEP_2)
	v_fmac_f32_e32 v68, v70, v64
	v_fma_f32 v59, -v59, v66, v67
	s_delay_alu instid0(VALU_DEP_2) | instskip(NEXT) | instid1(VALU_DEP_2)
	v_fma_f32 v60, -v60, v68, v65
	v_div_fmas_f32 v59, v59, v63, v66
	s_mov_b32 vcc_lo, s7
	s_delay_alu instid0(VALU_DEP_2) | instskip(NEXT) | instid1(VALU_DEP_2)
	v_div_fmas_f32 v60, v60, v64, v68
	v_div_fixup_f32 v63, v59, v61, v23
	s_delay_alu instid0(VALU_DEP_2)
	v_div_fixup_f32 v59, v60, v62, v24
.LBB52_26:                              ;   in Loop: Header=BB52_4 Depth=1
	s_or_b32 exec_lo, exec_lo, s34
.LBB52_27:                              ;   in Loop: Header=BB52_4 Depth=1
	s_and_not1_saveexec_b32 s7, s15
	s_cbranch_execz .LBB52_29
; %bb.28:                               ;   in Loop: Header=BB52_4 Depth=1
	v_div_scale_f32 v59, null, v26, v26, v25
	v_div_scale_f32 v64, vcc_lo, v25, v26, v25
	s_delay_alu instid0(VALU_DEP_2) | instskip(SKIP_2) | instid1(VALU_DEP_1)
	v_rcp_f32_e32 v60, v59
	s_waitcnt_depctr 0xfff
	v_fma_f32 v63, -v59, v60, 1.0
	v_fmac_f32_e32 v60, v63, v60
	s_delay_alu instid0(VALU_DEP_1) | instskip(NEXT) | instid1(VALU_DEP_1)
	v_mul_f32_e32 v63, v64, v60
	v_fma_f32 v65, -v59, v63, v64
	s_delay_alu instid0(VALU_DEP_1) | instskip(NEXT) | instid1(VALU_DEP_1)
	v_fmac_f32_e32 v63, v65, v60
	v_fma_f32 v59, -v59, v63, v64
	s_delay_alu instid0(VALU_DEP_1) | instskip(NEXT) | instid1(VALU_DEP_1)
	v_div_fmas_f32 v59, v59, v60, v63
	v_div_fixup_f32 v59, v59, v26, v25
	s_delay_alu instid0(VALU_DEP_1) | instskip(NEXT) | instid1(VALU_DEP_1)
	v_fma_f32 v60, v25, v59, v26
	v_div_scale_f32 v63, null, v60, v60, 1.0
	v_div_scale_f32 v66, vcc_lo, 1.0, v60, 1.0
	s_delay_alu instid0(VALU_DEP_2) | instskip(SKIP_2) | instid1(VALU_DEP_1)
	v_rcp_f32_e32 v64, v63
	s_waitcnt_depctr 0xfff
	v_fma_f32 v65, -v63, v64, 1.0
	v_fmac_f32_e32 v64, v65, v64
	s_delay_alu instid0(VALU_DEP_1) | instskip(NEXT) | instid1(VALU_DEP_1)
	v_mul_f32_e32 v65, v66, v64
	v_fma_f32 v67, -v63, v65, v66
	s_delay_alu instid0(VALU_DEP_1) | instskip(NEXT) | instid1(VALU_DEP_1)
	v_fmac_f32_e32 v65, v67, v64
	v_fma_f32 v63, -v63, v65, v66
	s_delay_alu instid0(VALU_DEP_1) | instskip(SKIP_2) | instid1(VALU_DEP_3)
	v_div_fmas_f32 v63, v63, v64, v65
	v_fma_f32 v64, v23, v59, v24
	v_fma_f32 v59, v24, v59, -v23
	v_div_fixup_f32 v60, v63, v60, 1.0
	s_delay_alu instid0(VALU_DEP_1) | instskip(NEXT) | instid1(VALU_DEP_3)
	v_mul_f32_e32 v63, v64, v60
	v_mul_f32_e32 v59, v59, v60
.LBB52_29:                              ;   in Loop: Header=BB52_4 Depth=1
	s_or_b32 exec_lo, exec_lo, s7
	s_delay_alu instid0(VALU_DEP_1) | instskip(SKIP_1) | instid1(VALU_DEP_2)
	v_mul_f32_e32 v60, s9, v59
	v_mul_f32_e32 v59, s8, v59
	v_fma_f32 v60, v63, s8, -v60
	s_delay_alu instid0(VALU_DEP_2)
	v_fmac_f32_e32 v59, s9, v63
	s_branch .LBB52_40
.LBB52_30:                              ;   in Loop: Header=BB52_4 Depth=1
                                        ; implicit-def: $vgpr59
                                        ; implicit-def: $vgpr60
	s_cbranch_execz .LBB52_40
; %bb.31:                               ;   in Loop: Header=BB52_4 Depth=1
                                        ; implicit-def: $vgpr59
                                        ; implicit-def: $vgpr60
	s_delay_alu instid0(VALU_DEP_1) | instskip(NEXT) | instid1(SALU_CYCLE_1)
	s_and_saveexec_b32 s7, s6
	s_xor_b32 s7, exec_lo, s7
	s_cbranch_execz .LBB52_37
; %bb.32:                               ;   in Loop: Header=BB52_4 Depth=1
	v_cmp_neq_f32_e32 vcc_lo, 0, v25
	v_cmp_neq_f32_e64 s6, 0, v26
                                        ; implicit-def: $vgpr59
                                        ; implicit-def: $vgpr60
	s_delay_alu instid0(VALU_DEP_1) | instskip(NEXT) | instid1(SALU_CYCLE_1)
	s_or_b32 s6, s6, vcc_lo
	s_and_saveexec_b32 s15, s6
	s_delay_alu instid0(SALU_CYCLE_1)
	s_xor_b32 s6, exec_lo, s15
	s_cbranch_execz .LBB52_34
; %bb.33:                               ;   in Loop: Header=BB52_4 Depth=1
	v_div_scale_f32 v59, null, v25, v25, v26
	v_div_scale_f32 v62, vcc_lo, v26, v25, v26
	s_delay_alu instid0(VALU_DEP_2) | instskip(SKIP_2) | instid1(VALU_DEP_1)
	v_rcp_f32_e32 v60, v59
	s_waitcnt_depctr 0xfff
	v_fma_f32 v61, -v59, v60, 1.0
	v_fmac_f32_e32 v60, v61, v60
	s_delay_alu instid0(VALU_DEP_1) | instskip(NEXT) | instid1(VALU_DEP_1)
	v_mul_f32_e32 v61, v62, v60
	v_fma_f32 v63, -v59, v61, v62
	s_delay_alu instid0(VALU_DEP_1) | instskip(NEXT) | instid1(VALU_DEP_1)
	v_fmac_f32_e32 v61, v63, v60
	v_fma_f32 v59, -v59, v61, v62
	s_delay_alu instid0(VALU_DEP_1) | instskip(NEXT) | instid1(VALU_DEP_1)
	v_div_fmas_f32 v59, v59, v60, v61
	v_div_fixup_f32 v59, v59, v25, v26
	s_delay_alu instid0(VALU_DEP_1) | instskip(NEXT) | instid1(VALU_DEP_1)
	v_fmac_f32_e32 v25, v26, v59
	v_div_scale_f32 v26, null, v25, v25, 1.0
	v_div_scale_f32 v62, vcc_lo, 1.0, v25, 1.0
	s_delay_alu instid0(VALU_DEP_2) | instskip(SKIP_2) | instid1(VALU_DEP_1)
	v_rcp_f32_e32 v60, v26
	s_waitcnt_depctr 0xfff
	v_fma_f32 v61, -v26, v60, 1.0
	v_fmac_f32_e32 v60, v61, v60
	s_delay_alu instid0(VALU_DEP_1) | instskip(NEXT) | instid1(VALU_DEP_1)
	v_mul_f32_e32 v61, v62, v60
	v_fma_f32 v63, -v26, v61, v62
	s_delay_alu instid0(VALU_DEP_1) | instskip(NEXT) | instid1(VALU_DEP_1)
	v_fmac_f32_e32 v61, v63, v60
	v_fma_f32 v26, -v26, v61, v62
                                        ; implicit-def: $vgpr62
	s_delay_alu instid0(VALU_DEP_1) | instskip(SKIP_2) | instid1(VALU_DEP_3)
	v_div_fmas_f32 v26, v26, v60, v61
	v_fma_f32 v60, v24, v59, v23
	v_fma_f32 v23, -v23, v59, v24
                                        ; implicit-def: $vgpr61
	v_div_fixup_f32 v25, v26, v25, 1.0
	s_delay_alu instid0(VALU_DEP_1) | instskip(NEXT) | instid1(VALU_DEP_4)
	v_mul_f32_e32 v59, v23, v25
	v_mul_f32_e32 v60, v60, v25
                                        ; implicit-def: $vgpr23
.LBB52_34:                              ;   in Loop: Header=BB52_4 Depth=1
	s_and_not1_saveexec_b32 s15, s6
	s_cbranch_execz .LBB52_36
; %bb.35:                               ;   in Loop: Header=BB52_4 Depth=1
	v_div_scale_f32 v25, null, v61, v61, v23
	v_div_scale_f32 v26, null, v62, v62, v24
	v_div_scale_f32 v65, vcc_lo, v23, v61, v23
	s_delay_alu instid0(VALU_DEP_3) | instskip(NEXT) | instid1(VALU_DEP_2)
	v_rcp_f32_e32 v59, v25
	v_rcp_f32_e32 v60, v26
	s_waitcnt_depctr 0xfff
	v_fma_f32 v63, -v25, v59, 1.0
	v_fma_f32 v64, -v26, v60, 1.0
	s_delay_alu instid0(VALU_DEP_1) | instskip(SKIP_1) | instid1(VALU_DEP_2)
	v_dual_fmac_f32 v59, v63, v59 :: v_dual_fmac_f32 v60, v64, v60
	v_div_scale_f32 v63, s6, v24, v62, v24
	v_mul_f32_e32 v64, v65, v59
	s_delay_alu instid0(VALU_DEP_2) | instskip(NEXT) | instid1(VALU_DEP_2)
	v_mul_f32_e32 v66, v63, v60
	v_fma_f32 v67, -v25, v64, v65
	s_delay_alu instid0(VALU_DEP_2) | instskip(NEXT) | instid1(VALU_DEP_2)
	v_fma_f32 v68, -v26, v66, v63
	v_fmac_f32_e32 v64, v67, v59
	s_delay_alu instid0(VALU_DEP_2) | instskip(NEXT) | instid1(VALU_DEP_2)
	v_fmac_f32_e32 v66, v68, v60
	v_fma_f32 v25, -v25, v64, v65
	s_delay_alu instid0(VALU_DEP_2) | instskip(NEXT) | instid1(VALU_DEP_2)
	v_fma_f32 v26, -v26, v66, v63
	v_div_fmas_f32 v25, v25, v59, v64
	s_mov_b32 vcc_lo, s6
	s_delay_alu instid0(VALU_DEP_2) | instskip(NEXT) | instid1(VALU_DEP_2)
	v_div_fmas_f32 v26, v26, v60, v66
	v_div_fixup_f32 v60, v25, v61, v23
	s_delay_alu instid0(VALU_DEP_2)
	v_div_fixup_f32 v59, v26, v62, v24
.LBB52_36:                              ;   in Loop: Header=BB52_4 Depth=1
	s_or_b32 exec_lo, exec_lo, s15
                                        ; implicit-def: $vgpr26
                                        ; implicit-def: $vgpr23
.LBB52_37:                              ;   in Loop: Header=BB52_4 Depth=1
	s_and_not1_saveexec_b32 s6, s7
	s_cbranch_execz .LBB52_39
; %bb.38:                               ;   in Loop: Header=BB52_4 Depth=1
	v_div_scale_f32 v59, null, v26, v26, v25
	v_div_scale_f32 v62, vcc_lo, v25, v26, v25
	s_delay_alu instid0(VALU_DEP_2) | instskip(SKIP_2) | instid1(VALU_DEP_1)
	v_rcp_f32_e32 v60, v59
	s_waitcnt_depctr 0xfff
	v_fma_f32 v61, -v59, v60, 1.0
	v_fmac_f32_e32 v60, v61, v60
	s_delay_alu instid0(VALU_DEP_1) | instskip(NEXT) | instid1(VALU_DEP_1)
	v_mul_f32_e32 v61, v62, v60
	v_fma_f32 v63, -v59, v61, v62
	s_delay_alu instid0(VALU_DEP_1) | instskip(NEXT) | instid1(VALU_DEP_1)
	v_fmac_f32_e32 v61, v63, v60
	v_fma_f32 v59, -v59, v61, v62
	s_delay_alu instid0(VALU_DEP_1) | instskip(NEXT) | instid1(VALU_DEP_1)
	v_div_fmas_f32 v59, v59, v60, v61
	v_div_fixup_f32 v59, v59, v26, v25
	s_delay_alu instid0(VALU_DEP_1) | instskip(NEXT) | instid1(VALU_DEP_1)
	v_fmac_f32_e32 v26, v25, v59
	v_div_scale_f32 v25, null, v26, v26, 1.0
	v_div_scale_f32 v62, vcc_lo, 1.0, v26, 1.0
	s_delay_alu instid0(VALU_DEP_2) | instskip(SKIP_2) | instid1(VALU_DEP_1)
	v_rcp_f32_e32 v60, v25
	s_waitcnt_depctr 0xfff
	v_fma_f32 v61, -v25, v60, 1.0
	v_fmac_f32_e32 v60, v61, v60
	s_delay_alu instid0(VALU_DEP_1) | instskip(NEXT) | instid1(VALU_DEP_1)
	v_mul_f32_e32 v61, v62, v60
	v_fma_f32 v63, -v25, v61, v62
	s_delay_alu instid0(VALU_DEP_1) | instskip(NEXT) | instid1(VALU_DEP_1)
	v_fmac_f32_e32 v61, v63, v60
	v_fma_f32 v25, -v25, v61, v62
	s_delay_alu instid0(VALU_DEP_1) | instskip(SKIP_2) | instid1(VALU_DEP_3)
	v_div_fmas_f32 v25, v25, v60, v61
	v_fma_f32 v60, v23, v59, v24
	v_fma_f32 v23, v24, v59, -v23
	v_div_fixup_f32 v25, v25, v26, 1.0
	s_delay_alu instid0(VALU_DEP_1) | instskip(NEXT) | instid1(VALU_DEP_3)
	v_mul_f32_e32 v60, v60, v25
	v_mul_f32_e32 v59, v23, v25
.LBB52_39:                              ;   in Loop: Header=BB52_4 Depth=1
	s_or_b32 exec_lo, exec_lo, s6
.LBB52_40:                              ;   in Loop: Header=BB52_4 Depth=1
	v_cmp_gt_f32_e32 vcc_lo, 0, v21
	v_cndmask_b32_e64 v25, v21, -v21, vcc_lo
	v_cmp_gt_f32_e32 vcc_lo, 0, v22
	v_cndmask_b32_e64 v26, v22, -v22, vcc_lo
	s_and_not1_b32 vcc_lo, exec_lo, s31
	s_delay_alu instid0(VALU_DEP_1)
	v_cmp_ge_f32_e64 s6, v25, v26
	s_cbranch_vccnz .LBB52_50
; %bb.41:                               ;   in Loop: Header=BB52_4 Depth=1
                                        ; implicit-def: $vgpr23
                                        ; implicit-def: $vgpr61
	s_delay_alu instid0(VALU_DEP_1) | instskip(NEXT) | instid1(SALU_CYCLE_1)
	s_and_saveexec_b32 s7, s6
	s_xor_b32 s15, exec_lo, s7
	s_cbranch_execz .LBB52_47
; %bb.42:                               ;   in Loop: Header=BB52_4 Depth=1
	v_cmp_neq_f32_e32 vcc_lo, 0, v21
	v_cmp_neq_f32_e64 s7, 0, v22
                                        ; implicit-def: $vgpr23
                                        ; implicit-def: $vgpr61
	s_delay_alu instid0(VALU_DEP_1) | instskip(NEXT) | instid1(SALU_CYCLE_1)
	s_or_b32 s7, s7, vcc_lo
	s_and_saveexec_b32 s34, s7
	s_delay_alu instid0(SALU_CYCLE_1)
	s_xor_b32 s7, exec_lo, s34
	s_cbranch_execz .LBB52_44
; %bb.43:                               ;   in Loop: Header=BB52_4 Depth=1
	v_div_scale_f32 v23, null, v21, v21, v22
	v_div_scale_f32 v62, vcc_lo, v22, v21, v22
	s_delay_alu instid0(VALU_DEP_2) | instskip(SKIP_2) | instid1(VALU_DEP_1)
	v_rcp_f32_e32 v24, v23
	s_waitcnt_depctr 0xfff
	v_fma_f32 v61, -v23, v24, 1.0
	v_fmac_f32_e32 v24, v61, v24
	s_delay_alu instid0(VALU_DEP_1) | instskip(NEXT) | instid1(VALU_DEP_1)
	v_mul_f32_e32 v61, v62, v24
	v_fma_f32 v63, -v23, v61, v62
	s_delay_alu instid0(VALU_DEP_1) | instskip(NEXT) | instid1(VALU_DEP_1)
	v_fmac_f32_e32 v61, v63, v24
	v_fma_f32 v23, -v23, v61, v62
	s_delay_alu instid0(VALU_DEP_1) | instskip(NEXT) | instid1(VALU_DEP_1)
	v_div_fmas_f32 v23, v23, v24, v61
	v_div_fixup_f32 v23, v23, v21, v22
	s_delay_alu instid0(VALU_DEP_1) | instskip(NEXT) | instid1(VALU_DEP_1)
	v_fma_f32 v24, v22, v23, v21
	v_div_scale_f32 v61, null, v24, v24, 1.0
	v_div_scale_f32 v64, vcc_lo, 1.0, v24, 1.0
	s_delay_alu instid0(VALU_DEP_2) | instskip(SKIP_2) | instid1(VALU_DEP_1)
	v_rcp_f32_e32 v62, v61
	s_waitcnt_depctr 0xfff
	v_fma_f32 v63, -v61, v62, 1.0
	v_fmac_f32_e32 v62, v63, v62
	s_delay_alu instid0(VALU_DEP_1) | instskip(NEXT) | instid1(VALU_DEP_1)
	v_mul_f32_e32 v63, v64, v62
	v_fma_f32 v65, -v61, v63, v64
	s_delay_alu instid0(VALU_DEP_1) | instskip(NEXT) | instid1(VALU_DEP_1)
	v_fmac_f32_e32 v63, v65, v62
	v_fma_f32 v61, -v61, v63, v64
	s_delay_alu instid0(VALU_DEP_1) | instskip(SKIP_2) | instid1(VALU_DEP_3)
	v_div_fmas_f32 v61, v61, v62, v63
	v_fma_f32 v62, v20, v23, v19
	v_fma_f32 v23, -v19, v23, v20
	v_div_fixup_f32 v24, v61, v24, 1.0
	s_delay_alu instid0(VALU_DEP_1) | instskip(NEXT) | instid1(VALU_DEP_3)
	v_mul_f32_e32 v61, v62, v24
	v_mul_f32_e32 v23, v23, v24
.LBB52_44:                              ;   in Loop: Header=BB52_4 Depth=1
	s_and_not1_saveexec_b32 s34, s7
	s_cbranch_execz .LBB52_46
; %bb.45:                               ;   in Loop: Header=BB52_4 Depth=1
	v_div_scale_f32 v23, null, v25, v25, v19
	v_div_scale_f32 v24, null, v26, v26, v20
	v_div_scale_f32 v65, vcc_lo, v19, v25, v19
	s_delay_alu instid0(VALU_DEP_3) | instskip(NEXT) | instid1(VALU_DEP_2)
	v_rcp_f32_e32 v61, v23
	v_rcp_f32_e32 v62, v24
	s_waitcnt_depctr 0xfff
	v_fma_f32 v63, -v23, v61, 1.0
	v_fma_f32 v64, -v24, v62, 1.0
	s_delay_alu instid0(VALU_DEP_1) | instskip(SKIP_1) | instid1(VALU_DEP_2)
	v_dual_fmac_f32 v61, v63, v61 :: v_dual_fmac_f32 v62, v64, v62
	v_div_scale_f32 v63, s7, v20, v26, v20
	v_mul_f32_e32 v64, v65, v61
	s_delay_alu instid0(VALU_DEP_2) | instskip(NEXT) | instid1(VALU_DEP_2)
	v_mul_f32_e32 v66, v63, v62
	v_fma_f32 v67, -v23, v64, v65
	s_delay_alu instid0(VALU_DEP_2) | instskip(NEXT) | instid1(VALU_DEP_2)
	v_fma_f32 v68, -v24, v66, v63
	v_fmac_f32_e32 v64, v67, v61
	s_delay_alu instid0(VALU_DEP_2) | instskip(NEXT) | instid1(VALU_DEP_2)
	v_fmac_f32_e32 v66, v68, v62
	v_fma_f32 v23, -v23, v64, v65
	s_delay_alu instid0(VALU_DEP_2) | instskip(NEXT) | instid1(VALU_DEP_2)
	v_fma_f32 v24, -v24, v66, v63
	v_div_fmas_f32 v23, v23, v61, v64
	s_mov_b32 vcc_lo, s7
	s_delay_alu instid0(VALU_DEP_2) | instskip(NEXT) | instid1(VALU_DEP_2)
	v_div_fmas_f32 v24, v24, v62, v66
	v_div_fixup_f32 v61, v23, v25, v19
	s_delay_alu instid0(VALU_DEP_2)
	v_div_fixup_f32 v23, v24, v26, v20
.LBB52_46:                              ;   in Loop: Header=BB52_4 Depth=1
	s_or_b32 exec_lo, exec_lo, s34
.LBB52_47:                              ;   in Loop: Header=BB52_4 Depth=1
	s_and_not1_saveexec_b32 s7, s15
	s_cbranch_execz .LBB52_49
; %bb.48:                               ;   in Loop: Header=BB52_4 Depth=1
	v_div_scale_f32 v23, null, v22, v22, v21
	v_div_scale_f32 v62, vcc_lo, v21, v22, v21
	s_delay_alu instid0(VALU_DEP_2) | instskip(SKIP_2) | instid1(VALU_DEP_1)
	v_rcp_f32_e32 v24, v23
	s_waitcnt_depctr 0xfff
	v_fma_f32 v61, -v23, v24, 1.0
	v_fmac_f32_e32 v24, v61, v24
	s_delay_alu instid0(VALU_DEP_1) | instskip(NEXT) | instid1(VALU_DEP_1)
	v_mul_f32_e32 v61, v62, v24
	v_fma_f32 v63, -v23, v61, v62
	s_delay_alu instid0(VALU_DEP_1) | instskip(NEXT) | instid1(VALU_DEP_1)
	v_fmac_f32_e32 v61, v63, v24
	v_fma_f32 v23, -v23, v61, v62
	s_delay_alu instid0(VALU_DEP_1) | instskip(NEXT) | instid1(VALU_DEP_1)
	v_div_fmas_f32 v23, v23, v24, v61
	v_div_fixup_f32 v23, v23, v22, v21
	s_delay_alu instid0(VALU_DEP_1) | instskip(NEXT) | instid1(VALU_DEP_1)
	v_fma_f32 v24, v21, v23, v22
	v_div_scale_f32 v61, null, v24, v24, 1.0
	v_div_scale_f32 v64, vcc_lo, 1.0, v24, 1.0
	s_delay_alu instid0(VALU_DEP_2) | instskip(SKIP_2) | instid1(VALU_DEP_1)
	v_rcp_f32_e32 v62, v61
	s_waitcnt_depctr 0xfff
	v_fma_f32 v63, -v61, v62, 1.0
	v_fmac_f32_e32 v62, v63, v62
	s_delay_alu instid0(VALU_DEP_1) | instskip(NEXT) | instid1(VALU_DEP_1)
	v_mul_f32_e32 v63, v64, v62
	v_fma_f32 v65, -v61, v63, v64
	s_delay_alu instid0(VALU_DEP_1) | instskip(NEXT) | instid1(VALU_DEP_1)
	v_fmac_f32_e32 v63, v65, v62
	v_fma_f32 v61, -v61, v63, v64
	s_delay_alu instid0(VALU_DEP_1) | instskip(SKIP_2) | instid1(VALU_DEP_3)
	v_div_fmas_f32 v61, v61, v62, v63
	v_fma_f32 v62, v19, v23, v20
	v_fma_f32 v23, v20, v23, -v19
	v_div_fixup_f32 v24, v61, v24, 1.0
	s_delay_alu instid0(VALU_DEP_1) | instskip(NEXT) | instid1(VALU_DEP_3)
	v_mul_f32_e32 v61, v62, v24
	v_mul_f32_e32 v23, v23, v24
.LBB52_49:                              ;   in Loop: Header=BB52_4 Depth=1
	s_or_b32 exec_lo, exec_lo, s7
	s_delay_alu instid0(VALU_DEP_1) | instskip(SKIP_1) | instid1(VALU_DEP_1)
	v_mul_f32_e32 v24, s9, v23
	v_mul_f32_e32 v23, s8, v23
	v_fmac_f32_e32 v23, s9, v61
	s_delay_alu instid0(VALU_DEP_3)
	v_fma_f32 v24, v61, s8, -v24
	s_branch .LBB52_60
.LBB52_50:                              ;   in Loop: Header=BB52_4 Depth=1
                                        ; implicit-def: $vgpr23
                                        ; implicit-def: $vgpr24
	s_cbranch_execz .LBB52_60
; %bb.51:                               ;   in Loop: Header=BB52_4 Depth=1
                                        ; implicit-def: $vgpr23
                                        ; implicit-def: $vgpr24
	s_delay_alu instid0(VALU_DEP_1) | instskip(NEXT) | instid1(SALU_CYCLE_1)
	s_and_saveexec_b32 s7, s6
	s_xor_b32 s7, exec_lo, s7
	s_cbranch_execz .LBB52_57
; %bb.52:                               ;   in Loop: Header=BB52_4 Depth=1
	v_cmp_neq_f32_e32 vcc_lo, 0, v21
	v_cmp_neq_f32_e64 s6, 0, v22
                                        ; implicit-def: $vgpr23
                                        ; implicit-def: $vgpr24
	s_delay_alu instid0(VALU_DEP_1) | instskip(NEXT) | instid1(SALU_CYCLE_1)
	s_or_b32 s6, s6, vcc_lo
	s_and_saveexec_b32 s15, s6
	s_delay_alu instid0(SALU_CYCLE_1)
	s_xor_b32 s6, exec_lo, s15
	s_cbranch_execz .LBB52_54
; %bb.53:                               ;   in Loop: Header=BB52_4 Depth=1
	v_div_scale_f32 v23, null, v21, v21, v22
	v_div_scale_f32 v26, vcc_lo, v22, v21, v22
	s_delay_alu instid0(VALU_DEP_2) | instskip(SKIP_2) | instid1(VALU_DEP_1)
	v_rcp_f32_e32 v24, v23
	s_waitcnt_depctr 0xfff
	v_fma_f32 v25, -v23, v24, 1.0
	v_fmac_f32_e32 v24, v25, v24
	s_delay_alu instid0(VALU_DEP_1) | instskip(NEXT) | instid1(VALU_DEP_1)
	v_mul_f32_e32 v25, v26, v24
	v_fma_f32 v61, -v23, v25, v26
	s_delay_alu instid0(VALU_DEP_1) | instskip(NEXT) | instid1(VALU_DEP_1)
	v_fmac_f32_e32 v25, v61, v24
	v_fma_f32 v23, -v23, v25, v26
	s_delay_alu instid0(VALU_DEP_1) | instskip(NEXT) | instid1(VALU_DEP_1)
	v_div_fmas_f32 v23, v23, v24, v25
	v_div_fixup_f32 v23, v23, v21, v22
	s_delay_alu instid0(VALU_DEP_1) | instskip(NEXT) | instid1(VALU_DEP_1)
	v_fmac_f32_e32 v21, v22, v23
	v_div_scale_f32 v22, null, v21, v21, 1.0
	v_div_scale_f32 v26, vcc_lo, 1.0, v21, 1.0
	s_delay_alu instid0(VALU_DEP_2) | instskip(SKIP_2) | instid1(VALU_DEP_1)
	v_rcp_f32_e32 v24, v22
	s_waitcnt_depctr 0xfff
	v_fma_f32 v25, -v22, v24, 1.0
	v_fmac_f32_e32 v24, v25, v24
	s_delay_alu instid0(VALU_DEP_1) | instskip(NEXT) | instid1(VALU_DEP_1)
	v_mul_f32_e32 v25, v26, v24
	v_fma_f32 v61, -v22, v25, v26
	s_delay_alu instid0(VALU_DEP_1) | instskip(NEXT) | instid1(VALU_DEP_1)
	v_fmac_f32_e32 v25, v61, v24
	v_fma_f32 v22, -v22, v25, v26
                                        ; implicit-def: $vgpr26
	s_delay_alu instid0(VALU_DEP_1) | instskip(SKIP_2) | instid1(VALU_DEP_3)
	v_div_fmas_f32 v22, v22, v24, v25
	v_fma_f32 v24, v20, v23, v19
	v_fma_f32 v19, -v19, v23, v20
                                        ; implicit-def: $vgpr25
	v_div_fixup_f32 v21, v22, v21, 1.0
	s_delay_alu instid0(VALU_DEP_1) | instskip(NEXT) | instid1(VALU_DEP_4)
	v_mul_f32_e32 v23, v19, v21
	v_mul_f32_e32 v24, v24, v21
                                        ; implicit-def: $vgpr19
.LBB52_54:                              ;   in Loop: Header=BB52_4 Depth=1
	s_and_not1_saveexec_b32 s15, s6
	s_cbranch_execz .LBB52_56
; %bb.55:                               ;   in Loop: Header=BB52_4 Depth=1
	v_div_scale_f32 v21, null, v25, v25, v19
	v_div_scale_f32 v22, null, v26, v26, v20
	v_div_scale_f32 v63, vcc_lo, v19, v25, v19
	s_delay_alu instid0(VALU_DEP_3) | instskip(NEXT) | instid1(VALU_DEP_2)
	v_rcp_f32_e32 v23, v21
	v_rcp_f32_e32 v24, v22
	s_waitcnt_depctr 0xfff
	v_fma_f32 v61, -v21, v23, 1.0
	v_fma_f32 v62, -v22, v24, 1.0
	s_delay_alu instid0(VALU_DEP_1) | instskip(SKIP_1) | instid1(VALU_DEP_2)
	v_dual_fmac_f32 v23, v61, v23 :: v_dual_fmac_f32 v24, v62, v24
	v_div_scale_f32 v61, s6, v20, v26, v20
	v_mul_f32_e32 v62, v63, v23
	s_delay_alu instid0(VALU_DEP_2) | instskip(NEXT) | instid1(VALU_DEP_2)
	v_mul_f32_e32 v64, v61, v24
	v_fma_f32 v65, -v21, v62, v63
	s_delay_alu instid0(VALU_DEP_2) | instskip(NEXT) | instid1(VALU_DEP_2)
	v_fma_f32 v66, -v22, v64, v61
	v_fmac_f32_e32 v62, v65, v23
	s_delay_alu instid0(VALU_DEP_2) | instskip(NEXT) | instid1(VALU_DEP_2)
	v_fmac_f32_e32 v64, v66, v24
	v_fma_f32 v21, -v21, v62, v63
	s_delay_alu instid0(VALU_DEP_2) | instskip(NEXT) | instid1(VALU_DEP_2)
	v_fma_f32 v22, -v22, v64, v61
	v_div_fmas_f32 v21, v21, v23, v62
	s_mov_b32 vcc_lo, s6
	s_delay_alu instid0(VALU_DEP_2) | instskip(NEXT) | instid1(VALU_DEP_2)
	v_div_fmas_f32 v22, v22, v24, v64
	v_div_fixup_f32 v24, v21, v25, v19
	s_delay_alu instid0(VALU_DEP_2)
	v_div_fixup_f32 v23, v22, v26, v20
.LBB52_56:                              ;   in Loop: Header=BB52_4 Depth=1
	s_or_b32 exec_lo, exec_lo, s15
                                        ; implicit-def: $vgpr22
                                        ; implicit-def: $vgpr19
.LBB52_57:                              ;   in Loop: Header=BB52_4 Depth=1
	s_and_not1_saveexec_b32 s6, s7
	s_cbranch_execz .LBB52_59
; %bb.58:                               ;   in Loop: Header=BB52_4 Depth=1
	v_div_scale_f32 v23, null, v22, v22, v21
	v_div_scale_f32 v26, vcc_lo, v21, v22, v21
	s_delay_alu instid0(VALU_DEP_2) | instskip(SKIP_2) | instid1(VALU_DEP_1)
	v_rcp_f32_e32 v24, v23
	s_waitcnt_depctr 0xfff
	v_fma_f32 v25, -v23, v24, 1.0
	v_fmac_f32_e32 v24, v25, v24
	s_delay_alu instid0(VALU_DEP_1) | instskip(NEXT) | instid1(VALU_DEP_1)
	v_mul_f32_e32 v25, v26, v24
	v_fma_f32 v61, -v23, v25, v26
	s_delay_alu instid0(VALU_DEP_1) | instskip(NEXT) | instid1(VALU_DEP_1)
	v_fmac_f32_e32 v25, v61, v24
	v_fma_f32 v23, -v23, v25, v26
	s_delay_alu instid0(VALU_DEP_1) | instskip(NEXT) | instid1(VALU_DEP_1)
	v_div_fmas_f32 v23, v23, v24, v25
	v_div_fixup_f32 v23, v23, v22, v21
	s_delay_alu instid0(VALU_DEP_1) | instskip(NEXT) | instid1(VALU_DEP_1)
	v_fmac_f32_e32 v22, v21, v23
	v_div_scale_f32 v21, null, v22, v22, 1.0
	v_div_scale_f32 v26, vcc_lo, 1.0, v22, 1.0
	s_delay_alu instid0(VALU_DEP_2) | instskip(SKIP_2) | instid1(VALU_DEP_1)
	v_rcp_f32_e32 v24, v21
	s_waitcnt_depctr 0xfff
	v_fma_f32 v25, -v21, v24, 1.0
	v_fmac_f32_e32 v24, v25, v24
	s_delay_alu instid0(VALU_DEP_1) | instskip(NEXT) | instid1(VALU_DEP_1)
	v_mul_f32_e32 v25, v26, v24
	v_fma_f32 v61, -v21, v25, v26
	s_delay_alu instid0(VALU_DEP_1) | instskip(NEXT) | instid1(VALU_DEP_1)
	v_fmac_f32_e32 v25, v61, v24
	v_fma_f32 v21, -v21, v25, v26
	s_delay_alu instid0(VALU_DEP_1) | instskip(SKIP_2) | instid1(VALU_DEP_3)
	v_div_fmas_f32 v21, v21, v24, v25
	v_fma_f32 v24, v19, v23, v20
	v_fma_f32 v19, v20, v23, -v19
	v_div_fixup_f32 v21, v21, v22, 1.0
	s_delay_alu instid0(VALU_DEP_1) | instskip(NEXT) | instid1(VALU_DEP_3)
	v_mul_f32_e32 v24, v24, v21
	v_mul_f32_e32 v23, v19, v21
.LBB52_59:                              ;   in Loop: Header=BB52_4 Depth=1
	s_or_b32 exec_lo, exec_lo, s6
.LBB52_60:                              ;   in Loop: Header=BB52_4 Depth=1
	v_cmp_gt_f32_e32 vcc_lo, 0, v17
	v_cndmask_b32_e64 v21, v17, -v17, vcc_lo
	v_cmp_gt_f32_e32 vcc_lo, 0, v18
	v_cndmask_b32_e64 v22, v18, -v18, vcc_lo
	s_and_not1_b32 vcc_lo, exec_lo, s31
	s_delay_alu instid0(VALU_DEP_1)
	v_cmp_ge_f32_e64 s6, v21, v22
	s_cbranch_vccnz .LBB52_70
; %bb.61:                               ;   in Loop: Header=BB52_4 Depth=1
                                        ; implicit-def: $vgpr19
                                        ; implicit-def: $vgpr25
	s_delay_alu instid0(VALU_DEP_1) | instskip(NEXT) | instid1(SALU_CYCLE_1)
	s_and_saveexec_b32 s7, s6
	s_xor_b32 s15, exec_lo, s7
	s_cbranch_execz .LBB52_67
; %bb.62:                               ;   in Loop: Header=BB52_4 Depth=1
	v_cmp_neq_f32_e32 vcc_lo, 0, v17
	v_cmp_neq_f32_e64 s7, 0, v18
                                        ; implicit-def: $vgpr19
                                        ; implicit-def: $vgpr25
	s_delay_alu instid0(VALU_DEP_1) | instskip(NEXT) | instid1(SALU_CYCLE_1)
	s_or_b32 s7, s7, vcc_lo
	s_and_saveexec_b32 s34, s7
	s_delay_alu instid0(SALU_CYCLE_1)
	s_xor_b32 s7, exec_lo, s34
	s_cbranch_execz .LBB52_64
; %bb.63:                               ;   in Loop: Header=BB52_4 Depth=1
	v_div_scale_f32 v19, null, v17, v17, v18
	v_div_scale_f32 v26, vcc_lo, v18, v17, v18
	s_delay_alu instid0(VALU_DEP_2) | instskip(SKIP_2) | instid1(VALU_DEP_1)
	v_rcp_f32_e32 v20, v19
	s_waitcnt_depctr 0xfff
	v_fma_f32 v25, -v19, v20, 1.0
	v_fmac_f32_e32 v20, v25, v20
	s_delay_alu instid0(VALU_DEP_1) | instskip(NEXT) | instid1(VALU_DEP_1)
	v_mul_f32_e32 v25, v26, v20
	v_fma_f32 v61, -v19, v25, v26
	s_delay_alu instid0(VALU_DEP_1) | instskip(NEXT) | instid1(VALU_DEP_1)
	v_fmac_f32_e32 v25, v61, v20
	v_fma_f32 v19, -v19, v25, v26
	s_delay_alu instid0(VALU_DEP_1) | instskip(NEXT) | instid1(VALU_DEP_1)
	v_div_fmas_f32 v19, v19, v20, v25
	v_div_fixup_f32 v19, v19, v17, v18
	s_delay_alu instid0(VALU_DEP_1) | instskip(NEXT) | instid1(VALU_DEP_1)
	v_fma_f32 v20, v18, v19, v17
	v_div_scale_f32 v25, null, v20, v20, 1.0
	v_div_scale_f32 v62, vcc_lo, 1.0, v20, 1.0
	s_delay_alu instid0(VALU_DEP_2) | instskip(SKIP_2) | instid1(VALU_DEP_1)
	v_rcp_f32_e32 v26, v25
	s_waitcnt_depctr 0xfff
	v_fma_f32 v61, -v25, v26, 1.0
	v_fmac_f32_e32 v26, v61, v26
	s_delay_alu instid0(VALU_DEP_1) | instskip(NEXT) | instid1(VALU_DEP_1)
	v_mul_f32_e32 v61, v62, v26
	v_fma_f32 v63, -v25, v61, v62
	s_delay_alu instid0(VALU_DEP_1) | instskip(NEXT) | instid1(VALU_DEP_1)
	v_fmac_f32_e32 v61, v63, v26
	v_fma_f32 v25, -v25, v61, v62
	s_delay_alu instid0(VALU_DEP_1) | instskip(SKIP_2) | instid1(VALU_DEP_3)
	v_div_fmas_f32 v25, v25, v26, v61
	v_fma_f32 v26, v16, v19, v15
	v_fma_f32 v19, -v15, v19, v16
	v_div_fixup_f32 v20, v25, v20, 1.0
	s_delay_alu instid0(VALU_DEP_1) | instskip(NEXT) | instid1(VALU_DEP_3)
	v_mul_f32_e32 v25, v26, v20
	v_mul_f32_e32 v19, v19, v20
.LBB52_64:                              ;   in Loop: Header=BB52_4 Depth=1
	s_and_not1_saveexec_b32 s34, s7
	s_cbranch_execz .LBB52_66
; %bb.65:                               ;   in Loop: Header=BB52_4 Depth=1
	v_div_scale_f32 v19, null, v21, v21, v15
	v_div_scale_f32 v20, null, v22, v22, v16
	v_div_scale_f32 v63, vcc_lo, v15, v21, v15
	s_delay_alu instid0(VALU_DEP_3) | instskip(NEXT) | instid1(VALU_DEP_2)
	v_rcp_f32_e32 v25, v19
	v_rcp_f32_e32 v26, v20
	s_waitcnt_depctr 0xfff
	v_fma_f32 v61, -v19, v25, 1.0
	v_fma_f32 v62, -v20, v26, 1.0
	s_delay_alu instid0(VALU_DEP_1) | instskip(SKIP_1) | instid1(VALU_DEP_2)
	v_dual_fmac_f32 v25, v61, v25 :: v_dual_fmac_f32 v26, v62, v26
	v_div_scale_f32 v61, s7, v16, v22, v16
	v_mul_f32_e32 v62, v63, v25
	s_delay_alu instid0(VALU_DEP_2) | instskip(NEXT) | instid1(VALU_DEP_2)
	v_mul_f32_e32 v64, v61, v26
	v_fma_f32 v65, -v19, v62, v63
	s_delay_alu instid0(VALU_DEP_2) | instskip(NEXT) | instid1(VALU_DEP_2)
	v_fma_f32 v66, -v20, v64, v61
	v_fmac_f32_e32 v62, v65, v25
	s_delay_alu instid0(VALU_DEP_2) | instskip(NEXT) | instid1(VALU_DEP_2)
	v_fmac_f32_e32 v64, v66, v26
	v_fma_f32 v19, -v19, v62, v63
	s_delay_alu instid0(VALU_DEP_2) | instskip(NEXT) | instid1(VALU_DEP_2)
	v_fma_f32 v20, -v20, v64, v61
	v_div_fmas_f32 v19, v19, v25, v62
	s_mov_b32 vcc_lo, s7
	s_delay_alu instid0(VALU_DEP_2) | instskip(NEXT) | instid1(VALU_DEP_2)
	v_div_fmas_f32 v20, v20, v26, v64
	v_div_fixup_f32 v25, v19, v21, v15
	s_delay_alu instid0(VALU_DEP_2)
	v_div_fixup_f32 v19, v20, v22, v16
.LBB52_66:                              ;   in Loop: Header=BB52_4 Depth=1
	s_or_b32 exec_lo, exec_lo, s34
.LBB52_67:                              ;   in Loop: Header=BB52_4 Depth=1
	s_and_not1_saveexec_b32 s7, s15
	s_cbranch_execz .LBB52_69
; %bb.68:                               ;   in Loop: Header=BB52_4 Depth=1
	v_div_scale_f32 v19, null, v18, v18, v17
	v_div_scale_f32 v26, vcc_lo, v17, v18, v17
	s_delay_alu instid0(VALU_DEP_2) | instskip(SKIP_2) | instid1(VALU_DEP_1)
	v_rcp_f32_e32 v20, v19
	s_waitcnt_depctr 0xfff
	v_fma_f32 v25, -v19, v20, 1.0
	v_fmac_f32_e32 v20, v25, v20
	s_delay_alu instid0(VALU_DEP_1) | instskip(NEXT) | instid1(VALU_DEP_1)
	v_mul_f32_e32 v25, v26, v20
	v_fma_f32 v61, -v19, v25, v26
	s_delay_alu instid0(VALU_DEP_1) | instskip(NEXT) | instid1(VALU_DEP_1)
	v_fmac_f32_e32 v25, v61, v20
	v_fma_f32 v19, -v19, v25, v26
	s_delay_alu instid0(VALU_DEP_1) | instskip(NEXT) | instid1(VALU_DEP_1)
	v_div_fmas_f32 v19, v19, v20, v25
	v_div_fixup_f32 v19, v19, v18, v17
	s_delay_alu instid0(VALU_DEP_1) | instskip(NEXT) | instid1(VALU_DEP_1)
	v_fma_f32 v20, v17, v19, v18
	v_div_scale_f32 v25, null, v20, v20, 1.0
	v_div_scale_f32 v62, vcc_lo, 1.0, v20, 1.0
	s_delay_alu instid0(VALU_DEP_2) | instskip(SKIP_2) | instid1(VALU_DEP_1)
	v_rcp_f32_e32 v26, v25
	s_waitcnt_depctr 0xfff
	v_fma_f32 v61, -v25, v26, 1.0
	v_fmac_f32_e32 v26, v61, v26
	s_delay_alu instid0(VALU_DEP_1) | instskip(NEXT) | instid1(VALU_DEP_1)
	v_mul_f32_e32 v61, v62, v26
	v_fma_f32 v63, -v25, v61, v62
	s_delay_alu instid0(VALU_DEP_1) | instskip(NEXT) | instid1(VALU_DEP_1)
	v_fmac_f32_e32 v61, v63, v26
	v_fma_f32 v25, -v25, v61, v62
	s_delay_alu instid0(VALU_DEP_1) | instskip(SKIP_2) | instid1(VALU_DEP_3)
	v_div_fmas_f32 v25, v25, v26, v61
	v_fma_f32 v26, v15, v19, v16
	v_fma_f32 v19, v16, v19, -v15
	v_div_fixup_f32 v20, v25, v20, 1.0
	s_delay_alu instid0(VALU_DEP_1) | instskip(NEXT) | instid1(VALU_DEP_3)
	v_mul_f32_e32 v25, v26, v20
	v_mul_f32_e32 v19, v19, v20
.LBB52_69:                              ;   in Loop: Header=BB52_4 Depth=1
	s_or_b32 exec_lo, exec_lo, s7
	s_delay_alu instid0(VALU_DEP_1) | instskip(SKIP_1) | instid1(VALU_DEP_1)
	v_mul_f32_e32 v20, s9, v19
	v_mul_f32_e32 v19, s8, v19
	v_fmac_f32_e32 v19, s9, v25
	s_delay_alu instid0(VALU_DEP_3)
	v_fma_f32 v20, v25, s8, -v20
	s_branch .LBB52_80
.LBB52_70:                              ;   in Loop: Header=BB52_4 Depth=1
                                        ; implicit-def: $vgpr19
                                        ; implicit-def: $vgpr20
	s_cbranch_execz .LBB52_80
; %bb.71:                               ;   in Loop: Header=BB52_4 Depth=1
                                        ; implicit-def: $vgpr19
                                        ; implicit-def: $vgpr20
	s_delay_alu instid0(VALU_DEP_1) | instskip(NEXT) | instid1(SALU_CYCLE_1)
	s_and_saveexec_b32 s7, s6
	s_xor_b32 s7, exec_lo, s7
	s_cbranch_execz .LBB52_77
; %bb.72:                               ;   in Loop: Header=BB52_4 Depth=1
	v_cmp_neq_f32_e32 vcc_lo, 0, v17
	v_cmp_neq_f32_e64 s6, 0, v18
                                        ; implicit-def: $vgpr19
                                        ; implicit-def: $vgpr20
	s_delay_alu instid0(VALU_DEP_1) | instskip(NEXT) | instid1(SALU_CYCLE_1)
	s_or_b32 s6, s6, vcc_lo
	s_and_saveexec_b32 s15, s6
	s_delay_alu instid0(SALU_CYCLE_1)
	s_xor_b32 s6, exec_lo, s15
	s_cbranch_execz .LBB52_74
; %bb.73:                               ;   in Loop: Header=BB52_4 Depth=1
	v_div_scale_f32 v19, null, v17, v17, v18
	v_div_scale_f32 v22, vcc_lo, v18, v17, v18
	s_delay_alu instid0(VALU_DEP_2) | instskip(SKIP_2) | instid1(VALU_DEP_1)
	v_rcp_f32_e32 v20, v19
	s_waitcnt_depctr 0xfff
	v_fma_f32 v21, -v19, v20, 1.0
	v_fmac_f32_e32 v20, v21, v20
	s_delay_alu instid0(VALU_DEP_1) | instskip(NEXT) | instid1(VALU_DEP_1)
	v_mul_f32_e32 v21, v22, v20
	v_fma_f32 v25, -v19, v21, v22
	s_delay_alu instid0(VALU_DEP_1) | instskip(NEXT) | instid1(VALU_DEP_1)
	v_fmac_f32_e32 v21, v25, v20
	v_fma_f32 v19, -v19, v21, v22
	s_delay_alu instid0(VALU_DEP_1) | instskip(NEXT) | instid1(VALU_DEP_1)
	v_div_fmas_f32 v19, v19, v20, v21
	v_div_fixup_f32 v19, v19, v17, v18
	s_delay_alu instid0(VALU_DEP_1) | instskip(NEXT) | instid1(VALU_DEP_1)
	v_fmac_f32_e32 v17, v18, v19
	v_div_scale_f32 v18, null, v17, v17, 1.0
	v_div_scale_f32 v22, vcc_lo, 1.0, v17, 1.0
	s_delay_alu instid0(VALU_DEP_2) | instskip(SKIP_2) | instid1(VALU_DEP_1)
	v_rcp_f32_e32 v20, v18
	s_waitcnt_depctr 0xfff
	v_fma_f32 v21, -v18, v20, 1.0
	v_fmac_f32_e32 v20, v21, v20
	s_delay_alu instid0(VALU_DEP_1) | instskip(NEXT) | instid1(VALU_DEP_1)
	v_mul_f32_e32 v21, v22, v20
	v_fma_f32 v25, -v18, v21, v22
	s_delay_alu instid0(VALU_DEP_1) | instskip(NEXT) | instid1(VALU_DEP_1)
	v_fmac_f32_e32 v21, v25, v20
	v_fma_f32 v18, -v18, v21, v22
                                        ; implicit-def: $vgpr22
	s_delay_alu instid0(VALU_DEP_1) | instskip(SKIP_2) | instid1(VALU_DEP_3)
	v_div_fmas_f32 v18, v18, v20, v21
	v_fma_f32 v20, v16, v19, v15
	v_fma_f32 v15, -v15, v19, v16
                                        ; implicit-def: $vgpr21
	v_div_fixup_f32 v17, v18, v17, 1.0
	s_delay_alu instid0(VALU_DEP_1) | instskip(NEXT) | instid1(VALU_DEP_4)
	v_mul_f32_e32 v19, v15, v17
	v_mul_f32_e32 v20, v20, v17
                                        ; implicit-def: $vgpr15
.LBB52_74:                              ;   in Loop: Header=BB52_4 Depth=1
	s_and_not1_saveexec_b32 s15, s6
	s_cbranch_execz .LBB52_76
; %bb.75:                               ;   in Loop: Header=BB52_4 Depth=1
	v_div_scale_f32 v17, null, v21, v21, v15
	v_div_scale_f32 v18, null, v22, v22, v16
	v_div_scale_f32 v61, vcc_lo, v15, v21, v15
	s_delay_alu instid0(VALU_DEP_3) | instskip(NEXT) | instid1(VALU_DEP_2)
	v_rcp_f32_e32 v19, v17
	v_rcp_f32_e32 v20, v18
	s_waitcnt_depctr 0xfff
	v_fma_f32 v25, -v17, v19, 1.0
	v_fma_f32 v26, -v18, v20, 1.0
	s_delay_alu instid0(VALU_DEP_1) | instskip(SKIP_1) | instid1(VALU_DEP_2)
	v_dual_fmac_f32 v19, v25, v19 :: v_dual_fmac_f32 v20, v26, v20
	v_div_scale_f32 v25, s6, v16, v22, v16
	v_mul_f32_e32 v26, v61, v19
	s_delay_alu instid0(VALU_DEP_2) | instskip(NEXT) | instid1(VALU_DEP_2)
	v_mul_f32_e32 v62, v25, v20
	v_fma_f32 v63, -v17, v26, v61
	s_delay_alu instid0(VALU_DEP_2) | instskip(NEXT) | instid1(VALU_DEP_2)
	v_fma_f32 v64, -v18, v62, v25
	v_fmac_f32_e32 v26, v63, v19
	s_delay_alu instid0(VALU_DEP_2) | instskip(NEXT) | instid1(VALU_DEP_2)
	v_fmac_f32_e32 v62, v64, v20
	v_fma_f32 v17, -v17, v26, v61
	s_delay_alu instid0(VALU_DEP_2) | instskip(NEXT) | instid1(VALU_DEP_2)
	v_fma_f32 v18, -v18, v62, v25
	v_div_fmas_f32 v17, v17, v19, v26
	s_mov_b32 vcc_lo, s6
	s_delay_alu instid0(VALU_DEP_2) | instskip(NEXT) | instid1(VALU_DEP_2)
	v_div_fmas_f32 v18, v18, v20, v62
	v_div_fixup_f32 v20, v17, v21, v15
	s_delay_alu instid0(VALU_DEP_2)
	v_div_fixup_f32 v19, v18, v22, v16
.LBB52_76:                              ;   in Loop: Header=BB52_4 Depth=1
	s_or_b32 exec_lo, exec_lo, s15
                                        ; implicit-def: $vgpr18
                                        ; implicit-def: $vgpr15
.LBB52_77:                              ;   in Loop: Header=BB52_4 Depth=1
	s_and_not1_saveexec_b32 s6, s7
	s_cbranch_execz .LBB52_79
; %bb.78:                               ;   in Loop: Header=BB52_4 Depth=1
	v_div_scale_f32 v19, null, v18, v18, v17
	v_div_scale_f32 v22, vcc_lo, v17, v18, v17
	s_delay_alu instid0(VALU_DEP_2) | instskip(SKIP_2) | instid1(VALU_DEP_1)
	v_rcp_f32_e32 v20, v19
	s_waitcnt_depctr 0xfff
	v_fma_f32 v21, -v19, v20, 1.0
	v_fmac_f32_e32 v20, v21, v20
	s_delay_alu instid0(VALU_DEP_1) | instskip(NEXT) | instid1(VALU_DEP_1)
	v_mul_f32_e32 v21, v22, v20
	v_fma_f32 v25, -v19, v21, v22
	s_delay_alu instid0(VALU_DEP_1) | instskip(NEXT) | instid1(VALU_DEP_1)
	v_fmac_f32_e32 v21, v25, v20
	v_fma_f32 v19, -v19, v21, v22
	s_delay_alu instid0(VALU_DEP_1) | instskip(NEXT) | instid1(VALU_DEP_1)
	v_div_fmas_f32 v19, v19, v20, v21
	v_div_fixup_f32 v19, v19, v18, v17
	s_delay_alu instid0(VALU_DEP_1) | instskip(NEXT) | instid1(VALU_DEP_1)
	v_fmac_f32_e32 v18, v17, v19
	v_div_scale_f32 v17, null, v18, v18, 1.0
	v_div_scale_f32 v22, vcc_lo, 1.0, v18, 1.0
	s_delay_alu instid0(VALU_DEP_2) | instskip(SKIP_2) | instid1(VALU_DEP_1)
	v_rcp_f32_e32 v20, v17
	s_waitcnt_depctr 0xfff
	v_fma_f32 v21, -v17, v20, 1.0
	v_fmac_f32_e32 v20, v21, v20
	s_delay_alu instid0(VALU_DEP_1) | instskip(NEXT) | instid1(VALU_DEP_1)
	v_mul_f32_e32 v21, v22, v20
	v_fma_f32 v25, -v17, v21, v22
	s_delay_alu instid0(VALU_DEP_1) | instskip(NEXT) | instid1(VALU_DEP_1)
	v_fmac_f32_e32 v21, v25, v20
	v_fma_f32 v17, -v17, v21, v22
	s_delay_alu instid0(VALU_DEP_1) | instskip(SKIP_2) | instid1(VALU_DEP_3)
	v_div_fmas_f32 v17, v17, v20, v21
	v_fma_f32 v20, v15, v19, v16
	v_fma_f32 v15, v16, v19, -v15
	v_div_fixup_f32 v17, v17, v18, 1.0
	s_delay_alu instid0(VALU_DEP_1) | instskip(NEXT) | instid1(VALU_DEP_3)
	v_mul_f32_e32 v20, v20, v17
	v_mul_f32_e32 v19, v15, v17
.LBB52_79:                              ;   in Loop: Header=BB52_4 Depth=1
	s_or_b32 exec_lo, exec_lo, s6
.LBB52_80:                              ;   in Loop: Header=BB52_4 Depth=1
	v_cmp_gt_f32_e32 vcc_lo, 0, v13
	v_cndmask_b32_e64 v15, v13, -v13, vcc_lo
	v_cmp_gt_f32_e32 vcc_lo, 0, v14
	v_cndmask_b32_e64 v16, v14, -v14, vcc_lo
	s_and_not1_b32 vcc_lo, exec_lo, s31
	s_delay_alu instid0(VALU_DEP_1)
	v_cmp_ge_f32_e64 s6, v15, v16
	s_cbranch_vccnz .LBB52_90
; %bb.81:                               ;   in Loop: Header=BB52_4 Depth=1
                                        ; implicit-def: $vgpr17
                                        ; implicit-def: $vgpr21
	s_delay_alu instid0(VALU_DEP_1) | instskip(NEXT) | instid1(SALU_CYCLE_1)
	s_and_saveexec_b32 s7, s6
	s_xor_b32 s15, exec_lo, s7
	s_cbranch_execz .LBB52_87
; %bb.82:                               ;   in Loop: Header=BB52_4 Depth=1
	v_cmp_neq_f32_e32 vcc_lo, 0, v13
	v_cmp_neq_f32_e64 s7, 0, v14
                                        ; implicit-def: $vgpr17
                                        ; implicit-def: $vgpr21
	s_delay_alu instid0(VALU_DEP_1) | instskip(NEXT) | instid1(SALU_CYCLE_1)
	s_or_b32 s7, s7, vcc_lo
	s_and_saveexec_b32 s34, s7
	s_delay_alu instid0(SALU_CYCLE_1)
	s_xor_b32 s7, exec_lo, s34
	s_cbranch_execz .LBB52_84
; %bb.83:                               ;   in Loop: Header=BB52_4 Depth=1
	v_div_scale_f32 v17, null, v13, v13, v14
	v_div_scale_f32 v22, vcc_lo, v14, v13, v14
	s_delay_alu instid0(VALU_DEP_2) | instskip(SKIP_2) | instid1(VALU_DEP_1)
	v_rcp_f32_e32 v18, v17
	s_waitcnt_depctr 0xfff
	v_fma_f32 v21, -v17, v18, 1.0
	v_fmac_f32_e32 v18, v21, v18
	s_delay_alu instid0(VALU_DEP_1) | instskip(NEXT) | instid1(VALU_DEP_1)
	v_mul_f32_e32 v21, v22, v18
	v_fma_f32 v25, -v17, v21, v22
	s_delay_alu instid0(VALU_DEP_1) | instskip(NEXT) | instid1(VALU_DEP_1)
	v_fmac_f32_e32 v21, v25, v18
	v_fma_f32 v17, -v17, v21, v22
	s_delay_alu instid0(VALU_DEP_1) | instskip(NEXT) | instid1(VALU_DEP_1)
	v_div_fmas_f32 v17, v17, v18, v21
	v_div_fixup_f32 v17, v17, v13, v14
	s_delay_alu instid0(VALU_DEP_1) | instskip(NEXT) | instid1(VALU_DEP_1)
	v_fma_f32 v18, v14, v17, v13
	v_div_scale_f32 v21, null, v18, v18, 1.0
	v_div_scale_f32 v26, vcc_lo, 1.0, v18, 1.0
	s_delay_alu instid0(VALU_DEP_2) | instskip(SKIP_2) | instid1(VALU_DEP_1)
	v_rcp_f32_e32 v22, v21
	s_waitcnt_depctr 0xfff
	v_fma_f32 v25, -v21, v22, 1.0
	v_fmac_f32_e32 v22, v25, v22
	s_delay_alu instid0(VALU_DEP_1) | instskip(NEXT) | instid1(VALU_DEP_1)
	v_mul_f32_e32 v25, v26, v22
	v_fma_f32 v61, -v21, v25, v26
	s_delay_alu instid0(VALU_DEP_1) | instskip(NEXT) | instid1(VALU_DEP_1)
	v_fmac_f32_e32 v25, v61, v22
	v_fma_f32 v21, -v21, v25, v26
	s_delay_alu instid0(VALU_DEP_1) | instskip(SKIP_2) | instid1(VALU_DEP_3)
	v_div_fmas_f32 v21, v21, v22, v25
	v_fma_f32 v22, v12, v17, v11
	v_fma_f32 v17, -v11, v17, v12
	v_div_fixup_f32 v18, v21, v18, 1.0
	s_delay_alu instid0(VALU_DEP_1) | instskip(NEXT) | instid1(VALU_DEP_3)
	v_mul_f32_e32 v21, v22, v18
	v_mul_f32_e32 v17, v17, v18
.LBB52_84:                              ;   in Loop: Header=BB52_4 Depth=1
	s_and_not1_saveexec_b32 s34, s7
	s_cbranch_execz .LBB52_86
; %bb.85:                               ;   in Loop: Header=BB52_4 Depth=1
	v_div_scale_f32 v17, null, v15, v15, v11
	v_div_scale_f32 v18, null, v16, v16, v12
	v_div_scale_f32 v61, vcc_lo, v11, v15, v11
	s_delay_alu instid0(VALU_DEP_3) | instskip(NEXT) | instid1(VALU_DEP_2)
	v_rcp_f32_e32 v21, v17
	v_rcp_f32_e32 v22, v18
	s_waitcnt_depctr 0xfff
	v_fma_f32 v25, -v17, v21, 1.0
	v_fma_f32 v26, -v18, v22, 1.0
	s_delay_alu instid0(VALU_DEP_1) | instskip(SKIP_1) | instid1(VALU_DEP_2)
	v_dual_fmac_f32 v21, v25, v21 :: v_dual_fmac_f32 v22, v26, v22
	v_div_scale_f32 v25, s7, v12, v16, v12
	v_mul_f32_e32 v26, v61, v21
	s_delay_alu instid0(VALU_DEP_2) | instskip(NEXT) | instid1(VALU_DEP_2)
	v_mul_f32_e32 v62, v25, v22
	v_fma_f32 v63, -v17, v26, v61
	s_delay_alu instid0(VALU_DEP_2) | instskip(NEXT) | instid1(VALU_DEP_2)
	v_fma_f32 v64, -v18, v62, v25
	v_fmac_f32_e32 v26, v63, v21
	s_delay_alu instid0(VALU_DEP_2) | instskip(NEXT) | instid1(VALU_DEP_2)
	v_fmac_f32_e32 v62, v64, v22
	v_fma_f32 v17, -v17, v26, v61
	s_delay_alu instid0(VALU_DEP_2) | instskip(NEXT) | instid1(VALU_DEP_2)
	v_fma_f32 v18, -v18, v62, v25
	v_div_fmas_f32 v17, v17, v21, v26
	s_mov_b32 vcc_lo, s7
	s_delay_alu instid0(VALU_DEP_2) | instskip(NEXT) | instid1(VALU_DEP_2)
	v_div_fmas_f32 v18, v18, v22, v62
	v_div_fixup_f32 v21, v17, v15, v11
	s_delay_alu instid0(VALU_DEP_2)
	v_div_fixup_f32 v17, v18, v16, v12
.LBB52_86:                              ;   in Loop: Header=BB52_4 Depth=1
	s_or_b32 exec_lo, exec_lo, s34
.LBB52_87:                              ;   in Loop: Header=BB52_4 Depth=1
	s_and_not1_saveexec_b32 s7, s15
	s_cbranch_execz .LBB52_89
; %bb.88:                               ;   in Loop: Header=BB52_4 Depth=1
	v_div_scale_f32 v17, null, v14, v14, v13
	v_div_scale_f32 v22, vcc_lo, v13, v14, v13
	s_delay_alu instid0(VALU_DEP_2) | instskip(SKIP_2) | instid1(VALU_DEP_1)
	v_rcp_f32_e32 v18, v17
	s_waitcnt_depctr 0xfff
	v_fma_f32 v21, -v17, v18, 1.0
	v_fmac_f32_e32 v18, v21, v18
	s_delay_alu instid0(VALU_DEP_1) | instskip(NEXT) | instid1(VALU_DEP_1)
	v_mul_f32_e32 v21, v22, v18
	v_fma_f32 v25, -v17, v21, v22
	s_delay_alu instid0(VALU_DEP_1) | instskip(NEXT) | instid1(VALU_DEP_1)
	v_fmac_f32_e32 v21, v25, v18
	v_fma_f32 v17, -v17, v21, v22
	s_delay_alu instid0(VALU_DEP_1) | instskip(NEXT) | instid1(VALU_DEP_1)
	v_div_fmas_f32 v17, v17, v18, v21
	v_div_fixup_f32 v17, v17, v14, v13
	s_delay_alu instid0(VALU_DEP_1) | instskip(NEXT) | instid1(VALU_DEP_1)
	v_fma_f32 v18, v13, v17, v14
	v_div_scale_f32 v21, null, v18, v18, 1.0
	v_div_scale_f32 v26, vcc_lo, 1.0, v18, 1.0
	s_delay_alu instid0(VALU_DEP_2) | instskip(SKIP_2) | instid1(VALU_DEP_1)
	v_rcp_f32_e32 v22, v21
	s_waitcnt_depctr 0xfff
	v_fma_f32 v25, -v21, v22, 1.0
	v_fmac_f32_e32 v22, v25, v22
	s_delay_alu instid0(VALU_DEP_1) | instskip(NEXT) | instid1(VALU_DEP_1)
	v_mul_f32_e32 v25, v26, v22
	v_fma_f32 v61, -v21, v25, v26
	s_delay_alu instid0(VALU_DEP_1) | instskip(NEXT) | instid1(VALU_DEP_1)
	v_fmac_f32_e32 v25, v61, v22
	v_fma_f32 v21, -v21, v25, v26
	s_delay_alu instid0(VALU_DEP_1) | instskip(SKIP_2) | instid1(VALU_DEP_3)
	v_div_fmas_f32 v21, v21, v22, v25
	v_fma_f32 v22, v11, v17, v12
	v_fma_f32 v17, v12, v17, -v11
	v_div_fixup_f32 v18, v21, v18, 1.0
	s_delay_alu instid0(VALU_DEP_1) | instskip(NEXT) | instid1(VALU_DEP_3)
	v_mul_f32_e32 v21, v22, v18
	v_mul_f32_e32 v17, v17, v18
.LBB52_89:                              ;   in Loop: Header=BB52_4 Depth=1
	s_or_b32 exec_lo, exec_lo, s7
	s_delay_alu instid0(VALU_DEP_1) | instskip(SKIP_1) | instid1(VALU_DEP_2)
	v_mul_f32_e32 v18, s9, v17
	v_mul_f32_e32 v17, s8, v17
	v_fma_f32 v18, v21, s8, -v18
	s_delay_alu instid0(VALU_DEP_2)
	v_fmac_f32_e32 v17, s9, v21
	s_branch .LBB52_100
.LBB52_90:                              ;   in Loop: Header=BB52_4 Depth=1
                                        ; implicit-def: $vgpr17
                                        ; implicit-def: $vgpr18
	s_cbranch_execz .LBB52_100
; %bb.91:                               ;   in Loop: Header=BB52_4 Depth=1
                                        ; implicit-def: $vgpr17
                                        ; implicit-def: $vgpr18
	s_delay_alu instid0(VALU_DEP_1) | instskip(NEXT) | instid1(SALU_CYCLE_1)
	s_and_saveexec_b32 s7, s6
	s_xor_b32 s7, exec_lo, s7
	s_cbranch_execz .LBB52_97
; %bb.92:                               ;   in Loop: Header=BB52_4 Depth=1
	v_cmp_neq_f32_e32 vcc_lo, 0, v13
	v_cmp_neq_f32_e64 s6, 0, v14
                                        ; implicit-def: $vgpr17
                                        ; implicit-def: $vgpr18
	s_delay_alu instid0(VALU_DEP_1) | instskip(NEXT) | instid1(SALU_CYCLE_1)
	s_or_b32 s6, s6, vcc_lo
	s_and_saveexec_b32 s15, s6
	s_delay_alu instid0(SALU_CYCLE_1)
	s_xor_b32 s6, exec_lo, s15
	s_cbranch_execz .LBB52_94
; %bb.93:                               ;   in Loop: Header=BB52_4 Depth=1
	v_div_scale_f32 v15, null, v13, v13, v14
	v_div_scale_f32 v18, vcc_lo, v14, v13, v14
	s_delay_alu instid0(VALU_DEP_2) | instskip(SKIP_2) | instid1(VALU_DEP_1)
	v_rcp_f32_e32 v16, v15
	s_waitcnt_depctr 0xfff
	v_fma_f32 v17, -v15, v16, 1.0
	v_fmac_f32_e32 v16, v17, v16
	s_delay_alu instid0(VALU_DEP_1) | instskip(NEXT) | instid1(VALU_DEP_1)
	v_mul_f32_e32 v17, v18, v16
	v_fma_f32 v21, -v15, v17, v18
	s_delay_alu instid0(VALU_DEP_1) | instskip(NEXT) | instid1(VALU_DEP_1)
	v_fmac_f32_e32 v17, v21, v16
	v_fma_f32 v15, -v15, v17, v18
	s_delay_alu instid0(VALU_DEP_1) | instskip(NEXT) | instid1(VALU_DEP_1)
	v_div_fmas_f32 v15, v15, v16, v17
	v_div_fixup_f32 v15, v15, v13, v14
	s_delay_alu instid0(VALU_DEP_1) | instskip(NEXT) | instid1(VALU_DEP_1)
	v_fmac_f32_e32 v13, v14, v15
	v_div_scale_f32 v14, null, v13, v13, 1.0
	v_div_scale_f32 v18, vcc_lo, 1.0, v13, 1.0
	s_delay_alu instid0(VALU_DEP_2) | instskip(SKIP_2) | instid1(VALU_DEP_1)
	v_rcp_f32_e32 v16, v14
	s_waitcnt_depctr 0xfff
	v_fma_f32 v17, -v14, v16, 1.0
	v_fmac_f32_e32 v16, v17, v16
	s_delay_alu instid0(VALU_DEP_1) | instskip(NEXT) | instid1(VALU_DEP_1)
	v_mul_f32_e32 v17, v18, v16
	v_fma_f32 v21, -v14, v17, v18
	s_delay_alu instid0(VALU_DEP_1) | instskip(NEXT) | instid1(VALU_DEP_1)
	v_fmac_f32_e32 v17, v21, v16
	v_fma_f32 v14, -v14, v17, v18
	s_delay_alu instid0(VALU_DEP_1) | instskip(SKIP_2) | instid1(VALU_DEP_3)
	v_div_fmas_f32 v14, v14, v16, v17
	v_fma_f32 v16, v12, v15, v11
	v_fma_f32 v11, -v11, v15, v12
                                        ; implicit-def: $vgpr15
	v_div_fixup_f32 v13, v14, v13, 1.0
	s_delay_alu instid0(VALU_DEP_1) | instskip(NEXT) | instid1(VALU_DEP_4)
	v_mul_f32_e32 v17, v11, v13
	v_mul_f32_e32 v18, v16, v13
                                        ; implicit-def: $vgpr11
                                        ; implicit-def: $vgpr16
.LBB52_94:                              ;   in Loop: Header=BB52_4 Depth=1
	s_and_not1_saveexec_b32 s15, s6
	s_cbranch_execz .LBB52_96
; %bb.95:                               ;   in Loop: Header=BB52_4 Depth=1
	v_div_scale_f32 v13, null, v15, v15, v11
	v_div_scale_f32 v14, null, v16, v16, v12
	v_div_scale_f32 v25, vcc_lo, v11, v15, v11
	s_delay_alu instid0(VALU_DEP_3) | instskip(NEXT) | instid1(VALU_DEP_2)
	v_rcp_f32_e32 v17, v13
	v_rcp_f32_e32 v18, v14
	s_waitcnt_depctr 0xfff
	v_fma_f32 v21, -v13, v17, 1.0
	v_fma_f32 v22, -v14, v18, 1.0
	s_delay_alu instid0(VALU_DEP_1) | instskip(SKIP_1) | instid1(VALU_DEP_2)
	v_dual_fmac_f32 v17, v21, v17 :: v_dual_fmac_f32 v18, v22, v18
	v_div_scale_f32 v21, s6, v12, v16, v12
	v_mul_f32_e32 v22, v25, v17
	s_delay_alu instid0(VALU_DEP_2) | instskip(NEXT) | instid1(VALU_DEP_2)
	v_mul_f32_e32 v26, v21, v18
	v_fma_f32 v61, -v13, v22, v25
	s_delay_alu instid0(VALU_DEP_2) | instskip(NEXT) | instid1(VALU_DEP_2)
	v_fma_f32 v62, -v14, v26, v21
	v_fmac_f32_e32 v22, v61, v17
	s_delay_alu instid0(VALU_DEP_2) | instskip(NEXT) | instid1(VALU_DEP_2)
	v_fmac_f32_e32 v26, v62, v18
	v_fma_f32 v13, -v13, v22, v25
	s_delay_alu instid0(VALU_DEP_2) | instskip(NEXT) | instid1(VALU_DEP_2)
	v_fma_f32 v14, -v14, v26, v21
	v_div_fmas_f32 v13, v13, v17, v22
	s_mov_b32 vcc_lo, s6
	s_delay_alu instid0(VALU_DEP_2) | instskip(NEXT) | instid1(VALU_DEP_2)
	v_div_fmas_f32 v14, v14, v18, v26
	v_div_fixup_f32 v18, v13, v15, v11
	s_delay_alu instid0(VALU_DEP_2)
	v_div_fixup_f32 v17, v14, v16, v12
.LBB52_96:                              ;   in Loop: Header=BB52_4 Depth=1
	s_or_b32 exec_lo, exec_lo, s15
                                        ; implicit-def: $vgpr14
                                        ; implicit-def: $vgpr11
.LBB52_97:                              ;   in Loop: Header=BB52_4 Depth=1
	s_and_not1_saveexec_b32 s6, s7
	s_cbranch_execz .LBB52_99
; %bb.98:                               ;   in Loop: Header=BB52_4 Depth=1
	v_div_scale_f32 v15, null, v14, v14, v13
	v_div_scale_f32 v18, vcc_lo, v13, v14, v13
	s_delay_alu instid0(VALU_DEP_2) | instskip(SKIP_2) | instid1(VALU_DEP_1)
	v_rcp_f32_e32 v16, v15
	s_waitcnt_depctr 0xfff
	v_fma_f32 v17, -v15, v16, 1.0
	v_fmac_f32_e32 v16, v17, v16
	s_delay_alu instid0(VALU_DEP_1) | instskip(NEXT) | instid1(VALU_DEP_1)
	v_mul_f32_e32 v17, v18, v16
	v_fma_f32 v21, -v15, v17, v18
	s_delay_alu instid0(VALU_DEP_1) | instskip(NEXT) | instid1(VALU_DEP_1)
	v_fmac_f32_e32 v17, v21, v16
	v_fma_f32 v15, -v15, v17, v18
	s_delay_alu instid0(VALU_DEP_1) | instskip(NEXT) | instid1(VALU_DEP_1)
	v_div_fmas_f32 v15, v15, v16, v17
	v_div_fixup_f32 v15, v15, v14, v13
	s_delay_alu instid0(VALU_DEP_1) | instskip(NEXT) | instid1(VALU_DEP_1)
	v_fmac_f32_e32 v14, v13, v15
	v_div_scale_f32 v13, null, v14, v14, 1.0
	v_div_scale_f32 v18, vcc_lo, 1.0, v14, 1.0
	s_delay_alu instid0(VALU_DEP_2) | instskip(SKIP_2) | instid1(VALU_DEP_1)
	v_rcp_f32_e32 v16, v13
	s_waitcnt_depctr 0xfff
	v_fma_f32 v17, -v13, v16, 1.0
	v_fmac_f32_e32 v16, v17, v16
	s_delay_alu instid0(VALU_DEP_1) | instskip(NEXT) | instid1(VALU_DEP_1)
	v_mul_f32_e32 v17, v18, v16
	v_fma_f32 v21, -v13, v17, v18
	s_delay_alu instid0(VALU_DEP_1) | instskip(NEXT) | instid1(VALU_DEP_1)
	v_fmac_f32_e32 v17, v21, v16
	v_fma_f32 v13, -v13, v17, v18
	s_delay_alu instid0(VALU_DEP_1) | instskip(SKIP_2) | instid1(VALU_DEP_3)
	v_div_fmas_f32 v13, v13, v16, v17
	v_fma_f32 v16, v11, v15, v12
	v_fma_f32 v11, v12, v15, -v11
	v_div_fixup_f32 v13, v13, v14, 1.0
	s_delay_alu instid0(VALU_DEP_1) | instskip(NEXT) | instid1(VALU_DEP_3)
	v_mul_f32_e32 v18, v16, v13
	v_mul_f32_e32 v17, v11, v13
.LBB52_99:                              ;   in Loop: Header=BB52_4 Depth=1
	s_or_b32 exec_lo, exec_lo, s6
.LBB52_100:                             ;   in Loop: Header=BB52_4 Depth=1
	s_and_saveexec_b32 s6, s2
	s_delay_alu instid0(SALU_CYCLE_1)
	s_xor_b32 s2, exec_lo, s6
	s_cbranch_execnz .LBB52_104
; %bb.101:                              ;   in Loop: Header=BB52_4 Depth=1
	s_or_b32 exec_lo, exec_lo, s2
	s_and_saveexec_b32 s2, s3
	s_cbranch_execnz .LBB52_105
.LBB52_102:                             ;   in Loop: Header=BB52_4 Depth=1
	s_or_b32 exec_lo, exec_lo, s2
	s_and_saveexec_b32 s2, s4
	s_cbranch_execnz .LBB52_106
.LBB52_103:                             ;   in Loop: Header=BB52_4 Depth=1
	s_or_b32 exec_lo, exec_lo, s2
	s_and_saveexec_b32 s2, s5
	s_cbranch_execz .LBB52_3
	s_branch .LBB52_107
.LBB52_104:                             ;   in Loop: Header=BB52_4 Depth=1
	v_add_co_u32 v11, vcc_lo, v33, s12
	v_dual_add_f32 v3, v3, v60 :: v_dual_add_f32 v4, v4, v59
	v_add_co_ci_u32_e32 v12, vcc_lo, s13, v34, vcc_lo
	global_store_b64 v[11:12], v[3:4], off offset:-4
	s_or_b32 exec_lo, exec_lo, s2
	s_and_saveexec_b32 s2, s3
	s_cbranch_execz .LBB52_102
.LBB52_105:                             ;   in Loop: Header=BB52_4 Depth=1
	v_dual_add_f32 v3, v5, v24 :: v_dual_add_f32 v4, v6, v23
	v_add_co_u32 v5, vcc_lo, v49, s12
	v_add_co_ci_u32_e32 v6, vcc_lo, s13, v50, vcc_lo
	global_store_b64 v[5:6], v[3:4], off
	s_or_b32 exec_lo, exec_lo, s2
	s_and_saveexec_b32 s2, s4
	s_cbranch_execz .LBB52_103
.LBB52_106:                             ;   in Loop: Header=BB52_4 Depth=1
	v_add_co_u32 v5, vcc_lo, v51, s12
	v_dual_add_f32 v3, v7, v20 :: v_dual_add_f32 v4, v8, v19
	v_add_co_ci_u32_e32 v6, vcc_lo, s13, v52, vcc_lo
	global_store_b64 v[5:6], v[3:4], off offset:-4
	s_or_b32 exec_lo, exec_lo, s2
	s_and_saveexec_b32 s2, s5
	s_cbranch_execz .LBB52_3
.LBB52_107:                             ;   in Loop: Header=BB52_4 Depth=1
	v_add_co_u32 v5, vcc_lo, v41, s12
	v_dual_add_f32 v3, v9, v18 :: v_dual_add_f32 v4, v10, v17
	v_add_co_ci_u32_e32 v6, vcc_lo, s13, v42, vcc_lo
	global_store_b64 v[5:6], v[3:4], off offset:-4
	s_branch .LBB52_3
.LBB52_108:
	s_mov_b32 s14, 0
.LBB52_109:
	s_delay_alu instid0(SALU_CYCLE_1)
	s_and_not1_b32 vcc_lo, exec_lo, s14
	s_cbranch_vccnz .LBB52_193
; %bb.110:
	v_dual_mov_b32 v25, 0 :: v_dual_lshlrev_b32 v24, 2, v0
	s_mov_b32 s2, 0
	s_mov_b32 s3, exec_lo
	s_delay_alu instid0(VALU_DEP_1)
	v_cmpx_gt_i64_e64 s[10:11], v[24:25]
	s_cbranch_execz .LBB52_193
; %bb.111:
	s_load_b32 s0, s[0:1], 0xc04
	s_waitcnt lgkmcnt(0)
	s_and_b32 s1, s9, 0x7fffffff
	v_lshlrev_b32_e32 v26, 5, v0
	s_cmp_lg_u32 s1, 0
	v_cmp_neq_f32_e64 s1, s8, 1.0
	s_cselect_b32 s3, -1, 0
	s_delay_alu instid0(VALU_DEP_1) | instid1(SALU_CYCLE_1)
	s_or_b32 s3, s1, s3
	s_and_b32 s0, s0, 0xffff
	s_delay_alu instid0(SALU_CYCLE_1)
	v_add_lshl_u32 v24, v0, s0, 2
	s_lshl_b32 s4, s0, 2
	s_lshl_b32 s5, s0, 5
	s_branch .LBB52_114
.LBB52_112:                             ;   in Loop: Header=BB52_114 Depth=1
	s_or_b32 exec_lo, exec_lo, s0
.LBB52_113:                             ;   in Loop: Header=BB52_114 Depth=1
	v_cmp_le_i64_e32 vcc_lo, s[10:11], v[24:25]
	v_cmp_lt_u64_e64 s0, 0xffff, v[24:25]
	v_add_co_u32 v8, s1, s26, v26
	s_delay_alu instid0(VALU_DEP_1) | instskip(SKIP_1) | instid1(VALU_DEP_4)
	v_add_co_ci_u32_e64 v9, null, s27, 0, s1
	v_dual_add_f32 v6, v6, v30 :: v_dual_add_f32 v7, v7, v29
	s_or_b32 s0, vcc_lo, s0
	s_add_u32 s20, s20, s5
	s_addc_u32 s21, s21, 0
	s_add_u32 s26, s26, s5
	s_addc_u32 s27, s27, 0
	s_add_u32 s22, s22, s5
	v_add_co_u32 v24, vcc_lo, v24, s4
	s_addc_u32 s23, s23, 0
	s_add_u32 s24, s24, s5
	v_dual_add_f32 v4, v4, v28 :: v_dual_add_f32 v5, v5, v27
	v_add_co_ci_u32_e32 v25, vcc_lo, 0, v25, vcc_lo
	s_addc_u32 s25, s25, 0
	v_dual_add_f32 v0, v0, v17 :: v_dual_add_f32 v1, v1, v16
	v_dual_add_f32 v2, v2, v19 :: v_dual_add_f32 v3, v3, v18
	s_and_b32 s0, exec_lo, s0
	s_clause 0x1
	global_store_b128 v[8:9], v[4:7], off
	global_store_b128 v[8:9], v[0:3], off offset:16
	s_or_b32 s2, s0, s2
	s_delay_alu instid0(SALU_CYCLE_1)
	s_and_not1_b32 exec_lo, exec_lo, s2
	s_cbranch_execz .LBB52_193
.LBB52_114:                             ; =>This Inner Loop Header: Depth=1
	v_add_co_u32 v0, s0, s24, v26
	s_delay_alu instid0(VALU_DEP_1) | instskip(SKIP_1) | instid1(VALU_DEP_1)
	v_add_co_ci_u32_e64 v1, null, s25, 0, s0
	v_add_co_u32 v4, s0, s20, v26
	v_add_co_ci_u32_e64 v5, null, s21, 0, s0
	global_load_b128 v[20:23], v[0:1], off
	v_add_co_u32 v16, s0, s22, v26
	s_delay_alu instid0(VALU_DEP_1)
	v_add_co_ci_u32_e64 v17, null, s23, 0, s0
	global_load_b128 v[12:15], v[0:1], off offset:16
	s_clause 0x1
	global_load_b128 v[0:3], v[4:5], off offset:16
	global_load_b128 v[4:7], v[4:5], off
	s_clause 0x1
	global_load_b128 v[8:11], v[16:17], off offset:16
	global_load_b128 v[16:19], v[16:17], off
	s_waitcnt vmcnt(5)
	v_cmp_gt_f32_e32 vcc_lo, 0, v20
	v_cndmask_b32_e64 v29, v20, -v20, vcc_lo
	v_cmp_gt_f32_e32 vcc_lo, 0, v21
	v_cndmask_b32_e64 v30, v21, -v21, vcc_lo
	s_and_b32 vcc_lo, exec_lo, s3
	s_delay_alu instid0(VALU_DEP_1)
	v_cmp_ge_f32_e64 s0, v29, v30
	s_cbranch_vccz .LBB52_124
; %bb.115:                              ;   in Loop: Header=BB52_114 Depth=1
                                        ; implicit-def: $vgpr27
                                        ; implicit-def: $vgpr31
	s_delay_alu instid0(VALU_DEP_1) | instskip(NEXT) | instid1(SALU_CYCLE_1)
	s_and_saveexec_b32 s1, s0
	s_xor_b32 s6, exec_lo, s1
	s_cbranch_execz .LBB52_121
; %bb.116:                              ;   in Loop: Header=BB52_114 Depth=1
	v_cmp_neq_f32_e32 vcc_lo, 0, v20
	v_cmp_neq_f32_e64 s1, 0, v21
                                        ; implicit-def: $vgpr27
                                        ; implicit-def: $vgpr31
	s_delay_alu instid0(VALU_DEP_1) | instskip(NEXT) | instid1(SALU_CYCLE_1)
	s_or_b32 s1, vcc_lo, s1
	s_and_saveexec_b32 s7, s1
	s_delay_alu instid0(SALU_CYCLE_1)
	s_xor_b32 s1, exec_lo, s7
	s_cbranch_execz .LBB52_118
; %bb.117:                              ;   in Loop: Header=BB52_114 Depth=1
	v_div_scale_f32 v27, null, v20, v20, v21
	v_div_scale_f32 v32, vcc_lo, v21, v20, v21
	s_delay_alu instid0(VALU_DEP_2) | instskip(SKIP_2) | instid1(VALU_DEP_1)
	v_rcp_f32_e32 v28, v27
	s_waitcnt_depctr 0xfff
	v_fma_f32 v31, -v27, v28, 1.0
	v_fmac_f32_e32 v28, v31, v28
	s_delay_alu instid0(VALU_DEP_1) | instskip(NEXT) | instid1(VALU_DEP_1)
	v_mul_f32_e32 v31, v32, v28
	v_fma_f32 v33, -v27, v31, v32
	s_delay_alu instid0(VALU_DEP_1) | instskip(NEXT) | instid1(VALU_DEP_1)
	v_fmac_f32_e32 v31, v33, v28
	v_fma_f32 v27, -v27, v31, v32
	s_delay_alu instid0(VALU_DEP_1) | instskip(NEXT) | instid1(VALU_DEP_1)
	v_div_fmas_f32 v27, v27, v28, v31
	v_div_fixup_f32 v27, v27, v20, v21
	s_delay_alu instid0(VALU_DEP_1) | instskip(NEXT) | instid1(VALU_DEP_1)
	v_fma_f32 v28, v21, v27, v20
	v_div_scale_f32 v31, null, v28, v28, 1.0
	v_div_scale_f32 v34, vcc_lo, 1.0, v28, 1.0
	s_delay_alu instid0(VALU_DEP_2) | instskip(SKIP_2) | instid1(VALU_DEP_1)
	v_rcp_f32_e32 v32, v31
	s_waitcnt_depctr 0xfff
	v_fma_f32 v33, -v31, v32, 1.0
	v_fmac_f32_e32 v32, v33, v32
	s_delay_alu instid0(VALU_DEP_1) | instskip(NEXT) | instid1(VALU_DEP_1)
	v_mul_f32_e32 v33, v34, v32
	v_fma_f32 v35, -v31, v33, v34
	s_delay_alu instid0(VALU_DEP_1) | instskip(NEXT) | instid1(VALU_DEP_1)
	v_fmac_f32_e32 v33, v35, v32
	v_fma_f32 v31, -v31, v33, v34
	s_delay_alu instid0(VALU_DEP_1) | instskip(SKIP_3) | instid1(VALU_DEP_3)
	v_div_fmas_f32 v31, v31, v32, v33
	s_waitcnt vmcnt(0)
	v_fma_f32 v32, v17, v27, v16
	v_fma_f32 v27, -v16, v27, v17
	v_div_fixup_f32 v28, v31, v28, 1.0
	s_delay_alu instid0(VALU_DEP_1) | instskip(NEXT) | instid1(VALU_DEP_3)
	v_mul_f32_e32 v31, v32, v28
	v_mul_f32_e32 v27, v27, v28
.LBB52_118:                             ;   in Loop: Header=BB52_114 Depth=1
	s_and_not1_saveexec_b32 s7, s1
	s_cbranch_execz .LBB52_120
; %bb.119:                              ;   in Loop: Header=BB52_114 Depth=1
	s_waitcnt vmcnt(0)
	v_div_scale_f32 v27, null, v29, v29, v16
	v_div_scale_f32 v28, null, v30, v30, v17
	v_div_scale_f32 v35, vcc_lo, v16, v29, v16
	s_delay_alu instid0(VALU_DEP_3) | instskip(NEXT) | instid1(VALU_DEP_2)
	v_rcp_f32_e32 v31, v27
	v_rcp_f32_e32 v32, v28
	s_waitcnt_depctr 0xfff
	v_fma_f32 v33, -v27, v31, 1.0
	v_fma_f32 v34, -v28, v32, 1.0
	s_delay_alu instid0(VALU_DEP_1) | instskip(SKIP_1) | instid1(VALU_DEP_2)
	v_dual_fmac_f32 v31, v33, v31 :: v_dual_fmac_f32 v32, v34, v32
	v_div_scale_f32 v33, s1, v17, v30, v17
	v_mul_f32_e32 v34, v35, v31
	s_delay_alu instid0(VALU_DEP_2) | instskip(NEXT) | instid1(VALU_DEP_2)
	v_mul_f32_e32 v36, v33, v32
	v_fma_f32 v37, -v27, v34, v35
	s_delay_alu instid0(VALU_DEP_2) | instskip(NEXT) | instid1(VALU_DEP_2)
	v_fma_f32 v38, -v28, v36, v33
	v_fmac_f32_e32 v34, v37, v31
	s_delay_alu instid0(VALU_DEP_2) | instskip(NEXT) | instid1(VALU_DEP_2)
	v_fmac_f32_e32 v36, v38, v32
	v_fma_f32 v27, -v27, v34, v35
	s_delay_alu instid0(VALU_DEP_2) | instskip(NEXT) | instid1(VALU_DEP_2)
	v_fma_f32 v28, -v28, v36, v33
	v_div_fmas_f32 v27, v27, v31, v34
	s_mov_b32 vcc_lo, s1
	s_delay_alu instid0(VALU_DEP_2) | instskip(NEXT) | instid1(VALU_DEP_2)
	v_div_fmas_f32 v28, v28, v32, v36
	v_div_fixup_f32 v31, v27, v29, v16
	s_delay_alu instid0(VALU_DEP_2)
	v_div_fixup_f32 v27, v28, v30, v17
.LBB52_120:                             ;   in Loop: Header=BB52_114 Depth=1
	s_or_b32 exec_lo, exec_lo, s7
.LBB52_121:                             ;   in Loop: Header=BB52_114 Depth=1
	s_and_not1_saveexec_b32 s1, s6
	s_cbranch_execz .LBB52_123
; %bb.122:                              ;   in Loop: Header=BB52_114 Depth=1
	v_div_scale_f32 v27, null, v21, v21, v20
	v_div_scale_f32 v32, vcc_lo, v20, v21, v20
	s_delay_alu instid0(VALU_DEP_2) | instskip(SKIP_2) | instid1(VALU_DEP_1)
	v_rcp_f32_e32 v28, v27
	s_waitcnt_depctr 0xfff
	v_fma_f32 v31, -v27, v28, 1.0
	v_fmac_f32_e32 v28, v31, v28
	s_delay_alu instid0(VALU_DEP_1) | instskip(NEXT) | instid1(VALU_DEP_1)
	v_mul_f32_e32 v31, v32, v28
	v_fma_f32 v33, -v27, v31, v32
	s_delay_alu instid0(VALU_DEP_1) | instskip(NEXT) | instid1(VALU_DEP_1)
	v_fmac_f32_e32 v31, v33, v28
	v_fma_f32 v27, -v27, v31, v32
	s_delay_alu instid0(VALU_DEP_1) | instskip(NEXT) | instid1(VALU_DEP_1)
	v_div_fmas_f32 v27, v27, v28, v31
	v_div_fixup_f32 v27, v27, v21, v20
	s_delay_alu instid0(VALU_DEP_1) | instskip(NEXT) | instid1(VALU_DEP_1)
	v_fma_f32 v28, v20, v27, v21
	v_div_scale_f32 v31, null, v28, v28, 1.0
	v_div_scale_f32 v34, vcc_lo, 1.0, v28, 1.0
	s_delay_alu instid0(VALU_DEP_2) | instskip(SKIP_2) | instid1(VALU_DEP_1)
	v_rcp_f32_e32 v32, v31
	s_waitcnt_depctr 0xfff
	v_fma_f32 v33, -v31, v32, 1.0
	v_fmac_f32_e32 v32, v33, v32
	s_delay_alu instid0(VALU_DEP_1) | instskip(NEXT) | instid1(VALU_DEP_1)
	v_mul_f32_e32 v33, v34, v32
	v_fma_f32 v35, -v31, v33, v34
	s_delay_alu instid0(VALU_DEP_1) | instskip(NEXT) | instid1(VALU_DEP_1)
	v_fmac_f32_e32 v33, v35, v32
	v_fma_f32 v31, -v31, v33, v34
	s_delay_alu instid0(VALU_DEP_1) | instskip(SKIP_3) | instid1(VALU_DEP_3)
	v_div_fmas_f32 v31, v31, v32, v33
	s_waitcnt vmcnt(0)
	v_fma_f32 v32, v16, v27, v17
	v_fma_f32 v27, v17, v27, -v16
	v_div_fixup_f32 v28, v31, v28, 1.0
	s_delay_alu instid0(VALU_DEP_1) | instskip(NEXT) | instid1(VALU_DEP_3)
	v_mul_f32_e32 v31, v32, v28
	v_mul_f32_e32 v27, v27, v28
.LBB52_123:                             ;   in Loop: Header=BB52_114 Depth=1
	s_or_b32 exec_lo, exec_lo, s1
	s_delay_alu instid0(VALU_DEP_1) | instskip(SKIP_1) | instid1(VALU_DEP_2)
	v_mul_f32_e32 v28, s9, v27
	v_mul_f32_e32 v27, s8, v27
	v_fma_f32 v28, v31, s8, -v28
	s_delay_alu instid0(VALU_DEP_2)
	v_fmac_f32_e32 v27, s9, v31
	s_branch .LBB52_134
.LBB52_124:                             ;   in Loop: Header=BB52_114 Depth=1
                                        ; implicit-def: $vgpr27
                                        ; implicit-def: $vgpr28
	s_cbranch_execz .LBB52_134
; %bb.125:                              ;   in Loop: Header=BB52_114 Depth=1
                                        ; implicit-def: $vgpr27
                                        ; implicit-def: $vgpr28
	s_delay_alu instid0(VALU_DEP_1) | instskip(NEXT) | instid1(SALU_CYCLE_1)
	s_and_saveexec_b32 s1, s0
	s_xor_b32 s1, exec_lo, s1
	s_cbranch_execz .LBB52_131
; %bb.126:                              ;   in Loop: Header=BB52_114 Depth=1
	v_cmp_neq_f32_e32 vcc_lo, 0, v20
	v_cmp_neq_f32_e64 s0, 0, v21
                                        ; implicit-def: $vgpr27
                                        ; implicit-def: $vgpr28
	s_delay_alu instid0(VALU_DEP_1) | instskip(NEXT) | instid1(SALU_CYCLE_1)
	s_or_b32 s0, vcc_lo, s0
	s_and_saveexec_b32 s6, s0
	s_delay_alu instid0(SALU_CYCLE_1)
	s_xor_b32 s0, exec_lo, s6
	s_cbranch_execz .LBB52_128
; %bb.127:                              ;   in Loop: Header=BB52_114 Depth=1
	v_div_scale_f32 v27, null, v20, v20, v21
	v_div_scale_f32 v30, vcc_lo, v21, v20, v21
	s_delay_alu instid0(VALU_DEP_2) | instskip(SKIP_2) | instid1(VALU_DEP_1)
	v_rcp_f32_e32 v28, v27
	s_waitcnt_depctr 0xfff
	v_fma_f32 v29, -v27, v28, 1.0
	v_fmac_f32_e32 v28, v29, v28
	s_delay_alu instid0(VALU_DEP_1) | instskip(NEXT) | instid1(VALU_DEP_1)
	v_mul_f32_e32 v29, v30, v28
	v_fma_f32 v31, -v27, v29, v30
	s_delay_alu instid0(VALU_DEP_1) | instskip(NEXT) | instid1(VALU_DEP_1)
	v_fmac_f32_e32 v29, v31, v28
	v_fma_f32 v27, -v27, v29, v30
	s_delay_alu instid0(VALU_DEP_1) | instskip(NEXT) | instid1(VALU_DEP_1)
	v_div_fmas_f32 v27, v27, v28, v29
	v_div_fixup_f32 v27, v27, v20, v21
	s_delay_alu instid0(VALU_DEP_1) | instskip(NEXT) | instid1(VALU_DEP_1)
	v_fma_f32 v28, v21, v27, v20
	v_div_scale_f32 v29, null, v28, v28, 1.0
	v_div_scale_f32 v32, vcc_lo, 1.0, v28, 1.0
	s_delay_alu instid0(VALU_DEP_2) | instskip(SKIP_2) | instid1(VALU_DEP_1)
	v_rcp_f32_e32 v30, v29
	s_waitcnt_depctr 0xfff
	v_fma_f32 v31, -v29, v30, 1.0
	v_fmac_f32_e32 v30, v31, v30
	s_delay_alu instid0(VALU_DEP_1) | instskip(NEXT) | instid1(VALU_DEP_1)
	v_mul_f32_e32 v31, v32, v30
	v_fma_f32 v33, -v29, v31, v32
	s_delay_alu instid0(VALU_DEP_1) | instskip(NEXT) | instid1(VALU_DEP_1)
	v_fmac_f32_e32 v31, v33, v30
	v_fma_f32 v29, -v29, v31, v32
	s_delay_alu instid0(VALU_DEP_1) | instskip(SKIP_3) | instid1(VALU_DEP_3)
	v_div_fmas_f32 v29, v29, v30, v31
	s_waitcnt vmcnt(0)
	v_fma_f32 v30, v17, v27, v16
	v_fma_f32 v27, -v16, v27, v17
	v_div_fixup_f32 v29, v29, v28, 1.0
	s_delay_alu instid0(VALU_DEP_1) | instskip(NEXT) | instid1(VALU_DEP_3)
	v_mul_f32_e32 v28, v30, v29
	v_mul_f32_e32 v27, v27, v29
                                        ; implicit-def: $vgpr29
                                        ; implicit-def: $vgpr30
.LBB52_128:                             ;   in Loop: Header=BB52_114 Depth=1
	s_and_not1_saveexec_b32 s6, s0
	s_cbranch_execz .LBB52_130
; %bb.129:                              ;   in Loop: Header=BB52_114 Depth=1
	s_waitcnt vmcnt(0)
	v_div_scale_f32 v27, null, v29, v29, v16
	v_div_scale_f32 v28, null, v30, v30, v17
	v_div_scale_f32 v35, vcc_lo, v16, v29, v16
	s_delay_alu instid0(VALU_DEP_3) | instskip(NEXT) | instid1(VALU_DEP_2)
	v_rcp_f32_e32 v31, v27
	v_rcp_f32_e32 v32, v28
	s_waitcnt_depctr 0xfff
	v_fma_f32 v33, -v27, v31, 1.0
	v_fma_f32 v34, -v28, v32, 1.0
	s_delay_alu instid0(VALU_DEP_1) | instskip(SKIP_1) | instid1(VALU_DEP_2)
	v_dual_fmac_f32 v31, v33, v31 :: v_dual_fmac_f32 v32, v34, v32
	v_div_scale_f32 v33, s0, v17, v30, v17
	v_mul_f32_e32 v34, v35, v31
	s_delay_alu instid0(VALU_DEP_2) | instskip(NEXT) | instid1(VALU_DEP_2)
	v_mul_f32_e32 v36, v33, v32
	v_fma_f32 v37, -v27, v34, v35
	s_delay_alu instid0(VALU_DEP_2) | instskip(NEXT) | instid1(VALU_DEP_2)
	v_fma_f32 v38, -v28, v36, v33
	v_fmac_f32_e32 v34, v37, v31
	s_delay_alu instid0(VALU_DEP_2) | instskip(NEXT) | instid1(VALU_DEP_2)
	v_fmac_f32_e32 v36, v38, v32
	v_fma_f32 v27, -v27, v34, v35
	s_delay_alu instid0(VALU_DEP_2) | instskip(NEXT) | instid1(VALU_DEP_2)
	v_fma_f32 v28, -v28, v36, v33
	v_div_fmas_f32 v27, v27, v31, v34
	s_mov_b32 vcc_lo, s0
	s_delay_alu instid0(VALU_DEP_2) | instskip(NEXT) | instid1(VALU_DEP_2)
	v_div_fmas_f32 v31, v28, v32, v36
	v_div_fixup_f32 v28, v27, v29, v16
	s_delay_alu instid0(VALU_DEP_2)
	v_div_fixup_f32 v27, v31, v30, v17
.LBB52_130:                             ;   in Loop: Header=BB52_114 Depth=1
	s_or_b32 exec_lo, exec_lo, s6
.LBB52_131:                             ;   in Loop: Header=BB52_114 Depth=1
	s_and_not1_saveexec_b32 s0, s1
	s_cbranch_execz .LBB52_133
; %bb.132:                              ;   in Loop: Header=BB52_114 Depth=1
	v_div_scale_f32 v27, null, v21, v21, v20
	v_div_scale_f32 v30, vcc_lo, v20, v21, v20
	s_delay_alu instid0(VALU_DEP_2) | instskip(SKIP_2) | instid1(VALU_DEP_1)
	v_rcp_f32_e32 v28, v27
	s_waitcnt_depctr 0xfff
	v_fma_f32 v29, -v27, v28, 1.0
	v_fmac_f32_e32 v28, v29, v28
	s_delay_alu instid0(VALU_DEP_1) | instskip(NEXT) | instid1(VALU_DEP_1)
	v_mul_f32_e32 v29, v30, v28
	v_fma_f32 v31, -v27, v29, v30
	s_delay_alu instid0(VALU_DEP_1) | instskip(NEXT) | instid1(VALU_DEP_1)
	v_fmac_f32_e32 v29, v31, v28
	v_fma_f32 v27, -v27, v29, v30
	s_delay_alu instid0(VALU_DEP_1) | instskip(NEXT) | instid1(VALU_DEP_1)
	v_div_fmas_f32 v27, v27, v28, v29
	v_div_fixup_f32 v27, v27, v21, v20
	s_delay_alu instid0(VALU_DEP_1) | instskip(NEXT) | instid1(VALU_DEP_1)
	v_fma_f32 v20, v20, v27, v21
	v_div_scale_f32 v21, null, v20, v20, 1.0
	v_div_scale_f32 v30, vcc_lo, 1.0, v20, 1.0
	s_delay_alu instid0(VALU_DEP_2) | instskip(SKIP_2) | instid1(VALU_DEP_1)
	v_rcp_f32_e32 v28, v21
	s_waitcnt_depctr 0xfff
	v_fma_f32 v29, -v21, v28, 1.0
	v_fmac_f32_e32 v28, v29, v28
	s_delay_alu instid0(VALU_DEP_1) | instskip(NEXT) | instid1(VALU_DEP_1)
	v_mul_f32_e32 v29, v30, v28
	v_fma_f32 v31, -v21, v29, v30
	s_delay_alu instid0(VALU_DEP_1) | instskip(NEXT) | instid1(VALU_DEP_1)
	v_fmac_f32_e32 v29, v31, v28
	v_fma_f32 v21, -v21, v29, v30
	s_delay_alu instid0(VALU_DEP_1) | instskip(SKIP_3) | instid1(VALU_DEP_3)
	v_div_fmas_f32 v21, v21, v28, v29
	s_waitcnt vmcnt(0)
	v_fma_f32 v28, v16, v27, v17
	v_fma_f32 v16, v17, v27, -v16
	v_div_fixup_f32 v20, v21, v20, 1.0
	s_delay_alu instid0(VALU_DEP_1) | instskip(NEXT) | instid1(VALU_DEP_3)
	v_mul_f32_e32 v28, v28, v20
	v_mul_f32_e32 v27, v16, v20
.LBB52_133:                             ;   in Loop: Header=BB52_114 Depth=1
	s_or_b32 exec_lo, exec_lo, s0
.LBB52_134:                             ;   in Loop: Header=BB52_114 Depth=1
	v_cmp_gt_f32_e32 vcc_lo, 0, v22
	v_cndmask_b32_e64 v20, v22, -v22, vcc_lo
	v_cmp_gt_f32_e32 vcc_lo, 0, v23
	s_waitcnt vmcnt(0)
	v_cndmask_b32_e64 v16, v23, -v23, vcc_lo
	s_and_not1_b32 vcc_lo, exec_lo, s3
	s_delay_alu instid0(VALU_DEP_1)
	v_cmp_ge_f32_e64 s0, v20, v16
	s_cbranch_vccnz .LBB52_144
; %bb.135:                              ;   in Loop: Header=BB52_114 Depth=1
                                        ; implicit-def: $vgpr21
                                        ; implicit-def: $vgpr17
	s_delay_alu instid0(VALU_DEP_1) | instskip(NEXT) | instid1(SALU_CYCLE_1)
	s_and_saveexec_b32 s1, s0
	s_xor_b32 s6, exec_lo, s1
	s_cbranch_execz .LBB52_141
; %bb.136:                              ;   in Loop: Header=BB52_114 Depth=1
	v_cmp_neq_f32_e32 vcc_lo, 0, v22
	v_cmp_neq_f32_e64 s1, 0, v23
                                        ; implicit-def: $vgpr21
                                        ; implicit-def: $vgpr17
	s_delay_alu instid0(VALU_DEP_1) | instskip(NEXT) | instid1(SALU_CYCLE_1)
	s_or_b32 s1, vcc_lo, s1
	s_and_saveexec_b32 s7, s1
	s_delay_alu instid0(SALU_CYCLE_1)
	s_xor_b32 s1, exec_lo, s7
	s_cbranch_execz .LBB52_138
; %bb.137:                              ;   in Loop: Header=BB52_114 Depth=1
	v_div_scale_f32 v17, null, v22, v22, v23
	v_div_scale_f32 v30, vcc_lo, v23, v22, v23
	s_delay_alu instid0(VALU_DEP_2) | instskip(SKIP_2) | instid1(VALU_DEP_1)
	v_rcp_f32_e32 v21, v17
	s_waitcnt_depctr 0xfff
	v_fma_f32 v29, -v17, v21, 1.0
	v_fmac_f32_e32 v21, v29, v21
	s_delay_alu instid0(VALU_DEP_1) | instskip(NEXT) | instid1(VALU_DEP_1)
	v_mul_f32_e32 v29, v30, v21
	v_fma_f32 v31, -v17, v29, v30
	s_delay_alu instid0(VALU_DEP_1) | instskip(NEXT) | instid1(VALU_DEP_1)
	v_fmac_f32_e32 v29, v31, v21
	v_fma_f32 v17, -v17, v29, v30
	s_delay_alu instid0(VALU_DEP_1) | instskip(NEXT) | instid1(VALU_DEP_1)
	v_div_fmas_f32 v17, v17, v21, v29
	v_div_fixup_f32 v17, v17, v22, v23
	s_delay_alu instid0(VALU_DEP_1) | instskip(NEXT) | instid1(VALU_DEP_1)
	v_fma_f32 v21, v23, v17, v22
	v_div_scale_f32 v29, null, v21, v21, 1.0
	v_div_scale_f32 v32, vcc_lo, 1.0, v21, 1.0
	s_delay_alu instid0(VALU_DEP_2) | instskip(SKIP_2) | instid1(VALU_DEP_1)
	v_rcp_f32_e32 v30, v29
	s_waitcnt_depctr 0xfff
	v_fma_f32 v31, -v29, v30, 1.0
	v_fmac_f32_e32 v30, v31, v30
	s_delay_alu instid0(VALU_DEP_1) | instskip(NEXT) | instid1(VALU_DEP_1)
	v_mul_f32_e32 v31, v32, v30
	v_fma_f32 v33, -v29, v31, v32
	s_delay_alu instid0(VALU_DEP_1) | instskip(NEXT) | instid1(VALU_DEP_1)
	v_fmac_f32_e32 v31, v33, v30
	v_fma_f32 v29, -v29, v31, v32
	s_delay_alu instid0(VALU_DEP_1) | instskip(SKIP_1) | instid1(VALU_DEP_2)
	v_div_fmas_f32 v29, v29, v30, v31
	v_fma_f32 v30, v19, v17, v18
	v_div_fixup_f32 v21, v29, v21, 1.0
	v_fma_f32 v29, -v18, v17, v19
	s_delay_alu instid0(VALU_DEP_2) | instskip(NEXT) | instid1(VALU_DEP_2)
	v_mul_f32_e32 v17, v30, v21
	v_mul_f32_e32 v21, v29, v21
.LBB52_138:                             ;   in Loop: Header=BB52_114 Depth=1
	s_and_not1_saveexec_b32 s7, s1
	s_cbranch_execz .LBB52_140
; %bb.139:                              ;   in Loop: Header=BB52_114 Depth=1
	v_div_scale_f32 v17, null, v20, v20, v18
	v_div_scale_f32 v21, null, v16, v16, v19
	v_div_scale_f32 v33, vcc_lo, v18, v20, v18
	s_delay_alu instid0(VALU_DEP_3) | instskip(NEXT) | instid1(VALU_DEP_2)
	v_rcp_f32_e32 v29, v17
	v_rcp_f32_e32 v30, v21
	s_waitcnt_depctr 0xfff
	v_fma_f32 v31, -v17, v29, 1.0
	v_fma_f32 v32, -v21, v30, 1.0
	s_delay_alu instid0(VALU_DEP_1) | instskip(SKIP_1) | instid1(VALU_DEP_2)
	v_dual_fmac_f32 v29, v31, v29 :: v_dual_fmac_f32 v30, v32, v30
	v_div_scale_f32 v31, s1, v19, v16, v19
	v_mul_f32_e32 v32, v33, v29
	s_delay_alu instid0(VALU_DEP_2) | instskip(NEXT) | instid1(VALU_DEP_2)
	v_mul_f32_e32 v34, v31, v30
	v_fma_f32 v35, -v17, v32, v33
	s_delay_alu instid0(VALU_DEP_2) | instskip(NEXT) | instid1(VALU_DEP_2)
	v_fma_f32 v36, -v21, v34, v31
	v_fmac_f32_e32 v32, v35, v29
	s_delay_alu instid0(VALU_DEP_2) | instskip(NEXT) | instid1(VALU_DEP_2)
	v_fmac_f32_e32 v34, v36, v30
	v_fma_f32 v17, -v17, v32, v33
	s_delay_alu instid0(VALU_DEP_2) | instskip(NEXT) | instid1(VALU_DEP_2)
	v_fma_f32 v21, -v21, v34, v31
	v_div_fmas_f32 v17, v17, v29, v32
	s_mov_b32 vcc_lo, s1
	s_delay_alu instid0(VALU_DEP_2) | instskip(NEXT) | instid1(VALU_DEP_2)
	v_div_fmas_f32 v21, v21, v30, v34
	v_div_fixup_f32 v17, v17, v20, v18
	s_delay_alu instid0(VALU_DEP_2)
	v_div_fixup_f32 v21, v21, v16, v19
.LBB52_140:                             ;   in Loop: Header=BB52_114 Depth=1
	s_or_b32 exec_lo, exec_lo, s7
.LBB52_141:                             ;   in Loop: Header=BB52_114 Depth=1
	s_and_not1_saveexec_b32 s1, s6
	s_cbranch_execz .LBB52_143
; %bb.142:                              ;   in Loop: Header=BB52_114 Depth=1
	v_div_scale_f32 v17, null, v23, v23, v22
	v_div_scale_f32 v30, vcc_lo, v22, v23, v22
	s_delay_alu instid0(VALU_DEP_2) | instskip(SKIP_2) | instid1(VALU_DEP_1)
	v_rcp_f32_e32 v21, v17
	s_waitcnt_depctr 0xfff
	v_fma_f32 v29, -v17, v21, 1.0
	v_fmac_f32_e32 v21, v29, v21
	s_delay_alu instid0(VALU_DEP_1) | instskip(NEXT) | instid1(VALU_DEP_1)
	v_mul_f32_e32 v29, v30, v21
	v_fma_f32 v31, -v17, v29, v30
	s_delay_alu instid0(VALU_DEP_1) | instskip(NEXT) | instid1(VALU_DEP_1)
	v_fmac_f32_e32 v29, v31, v21
	v_fma_f32 v17, -v17, v29, v30
	s_delay_alu instid0(VALU_DEP_1) | instskip(NEXT) | instid1(VALU_DEP_1)
	v_div_fmas_f32 v17, v17, v21, v29
	v_div_fixup_f32 v17, v17, v23, v22
	s_delay_alu instid0(VALU_DEP_1) | instskip(NEXT) | instid1(VALU_DEP_1)
	v_fma_f32 v21, v22, v17, v23
	v_div_scale_f32 v29, null, v21, v21, 1.0
	v_div_scale_f32 v32, vcc_lo, 1.0, v21, 1.0
	s_delay_alu instid0(VALU_DEP_2) | instskip(SKIP_2) | instid1(VALU_DEP_1)
	v_rcp_f32_e32 v30, v29
	s_waitcnt_depctr 0xfff
	v_fma_f32 v31, -v29, v30, 1.0
	v_fmac_f32_e32 v30, v31, v30
	s_delay_alu instid0(VALU_DEP_1) | instskip(NEXT) | instid1(VALU_DEP_1)
	v_mul_f32_e32 v31, v32, v30
	v_fma_f32 v33, -v29, v31, v32
	s_delay_alu instid0(VALU_DEP_1) | instskip(NEXT) | instid1(VALU_DEP_1)
	v_fmac_f32_e32 v31, v33, v30
	v_fma_f32 v29, -v29, v31, v32
	s_delay_alu instid0(VALU_DEP_1) | instskip(SKIP_1) | instid1(VALU_DEP_2)
	v_div_fmas_f32 v29, v29, v30, v31
	v_fma_f32 v30, v18, v17, v19
	v_div_fixup_f32 v21, v29, v21, 1.0
	v_fma_f32 v29, v19, v17, -v18
	s_delay_alu instid0(VALU_DEP_2) | instskip(NEXT) | instid1(VALU_DEP_2)
	v_mul_f32_e32 v17, v30, v21
	v_mul_f32_e32 v21, v29, v21
.LBB52_143:                             ;   in Loop: Header=BB52_114 Depth=1
	s_or_b32 exec_lo, exec_lo, s1
	s_delay_alu instid0(VALU_DEP_1) | instskip(SKIP_1) | instid1(VALU_DEP_2)
	v_mul_f32_e32 v30, s9, v21
	v_mul_f32_e32 v29, s8, v21
	v_fma_f32 v30, v17, s8, -v30
	s_delay_alu instid0(VALU_DEP_2)
	v_fmac_f32_e32 v29, s9, v17
	s_branch .LBB52_154
.LBB52_144:                             ;   in Loop: Header=BB52_114 Depth=1
                                        ; implicit-def: $vgpr29
                                        ; implicit-def: $vgpr30
	s_cbranch_execz .LBB52_154
; %bb.145:                              ;   in Loop: Header=BB52_114 Depth=1
                                        ; implicit-def: $vgpr29
                                        ; implicit-def: $vgpr30
	s_delay_alu instid0(VALU_DEP_1) | instskip(NEXT) | instid1(SALU_CYCLE_1)
	s_and_saveexec_b32 s1, s0
	s_xor_b32 s1, exec_lo, s1
	s_cbranch_execz .LBB52_151
; %bb.146:                              ;   in Loop: Header=BB52_114 Depth=1
	v_cmp_neq_f32_e32 vcc_lo, 0, v22
	v_cmp_neq_f32_e64 s0, 0, v23
                                        ; implicit-def: $vgpr29
                                        ; implicit-def: $vgpr30
	s_delay_alu instid0(VALU_DEP_1) | instskip(NEXT) | instid1(SALU_CYCLE_1)
	s_or_b32 s0, vcc_lo, s0
	s_and_saveexec_b32 s6, s0
	s_delay_alu instid0(SALU_CYCLE_1)
	s_xor_b32 s0, exec_lo, s6
	s_cbranch_execz .LBB52_148
; %bb.147:                              ;   in Loop: Header=BB52_114 Depth=1
	v_div_scale_f32 v16, null, v22, v22, v23
	v_div_scale_f32 v21, vcc_lo, v23, v22, v23
	s_delay_alu instid0(VALU_DEP_2) | instskip(SKIP_2) | instid1(VALU_DEP_1)
	v_rcp_f32_e32 v17, v16
	s_waitcnt_depctr 0xfff
	v_fma_f32 v20, -v16, v17, 1.0
	v_fmac_f32_e32 v17, v20, v17
	s_delay_alu instid0(VALU_DEP_1) | instskip(NEXT) | instid1(VALU_DEP_1)
	v_mul_f32_e32 v20, v21, v17
	v_fma_f32 v29, -v16, v20, v21
	s_delay_alu instid0(VALU_DEP_1) | instskip(NEXT) | instid1(VALU_DEP_1)
	v_fmac_f32_e32 v20, v29, v17
	v_fma_f32 v16, -v16, v20, v21
	s_delay_alu instid0(VALU_DEP_1) | instskip(NEXT) | instid1(VALU_DEP_1)
	v_div_fmas_f32 v16, v16, v17, v20
	v_div_fixup_f32 v16, v16, v22, v23
	s_delay_alu instid0(VALU_DEP_1) | instskip(NEXT) | instid1(VALU_DEP_1)
	v_fmac_f32_e32 v22, v23, v16
	v_div_scale_f32 v17, null, v22, v22, 1.0
	v_div_scale_f32 v23, vcc_lo, 1.0, v22, 1.0
	s_delay_alu instid0(VALU_DEP_2) | instskip(SKIP_2) | instid1(VALU_DEP_1)
	v_rcp_f32_e32 v20, v17
	s_waitcnt_depctr 0xfff
	v_fma_f32 v21, -v17, v20, 1.0
	v_fmac_f32_e32 v20, v21, v20
	s_delay_alu instid0(VALU_DEP_1) | instskip(NEXT) | instid1(VALU_DEP_1)
	v_mul_f32_e32 v21, v23, v20
	v_fma_f32 v29, -v17, v21, v23
	s_delay_alu instid0(VALU_DEP_1) | instskip(NEXT) | instid1(VALU_DEP_1)
	v_fmac_f32_e32 v21, v29, v20
	v_fma_f32 v17, -v17, v21, v23
	s_delay_alu instid0(VALU_DEP_1) | instskip(SKIP_2) | instid1(VALU_DEP_3)
	v_div_fmas_f32 v17, v17, v20, v21
	v_fma_f32 v20, v19, v16, v18
	v_fma_f32 v16, -v18, v16, v19
	v_div_fixup_f32 v17, v17, v22, 1.0
	s_delay_alu instid0(VALU_DEP_1) | instskip(NEXT) | instid1(VALU_DEP_3)
	v_mul_f32_e32 v30, v20, v17
	v_mul_f32_e32 v29, v16, v17
                                        ; implicit-def: $vgpr16_vgpr17_vgpr18_vgpr19
                                        ; implicit-def: $vgpr20
                                        ; implicit-def: $vgpr16
.LBB52_148:                             ;   in Loop: Header=BB52_114 Depth=1
	s_and_not1_saveexec_b32 s6, s0
	s_cbranch_execz .LBB52_150
; %bb.149:                              ;   in Loop: Header=BB52_114 Depth=1
	v_div_scale_f32 v17, null, v20, v20, v18
	v_div_scale_f32 v21, null, v16, v16, v19
	v_div_scale_f32 v31, vcc_lo, v18, v20, v18
	s_delay_alu instid0(VALU_DEP_3) | instskip(NEXT) | instid1(VALU_DEP_2)
	v_rcp_f32_e32 v22, v17
	v_rcp_f32_e32 v23, v21
	s_waitcnt_depctr 0xfff
	v_fma_f32 v29, -v17, v22, 1.0
	v_fma_f32 v30, -v21, v23, 1.0
	s_delay_alu instid0(VALU_DEP_1) | instskip(SKIP_1) | instid1(VALU_DEP_2)
	v_dual_fmac_f32 v22, v29, v22 :: v_dual_fmac_f32 v23, v30, v23
	v_div_scale_f32 v29, s0, v19, v16, v19
	v_mul_f32_e32 v30, v31, v22
	s_delay_alu instid0(VALU_DEP_2) | instskip(NEXT) | instid1(VALU_DEP_2)
	v_mul_f32_e32 v32, v29, v23
	v_fma_f32 v33, -v17, v30, v31
	s_delay_alu instid0(VALU_DEP_2) | instskip(NEXT) | instid1(VALU_DEP_2)
	v_fma_f32 v34, -v21, v32, v29
	v_fmac_f32_e32 v30, v33, v22
	s_delay_alu instid0(VALU_DEP_2) | instskip(NEXT) | instid1(VALU_DEP_2)
	v_fmac_f32_e32 v32, v34, v23
	v_fma_f32 v17, -v17, v30, v31
	s_delay_alu instid0(VALU_DEP_2) | instskip(NEXT) | instid1(VALU_DEP_2)
	v_fma_f32 v21, -v21, v32, v29
	v_div_fmas_f32 v17, v17, v22, v30
	s_mov_b32 vcc_lo, s0
	s_delay_alu instid0(VALU_DEP_2) | instskip(NEXT) | instid1(VALU_DEP_2)
	v_div_fmas_f32 v21, v21, v23, v32
	v_div_fixup_f32 v30, v17, v20, v18
	s_delay_alu instid0(VALU_DEP_2)
	v_div_fixup_f32 v29, v21, v16, v19
.LBB52_150:                             ;   in Loop: Header=BB52_114 Depth=1
	s_or_b32 exec_lo, exec_lo, s6
                                        ; implicit-def: $vgpr20_vgpr21_vgpr22_vgpr23
                                        ; implicit-def: $vgpr16_vgpr17_vgpr18_vgpr19
.LBB52_151:                             ;   in Loop: Header=BB52_114 Depth=1
	s_and_not1_saveexec_b32 s0, s1
	s_cbranch_execz .LBB52_153
; %bb.152:                              ;   in Loop: Header=BB52_114 Depth=1
	v_div_scale_f32 v16, null, v23, v23, v22
	v_div_scale_f32 v21, vcc_lo, v22, v23, v22
	s_delay_alu instid0(VALU_DEP_2) | instskip(SKIP_2) | instid1(VALU_DEP_1)
	v_rcp_f32_e32 v17, v16
	s_waitcnt_depctr 0xfff
	v_fma_f32 v20, -v16, v17, 1.0
	v_fmac_f32_e32 v17, v20, v17
	s_delay_alu instid0(VALU_DEP_1) | instskip(NEXT) | instid1(VALU_DEP_1)
	v_mul_f32_e32 v20, v21, v17
	v_fma_f32 v29, -v16, v20, v21
	s_delay_alu instid0(VALU_DEP_1) | instskip(NEXT) | instid1(VALU_DEP_1)
	v_fmac_f32_e32 v20, v29, v17
	v_fma_f32 v16, -v16, v20, v21
	s_delay_alu instid0(VALU_DEP_1) | instskip(NEXT) | instid1(VALU_DEP_1)
	v_div_fmas_f32 v16, v16, v17, v20
	v_div_fixup_f32 v16, v16, v23, v22
	s_delay_alu instid0(VALU_DEP_1) | instskip(NEXT) | instid1(VALU_DEP_1)
	v_fmac_f32_e32 v23, v22, v16
	v_div_scale_f32 v17, null, v23, v23, 1.0
	v_div_scale_f32 v22, vcc_lo, 1.0, v23, 1.0
	s_delay_alu instid0(VALU_DEP_2) | instskip(SKIP_2) | instid1(VALU_DEP_1)
	v_rcp_f32_e32 v20, v17
	s_waitcnt_depctr 0xfff
	v_fma_f32 v21, -v17, v20, 1.0
	v_fmac_f32_e32 v20, v21, v20
	s_delay_alu instid0(VALU_DEP_1) | instskip(NEXT) | instid1(VALU_DEP_1)
	v_mul_f32_e32 v21, v22, v20
	v_fma_f32 v29, -v17, v21, v22
	s_delay_alu instid0(VALU_DEP_1) | instskip(NEXT) | instid1(VALU_DEP_1)
	v_fmac_f32_e32 v21, v29, v20
	v_fma_f32 v17, -v17, v21, v22
	s_delay_alu instid0(VALU_DEP_1) | instskip(SKIP_2) | instid1(VALU_DEP_3)
	v_div_fmas_f32 v17, v17, v20, v21
	v_fma_f32 v20, v18, v16, v19
	v_fma_f32 v16, v19, v16, -v18
	v_div_fixup_f32 v17, v17, v23, 1.0
	s_delay_alu instid0(VALU_DEP_1) | instskip(NEXT) | instid1(VALU_DEP_3)
	v_mul_f32_e32 v30, v20, v17
	v_mul_f32_e32 v29, v16, v17
.LBB52_153:                             ;   in Loop: Header=BB52_114 Depth=1
	s_or_b32 exec_lo, exec_lo, s0
.LBB52_154:                             ;   in Loop: Header=BB52_114 Depth=1
	v_cmp_gt_f32_e32 vcc_lo, 0, v12
	v_cndmask_b32_e64 v18, v12, -v12, vcc_lo
	v_cmp_gt_f32_e32 vcc_lo, 0, v13
	v_cndmask_b32_e64 v19, v13, -v13, vcc_lo
	s_and_not1_b32 vcc_lo, exec_lo, s3
	s_delay_alu instid0(VALU_DEP_1)
	v_cmp_ge_f32_e64 s0, v18, v19
	s_cbranch_vccnz .LBB52_164
; %bb.155:                              ;   in Loop: Header=BB52_114 Depth=1
                                        ; implicit-def: $vgpr16
                                        ; implicit-def: $vgpr20
	s_delay_alu instid0(VALU_DEP_1) | instskip(NEXT) | instid1(SALU_CYCLE_1)
	s_and_saveexec_b32 s1, s0
	s_xor_b32 s6, exec_lo, s1
	s_cbranch_execz .LBB52_161
; %bb.156:                              ;   in Loop: Header=BB52_114 Depth=1
	v_cmp_neq_f32_e32 vcc_lo, 0, v12
	v_cmp_neq_f32_e64 s1, 0, v13
                                        ; implicit-def: $vgpr16
                                        ; implicit-def: $vgpr20
	s_delay_alu instid0(VALU_DEP_1) | instskip(NEXT) | instid1(SALU_CYCLE_1)
	s_or_b32 s1, vcc_lo, s1
	s_and_saveexec_b32 s7, s1
	s_delay_alu instid0(SALU_CYCLE_1)
	s_xor_b32 s1, exec_lo, s7
	s_cbranch_execz .LBB52_158
; %bb.157:                              ;   in Loop: Header=BB52_114 Depth=1
	v_div_scale_f32 v16, null, v12, v12, v13
	v_div_scale_f32 v21, vcc_lo, v13, v12, v13
	s_delay_alu instid0(VALU_DEP_2) | instskip(SKIP_2) | instid1(VALU_DEP_1)
	v_rcp_f32_e32 v17, v16
	s_waitcnt_depctr 0xfff
	v_fma_f32 v20, -v16, v17, 1.0
	v_fmac_f32_e32 v17, v20, v17
	s_delay_alu instid0(VALU_DEP_1) | instskip(NEXT) | instid1(VALU_DEP_1)
	v_mul_f32_e32 v20, v21, v17
	v_fma_f32 v22, -v16, v20, v21
	s_delay_alu instid0(VALU_DEP_1) | instskip(NEXT) | instid1(VALU_DEP_1)
	v_fmac_f32_e32 v20, v22, v17
	v_fma_f32 v16, -v16, v20, v21
	s_delay_alu instid0(VALU_DEP_1) | instskip(NEXT) | instid1(VALU_DEP_1)
	v_div_fmas_f32 v16, v16, v17, v20
	v_div_fixup_f32 v16, v16, v12, v13
	s_delay_alu instid0(VALU_DEP_1) | instskip(NEXT) | instid1(VALU_DEP_1)
	v_fma_f32 v17, v13, v16, v12
	v_div_scale_f32 v20, null, v17, v17, 1.0
	v_div_scale_f32 v23, vcc_lo, 1.0, v17, 1.0
	s_delay_alu instid0(VALU_DEP_2) | instskip(SKIP_2) | instid1(VALU_DEP_1)
	v_rcp_f32_e32 v21, v20
	s_waitcnt_depctr 0xfff
	v_fma_f32 v22, -v20, v21, 1.0
	v_fmac_f32_e32 v21, v22, v21
	s_delay_alu instid0(VALU_DEP_1) | instskip(NEXT) | instid1(VALU_DEP_1)
	v_mul_f32_e32 v22, v23, v21
	v_fma_f32 v31, -v20, v22, v23
	s_delay_alu instid0(VALU_DEP_1) | instskip(NEXT) | instid1(VALU_DEP_1)
	v_fmac_f32_e32 v22, v31, v21
	v_fma_f32 v20, -v20, v22, v23
	s_delay_alu instid0(VALU_DEP_1) | instskip(SKIP_2) | instid1(VALU_DEP_3)
	v_div_fmas_f32 v20, v20, v21, v22
	v_fma_f32 v21, v9, v16, v8
	v_fma_f32 v16, -v8, v16, v9
	v_div_fixup_f32 v17, v20, v17, 1.0
	s_delay_alu instid0(VALU_DEP_1) | instskip(NEXT) | instid1(VALU_DEP_3)
	v_mul_f32_e32 v20, v21, v17
	v_mul_f32_e32 v16, v16, v17
.LBB52_158:                             ;   in Loop: Header=BB52_114 Depth=1
	s_and_not1_saveexec_b32 s7, s1
	s_cbranch_execz .LBB52_160
; %bb.159:                              ;   in Loop: Header=BB52_114 Depth=1
	v_div_scale_f32 v16, null, v18, v18, v8
	v_div_scale_f32 v17, null, v19, v19, v9
	v_div_scale_f32 v31, vcc_lo, v8, v18, v8
	s_delay_alu instid0(VALU_DEP_3) | instskip(NEXT) | instid1(VALU_DEP_2)
	v_rcp_f32_e32 v20, v16
	v_rcp_f32_e32 v21, v17
	s_waitcnt_depctr 0xfff
	v_fma_f32 v22, -v16, v20, 1.0
	v_fma_f32 v23, -v17, v21, 1.0
	s_delay_alu instid0(VALU_DEP_1) | instskip(SKIP_1) | instid1(VALU_DEP_1)
	v_dual_fmac_f32 v20, v22, v20 :: v_dual_fmac_f32 v21, v23, v21
	v_div_scale_f32 v22, s1, v9, v19, v9
	v_dual_mul_f32 v23, v31, v20 :: v_dual_mul_f32 v32, v22, v21
	s_delay_alu instid0(VALU_DEP_1) | instskip(NEXT) | instid1(VALU_DEP_2)
	v_fma_f32 v33, -v16, v23, v31
	v_fma_f32 v34, -v17, v32, v22
	s_delay_alu instid0(VALU_DEP_1) | instskip(NEXT) | instid1(VALU_DEP_1)
	v_dual_fmac_f32 v23, v33, v20 :: v_dual_fmac_f32 v32, v34, v21
	v_fma_f32 v16, -v16, v23, v31
	s_delay_alu instid0(VALU_DEP_2) | instskip(NEXT) | instid1(VALU_DEP_2)
	v_fma_f32 v17, -v17, v32, v22
	v_div_fmas_f32 v16, v16, v20, v23
	s_mov_b32 vcc_lo, s1
	s_delay_alu instid0(VALU_DEP_2) | instskip(NEXT) | instid1(VALU_DEP_2)
	v_div_fmas_f32 v17, v17, v21, v32
	v_div_fixup_f32 v20, v16, v18, v8
	s_delay_alu instid0(VALU_DEP_2)
	v_div_fixup_f32 v16, v17, v19, v9
.LBB52_160:                             ;   in Loop: Header=BB52_114 Depth=1
	s_or_b32 exec_lo, exec_lo, s7
.LBB52_161:                             ;   in Loop: Header=BB52_114 Depth=1
	s_and_not1_saveexec_b32 s1, s6
	s_cbranch_execz .LBB52_163
; %bb.162:                              ;   in Loop: Header=BB52_114 Depth=1
	v_div_scale_f32 v16, null, v13, v13, v12
	v_div_scale_f32 v21, vcc_lo, v12, v13, v12
	s_delay_alu instid0(VALU_DEP_2) | instskip(SKIP_2) | instid1(VALU_DEP_1)
	v_rcp_f32_e32 v17, v16
	s_waitcnt_depctr 0xfff
	v_fma_f32 v20, -v16, v17, 1.0
	v_fmac_f32_e32 v17, v20, v17
	s_delay_alu instid0(VALU_DEP_1) | instskip(NEXT) | instid1(VALU_DEP_1)
	v_mul_f32_e32 v20, v21, v17
	v_fma_f32 v22, -v16, v20, v21
	s_delay_alu instid0(VALU_DEP_1) | instskip(NEXT) | instid1(VALU_DEP_1)
	v_fmac_f32_e32 v20, v22, v17
	v_fma_f32 v16, -v16, v20, v21
	s_delay_alu instid0(VALU_DEP_1) | instskip(NEXT) | instid1(VALU_DEP_1)
	v_div_fmas_f32 v16, v16, v17, v20
	v_div_fixup_f32 v16, v16, v13, v12
	s_delay_alu instid0(VALU_DEP_1) | instskip(NEXT) | instid1(VALU_DEP_1)
	v_fma_f32 v17, v12, v16, v13
	v_div_scale_f32 v20, null, v17, v17, 1.0
	v_div_scale_f32 v23, vcc_lo, 1.0, v17, 1.0
	s_delay_alu instid0(VALU_DEP_2) | instskip(SKIP_2) | instid1(VALU_DEP_1)
	v_rcp_f32_e32 v21, v20
	s_waitcnt_depctr 0xfff
	v_fma_f32 v22, -v20, v21, 1.0
	v_fmac_f32_e32 v21, v22, v21
	s_delay_alu instid0(VALU_DEP_1) | instskip(NEXT) | instid1(VALU_DEP_1)
	v_mul_f32_e32 v22, v23, v21
	v_fma_f32 v31, -v20, v22, v23
	s_delay_alu instid0(VALU_DEP_1) | instskip(NEXT) | instid1(VALU_DEP_1)
	v_fmac_f32_e32 v22, v31, v21
	v_fma_f32 v20, -v20, v22, v23
	s_delay_alu instid0(VALU_DEP_1) | instskip(SKIP_2) | instid1(VALU_DEP_3)
	v_div_fmas_f32 v20, v20, v21, v22
	v_fma_f32 v21, v8, v16, v9
	v_fma_f32 v16, v9, v16, -v8
	v_div_fixup_f32 v17, v20, v17, 1.0
	s_delay_alu instid0(VALU_DEP_1) | instskip(NEXT) | instid1(VALU_DEP_3)
	v_mul_f32_e32 v20, v21, v17
	v_mul_f32_e32 v16, v16, v17
.LBB52_163:                             ;   in Loop: Header=BB52_114 Depth=1
	s_or_b32 exec_lo, exec_lo, s1
	s_delay_alu instid0(VALU_DEP_1) | instskip(SKIP_1) | instid1(VALU_DEP_2)
	v_mul_f32_e32 v17, s9, v16
	v_mul_f32_e32 v16, s8, v16
	v_fma_f32 v17, v20, s8, -v17
	s_delay_alu instid0(VALU_DEP_2)
	v_fmac_f32_e32 v16, s9, v20
	s_branch .LBB52_174
.LBB52_164:                             ;   in Loop: Header=BB52_114 Depth=1
                                        ; implicit-def: $vgpr16
                                        ; implicit-def: $vgpr17
	s_cbranch_execz .LBB52_174
; %bb.165:                              ;   in Loop: Header=BB52_114 Depth=1
                                        ; implicit-def: $vgpr16
                                        ; implicit-def: $vgpr17
	s_delay_alu instid0(VALU_DEP_1) | instskip(NEXT) | instid1(SALU_CYCLE_1)
	s_and_saveexec_b32 s1, s0
	s_xor_b32 s1, exec_lo, s1
	s_cbranch_execz .LBB52_171
; %bb.166:                              ;   in Loop: Header=BB52_114 Depth=1
	v_cmp_neq_f32_e32 vcc_lo, 0, v12
	v_cmp_neq_f32_e64 s0, 0, v13
                                        ; implicit-def: $vgpr16
                                        ; implicit-def: $vgpr17
	s_delay_alu instid0(VALU_DEP_1) | instskip(NEXT) | instid1(SALU_CYCLE_1)
	s_or_b32 s0, vcc_lo, s0
	s_and_saveexec_b32 s6, s0
	s_delay_alu instid0(SALU_CYCLE_1)
	s_xor_b32 s0, exec_lo, s6
	s_cbranch_execz .LBB52_168
; %bb.167:                              ;   in Loop: Header=BB52_114 Depth=1
	v_div_scale_f32 v16, null, v12, v12, v13
	v_div_scale_f32 v19, vcc_lo, v13, v12, v13
	s_delay_alu instid0(VALU_DEP_2) | instskip(SKIP_2) | instid1(VALU_DEP_1)
	v_rcp_f32_e32 v17, v16
	s_waitcnt_depctr 0xfff
	v_fma_f32 v18, -v16, v17, 1.0
	v_fmac_f32_e32 v17, v18, v17
	s_delay_alu instid0(VALU_DEP_1) | instskip(NEXT) | instid1(VALU_DEP_1)
	v_mul_f32_e32 v18, v19, v17
	v_fma_f32 v20, -v16, v18, v19
	s_delay_alu instid0(VALU_DEP_1) | instskip(NEXT) | instid1(VALU_DEP_1)
	v_fmac_f32_e32 v18, v20, v17
	v_fma_f32 v16, -v16, v18, v19
	s_delay_alu instid0(VALU_DEP_1) | instskip(NEXT) | instid1(VALU_DEP_1)
	v_div_fmas_f32 v16, v16, v17, v18
	v_div_fixup_f32 v16, v16, v12, v13
	s_delay_alu instid0(VALU_DEP_1) | instskip(NEXT) | instid1(VALU_DEP_1)
	v_fma_f32 v17, v13, v16, v12
	v_div_scale_f32 v18, null, v17, v17, 1.0
	v_div_scale_f32 v21, vcc_lo, 1.0, v17, 1.0
	s_delay_alu instid0(VALU_DEP_2) | instskip(SKIP_2) | instid1(VALU_DEP_1)
	v_rcp_f32_e32 v19, v18
	s_waitcnt_depctr 0xfff
	v_fma_f32 v20, -v18, v19, 1.0
	v_fmac_f32_e32 v19, v20, v19
	s_delay_alu instid0(VALU_DEP_1) | instskip(NEXT) | instid1(VALU_DEP_1)
	v_mul_f32_e32 v20, v21, v19
	v_fma_f32 v22, -v18, v20, v21
	s_delay_alu instid0(VALU_DEP_1) | instskip(NEXT) | instid1(VALU_DEP_1)
	v_fmac_f32_e32 v20, v22, v19
	v_fma_f32 v18, -v18, v20, v21
	s_delay_alu instid0(VALU_DEP_1) | instskip(SKIP_2) | instid1(VALU_DEP_3)
	v_div_fmas_f32 v18, v18, v19, v20
	v_fma_f32 v19, v9, v16, v8
	v_fma_f32 v16, -v8, v16, v9
	v_div_fixup_f32 v18, v18, v17, 1.0
	s_delay_alu instid0(VALU_DEP_1) | instskip(NEXT) | instid1(VALU_DEP_3)
	v_mul_f32_e32 v17, v19, v18
	v_mul_f32_e32 v16, v16, v18
                                        ; implicit-def: $vgpr18
                                        ; implicit-def: $vgpr19
.LBB52_168:                             ;   in Loop: Header=BB52_114 Depth=1
	s_and_not1_saveexec_b32 s6, s0
	s_cbranch_execz .LBB52_170
; %bb.169:                              ;   in Loop: Header=BB52_114 Depth=1
	v_div_scale_f32 v16, null, v18, v18, v8
	v_div_scale_f32 v17, null, v19, v19, v9
	v_div_scale_f32 v31, vcc_lo, v8, v18, v8
	s_delay_alu instid0(VALU_DEP_3) | instskip(NEXT) | instid1(VALU_DEP_2)
	v_rcp_f32_e32 v20, v16
	v_rcp_f32_e32 v21, v17
	s_waitcnt_depctr 0xfff
	v_fma_f32 v22, -v16, v20, 1.0
	v_fma_f32 v23, -v17, v21, 1.0
	s_delay_alu instid0(VALU_DEP_1) | instskip(SKIP_1) | instid1(VALU_DEP_1)
	v_dual_fmac_f32 v20, v22, v20 :: v_dual_fmac_f32 v21, v23, v21
	v_div_scale_f32 v22, s0, v9, v19, v9
	v_dual_mul_f32 v23, v31, v20 :: v_dual_mul_f32 v32, v22, v21
	s_delay_alu instid0(VALU_DEP_1) | instskip(NEXT) | instid1(VALU_DEP_2)
	v_fma_f32 v33, -v16, v23, v31
	v_fma_f32 v34, -v17, v32, v22
	s_delay_alu instid0(VALU_DEP_1) | instskip(NEXT) | instid1(VALU_DEP_1)
	v_dual_fmac_f32 v23, v33, v20 :: v_dual_fmac_f32 v32, v34, v21
	v_fma_f32 v16, -v16, v23, v31
	s_delay_alu instid0(VALU_DEP_2) | instskip(NEXT) | instid1(VALU_DEP_2)
	v_fma_f32 v17, -v17, v32, v22
	v_div_fmas_f32 v16, v16, v20, v23
	s_mov_b32 vcc_lo, s0
	s_delay_alu instid0(VALU_DEP_2) | instskip(NEXT) | instid1(VALU_DEP_2)
	v_div_fmas_f32 v20, v17, v21, v32
	v_div_fixup_f32 v17, v16, v18, v8
	s_delay_alu instid0(VALU_DEP_2)
	v_div_fixup_f32 v16, v20, v19, v9
.LBB52_170:                             ;   in Loop: Header=BB52_114 Depth=1
	s_or_b32 exec_lo, exec_lo, s6
.LBB52_171:                             ;   in Loop: Header=BB52_114 Depth=1
	s_and_not1_saveexec_b32 s0, s1
	s_cbranch_execz .LBB52_173
; %bb.172:                              ;   in Loop: Header=BB52_114 Depth=1
	v_div_scale_f32 v16, null, v13, v13, v12
	v_div_scale_f32 v19, vcc_lo, v12, v13, v12
	s_delay_alu instid0(VALU_DEP_2) | instskip(SKIP_2) | instid1(VALU_DEP_1)
	v_rcp_f32_e32 v17, v16
	s_waitcnt_depctr 0xfff
	v_fma_f32 v18, -v16, v17, 1.0
	v_fmac_f32_e32 v17, v18, v17
	s_delay_alu instid0(VALU_DEP_1) | instskip(NEXT) | instid1(VALU_DEP_1)
	v_mul_f32_e32 v18, v19, v17
	v_fma_f32 v20, -v16, v18, v19
	s_delay_alu instid0(VALU_DEP_1) | instskip(NEXT) | instid1(VALU_DEP_1)
	v_fmac_f32_e32 v18, v20, v17
	v_fma_f32 v16, -v16, v18, v19
	s_delay_alu instid0(VALU_DEP_1) | instskip(NEXT) | instid1(VALU_DEP_1)
	v_div_fmas_f32 v16, v16, v17, v18
	v_div_fixup_f32 v16, v16, v13, v12
	s_delay_alu instid0(VALU_DEP_1) | instskip(NEXT) | instid1(VALU_DEP_1)
	v_fma_f32 v12, v12, v16, v13
	v_div_scale_f32 v13, null, v12, v12, 1.0
	v_div_scale_f32 v19, vcc_lo, 1.0, v12, 1.0
	s_delay_alu instid0(VALU_DEP_2) | instskip(SKIP_2) | instid1(VALU_DEP_1)
	v_rcp_f32_e32 v17, v13
	s_waitcnt_depctr 0xfff
	v_fma_f32 v18, -v13, v17, 1.0
	v_fmac_f32_e32 v17, v18, v17
	s_delay_alu instid0(VALU_DEP_1) | instskip(NEXT) | instid1(VALU_DEP_1)
	v_mul_f32_e32 v18, v19, v17
	v_fma_f32 v20, -v13, v18, v19
	s_delay_alu instid0(VALU_DEP_1) | instskip(NEXT) | instid1(VALU_DEP_1)
	v_fmac_f32_e32 v18, v20, v17
	v_fma_f32 v13, -v13, v18, v19
	s_delay_alu instid0(VALU_DEP_1) | instskip(SKIP_2) | instid1(VALU_DEP_3)
	v_div_fmas_f32 v13, v13, v17, v18
	v_fma_f32 v17, v8, v16, v9
	v_fma_f32 v8, v9, v16, -v8
	v_div_fixup_f32 v12, v13, v12, 1.0
	s_delay_alu instid0(VALU_DEP_1) | instskip(NEXT) | instid1(VALU_DEP_3)
	v_mul_f32_e32 v17, v17, v12
	v_mul_f32_e32 v16, v8, v12
.LBB52_173:                             ;   in Loop: Header=BB52_114 Depth=1
	s_or_b32 exec_lo, exec_lo, s0
.LBB52_174:                             ;   in Loop: Header=BB52_114 Depth=1
	v_cmp_gt_f32_e32 vcc_lo, 0, v14
	v_cndmask_b32_e64 v12, v14, -v14, vcc_lo
	v_cmp_gt_f32_e32 vcc_lo, 0, v15
	v_cndmask_b32_e64 v8, v15, -v15, vcc_lo
	s_and_not1_b32 vcc_lo, exec_lo, s3
	s_delay_alu instid0(VALU_DEP_1)
	v_cmp_ge_f32_e64 s0, v12, v8
	s_cbranch_vccnz .LBB52_184
; %bb.175:                              ;   in Loop: Header=BB52_114 Depth=1
                                        ; implicit-def: $vgpr13
                                        ; implicit-def: $vgpr9
	s_delay_alu instid0(VALU_DEP_1) | instskip(NEXT) | instid1(SALU_CYCLE_1)
	s_and_saveexec_b32 s1, s0
	s_xor_b32 s6, exec_lo, s1
	s_cbranch_execz .LBB52_181
; %bb.176:                              ;   in Loop: Header=BB52_114 Depth=1
	v_cmp_neq_f32_e32 vcc_lo, 0, v14
	v_cmp_neq_f32_e64 s1, 0, v15
                                        ; implicit-def: $vgpr13
                                        ; implicit-def: $vgpr9
	s_delay_alu instid0(VALU_DEP_1) | instskip(NEXT) | instid1(SALU_CYCLE_1)
	s_or_b32 s1, vcc_lo, s1
	s_and_saveexec_b32 s7, s1
	s_delay_alu instid0(SALU_CYCLE_1)
	s_xor_b32 s1, exec_lo, s7
	s_cbranch_execz .LBB52_178
; %bb.177:                              ;   in Loop: Header=BB52_114 Depth=1
	v_div_scale_f32 v9, null, v14, v14, v15
	v_div_scale_f32 v19, vcc_lo, v15, v14, v15
	s_delay_alu instid0(VALU_DEP_2) | instskip(SKIP_2) | instid1(VALU_DEP_1)
	v_rcp_f32_e32 v13, v9
	s_waitcnt_depctr 0xfff
	v_fma_f32 v18, -v9, v13, 1.0
	v_fmac_f32_e32 v13, v18, v13
	s_delay_alu instid0(VALU_DEP_1) | instskip(NEXT) | instid1(VALU_DEP_1)
	v_mul_f32_e32 v18, v19, v13
	v_fma_f32 v20, -v9, v18, v19
	s_delay_alu instid0(VALU_DEP_1) | instskip(NEXT) | instid1(VALU_DEP_1)
	v_fmac_f32_e32 v18, v20, v13
	v_fma_f32 v9, -v9, v18, v19
	s_delay_alu instid0(VALU_DEP_1) | instskip(NEXT) | instid1(VALU_DEP_1)
	v_div_fmas_f32 v9, v9, v13, v18
	v_div_fixup_f32 v9, v9, v14, v15
	s_delay_alu instid0(VALU_DEP_1) | instskip(NEXT) | instid1(VALU_DEP_1)
	v_fma_f32 v13, v15, v9, v14
	v_div_scale_f32 v18, null, v13, v13, 1.0
	v_div_scale_f32 v21, vcc_lo, 1.0, v13, 1.0
	s_delay_alu instid0(VALU_DEP_2) | instskip(SKIP_2) | instid1(VALU_DEP_1)
	v_rcp_f32_e32 v19, v18
	s_waitcnt_depctr 0xfff
	v_fma_f32 v20, -v18, v19, 1.0
	v_fmac_f32_e32 v19, v20, v19
	s_delay_alu instid0(VALU_DEP_1) | instskip(NEXT) | instid1(VALU_DEP_1)
	v_mul_f32_e32 v20, v21, v19
	v_fma_f32 v22, -v18, v20, v21
	s_delay_alu instid0(VALU_DEP_1) | instskip(NEXT) | instid1(VALU_DEP_1)
	v_fmac_f32_e32 v20, v22, v19
	v_fma_f32 v18, -v18, v20, v21
	s_delay_alu instid0(VALU_DEP_1) | instskip(SKIP_1) | instid1(VALU_DEP_2)
	v_div_fmas_f32 v18, v18, v19, v20
	v_fma_f32 v19, v11, v9, v10
	v_div_fixup_f32 v13, v18, v13, 1.0
	v_fma_f32 v18, -v10, v9, v11
	s_delay_alu instid0(VALU_DEP_2) | instskip(NEXT) | instid1(VALU_DEP_2)
	v_mul_f32_e32 v9, v19, v13
	v_mul_f32_e32 v13, v18, v13
.LBB52_178:                             ;   in Loop: Header=BB52_114 Depth=1
	s_and_not1_saveexec_b32 s7, s1
	s_cbranch_execz .LBB52_180
; %bb.179:                              ;   in Loop: Header=BB52_114 Depth=1
	v_div_scale_f32 v9, null, v12, v12, v10
	v_div_scale_f32 v13, null, v8, v8, v11
	v_div_scale_f32 v22, vcc_lo, v10, v12, v10
	s_delay_alu instid0(VALU_DEP_3) | instskip(NEXT) | instid1(VALU_DEP_2)
	v_rcp_f32_e32 v18, v9
	v_rcp_f32_e32 v19, v13
	s_waitcnt_depctr 0xfff
	v_fma_f32 v20, -v9, v18, 1.0
	v_fma_f32 v21, -v13, v19, 1.0
	s_delay_alu instid0(VALU_DEP_1) | instskip(SKIP_1) | instid1(VALU_DEP_2)
	v_dual_fmac_f32 v18, v20, v18 :: v_dual_fmac_f32 v19, v21, v19
	v_div_scale_f32 v20, s1, v11, v8, v11
	v_mul_f32_e32 v21, v22, v18
	s_delay_alu instid0(VALU_DEP_2) | instskip(NEXT) | instid1(VALU_DEP_2)
	v_mul_f32_e32 v23, v20, v19
	v_fma_f32 v31, -v9, v21, v22
	s_delay_alu instid0(VALU_DEP_2) | instskip(NEXT) | instid1(VALU_DEP_2)
	v_fma_f32 v32, -v13, v23, v20
	v_fmac_f32_e32 v21, v31, v18
	s_delay_alu instid0(VALU_DEP_2) | instskip(NEXT) | instid1(VALU_DEP_2)
	v_fmac_f32_e32 v23, v32, v19
	v_fma_f32 v9, -v9, v21, v22
	s_delay_alu instid0(VALU_DEP_2) | instskip(NEXT) | instid1(VALU_DEP_2)
	v_fma_f32 v13, -v13, v23, v20
	v_div_fmas_f32 v9, v9, v18, v21
	s_mov_b32 vcc_lo, s1
	s_delay_alu instid0(VALU_DEP_2) | instskip(NEXT) | instid1(VALU_DEP_2)
	v_div_fmas_f32 v13, v13, v19, v23
	v_div_fixup_f32 v9, v9, v12, v10
	s_delay_alu instid0(VALU_DEP_2)
	v_div_fixup_f32 v13, v13, v8, v11
.LBB52_180:                             ;   in Loop: Header=BB52_114 Depth=1
	s_or_b32 exec_lo, exec_lo, s7
.LBB52_181:                             ;   in Loop: Header=BB52_114 Depth=1
	s_and_not1_saveexec_b32 s1, s6
	s_cbranch_execz .LBB52_183
; %bb.182:                              ;   in Loop: Header=BB52_114 Depth=1
	v_div_scale_f32 v9, null, v15, v15, v14
	v_div_scale_f32 v19, vcc_lo, v14, v15, v14
	s_delay_alu instid0(VALU_DEP_2) | instskip(SKIP_2) | instid1(VALU_DEP_1)
	v_rcp_f32_e32 v13, v9
	s_waitcnt_depctr 0xfff
	v_fma_f32 v18, -v9, v13, 1.0
	v_fmac_f32_e32 v13, v18, v13
	s_delay_alu instid0(VALU_DEP_1) | instskip(NEXT) | instid1(VALU_DEP_1)
	v_mul_f32_e32 v18, v19, v13
	v_fma_f32 v20, -v9, v18, v19
	s_delay_alu instid0(VALU_DEP_1) | instskip(NEXT) | instid1(VALU_DEP_1)
	v_fmac_f32_e32 v18, v20, v13
	v_fma_f32 v9, -v9, v18, v19
	s_delay_alu instid0(VALU_DEP_1) | instskip(NEXT) | instid1(VALU_DEP_1)
	v_div_fmas_f32 v9, v9, v13, v18
	v_div_fixup_f32 v9, v9, v15, v14
	s_delay_alu instid0(VALU_DEP_1) | instskip(NEXT) | instid1(VALU_DEP_1)
	v_fma_f32 v13, v14, v9, v15
	v_div_scale_f32 v18, null, v13, v13, 1.0
	v_div_scale_f32 v21, vcc_lo, 1.0, v13, 1.0
	s_delay_alu instid0(VALU_DEP_2) | instskip(SKIP_2) | instid1(VALU_DEP_1)
	v_rcp_f32_e32 v19, v18
	s_waitcnt_depctr 0xfff
	v_fma_f32 v20, -v18, v19, 1.0
	v_fmac_f32_e32 v19, v20, v19
	s_delay_alu instid0(VALU_DEP_1) | instskip(NEXT) | instid1(VALU_DEP_1)
	v_mul_f32_e32 v20, v21, v19
	v_fma_f32 v22, -v18, v20, v21
	s_delay_alu instid0(VALU_DEP_1) | instskip(NEXT) | instid1(VALU_DEP_1)
	v_fmac_f32_e32 v20, v22, v19
	v_fma_f32 v18, -v18, v20, v21
	s_delay_alu instid0(VALU_DEP_1) | instskip(SKIP_1) | instid1(VALU_DEP_2)
	v_div_fmas_f32 v18, v18, v19, v20
	v_fma_f32 v19, v10, v9, v11
	v_div_fixup_f32 v13, v18, v13, 1.0
	v_fma_f32 v18, v11, v9, -v10
	s_delay_alu instid0(VALU_DEP_2) | instskip(NEXT) | instid1(VALU_DEP_2)
	v_mul_f32_e32 v9, v19, v13
	v_mul_f32_e32 v13, v18, v13
.LBB52_183:                             ;   in Loop: Header=BB52_114 Depth=1
	s_or_b32 exec_lo, exec_lo, s1
	s_delay_alu instid0(VALU_DEP_1) | instskip(SKIP_1) | instid1(VALU_DEP_2)
	v_mul_f32_e32 v19, s9, v13
	v_mul_f32_e32 v18, s8, v13
	v_fma_f32 v19, v9, s8, -v19
	s_delay_alu instid0(VALU_DEP_2)
	v_fmac_f32_e32 v18, s9, v9
	s_branch .LBB52_113
.LBB52_184:                             ;   in Loop: Header=BB52_114 Depth=1
                                        ; implicit-def: $vgpr18
                                        ; implicit-def: $vgpr19
	s_cbranch_execz .LBB52_113
; %bb.185:                              ;   in Loop: Header=BB52_114 Depth=1
                                        ; implicit-def: $vgpr18
                                        ; implicit-def: $vgpr19
	s_delay_alu instid0(VALU_DEP_1) | instskip(NEXT) | instid1(SALU_CYCLE_1)
	s_and_saveexec_b32 s1, s0
	s_xor_b32 s1, exec_lo, s1
	s_cbranch_execz .LBB52_191
; %bb.186:                              ;   in Loop: Header=BB52_114 Depth=1
	v_cmp_neq_f32_e32 vcc_lo, 0, v14
	v_cmp_neq_f32_e64 s0, 0, v15
                                        ; implicit-def: $vgpr18
                                        ; implicit-def: $vgpr19
	s_delay_alu instid0(VALU_DEP_1) | instskip(NEXT) | instid1(SALU_CYCLE_1)
	s_or_b32 s0, vcc_lo, s0
	s_and_saveexec_b32 s6, s0
	s_delay_alu instid0(SALU_CYCLE_1)
	s_xor_b32 s0, exec_lo, s6
	s_cbranch_execz .LBB52_188
; %bb.187:                              ;   in Loop: Header=BB52_114 Depth=1
	v_div_scale_f32 v8, null, v14, v14, v15
	v_div_scale_f32 v13, vcc_lo, v15, v14, v15
	s_delay_alu instid0(VALU_DEP_2) | instskip(SKIP_2) | instid1(VALU_DEP_1)
	v_rcp_f32_e32 v9, v8
	s_waitcnt_depctr 0xfff
	v_fma_f32 v12, -v8, v9, 1.0
	v_fmac_f32_e32 v9, v12, v9
	s_delay_alu instid0(VALU_DEP_1) | instskip(NEXT) | instid1(VALU_DEP_1)
	v_mul_f32_e32 v12, v13, v9
	v_fma_f32 v18, -v8, v12, v13
	s_delay_alu instid0(VALU_DEP_1) | instskip(NEXT) | instid1(VALU_DEP_1)
	v_fmac_f32_e32 v12, v18, v9
	v_fma_f32 v8, -v8, v12, v13
	s_delay_alu instid0(VALU_DEP_1) | instskip(NEXT) | instid1(VALU_DEP_1)
	v_div_fmas_f32 v8, v8, v9, v12
	v_div_fixup_f32 v8, v8, v14, v15
	s_delay_alu instid0(VALU_DEP_1) | instskip(NEXT) | instid1(VALU_DEP_1)
	v_fmac_f32_e32 v14, v15, v8
	v_div_scale_f32 v9, null, v14, v14, 1.0
	v_div_scale_f32 v15, vcc_lo, 1.0, v14, 1.0
	s_delay_alu instid0(VALU_DEP_2) | instskip(SKIP_2) | instid1(VALU_DEP_1)
	v_rcp_f32_e32 v12, v9
	s_waitcnt_depctr 0xfff
	v_fma_f32 v13, -v9, v12, 1.0
	v_fmac_f32_e32 v12, v13, v12
	s_delay_alu instid0(VALU_DEP_1) | instskip(NEXT) | instid1(VALU_DEP_1)
	v_mul_f32_e32 v13, v15, v12
	v_fma_f32 v18, -v9, v13, v15
	s_delay_alu instid0(VALU_DEP_1) | instskip(NEXT) | instid1(VALU_DEP_1)
	v_fmac_f32_e32 v13, v18, v12
	v_fma_f32 v9, -v9, v13, v15
	s_delay_alu instid0(VALU_DEP_1) | instskip(SKIP_2) | instid1(VALU_DEP_3)
	v_div_fmas_f32 v9, v9, v12, v13
	v_fma_f32 v12, v11, v8, v10
	v_fma_f32 v8, -v10, v8, v11
	v_div_fixup_f32 v9, v9, v14, 1.0
	s_delay_alu instid0(VALU_DEP_1) | instskip(NEXT) | instid1(VALU_DEP_4)
	v_mul_f32_e32 v18, v8, v9
	v_mul_f32_e32 v19, v12, v9
                                        ; implicit-def: $vgpr8_vgpr9_vgpr10_vgpr11
                                        ; implicit-def: $vgpr12
                                        ; implicit-def: $vgpr8
.LBB52_188:                             ;   in Loop: Header=BB52_114 Depth=1
	s_and_not1_saveexec_b32 s6, s0
	s_cbranch_execz .LBB52_190
; %bb.189:                              ;   in Loop: Header=BB52_114 Depth=1
	v_div_scale_f32 v9, null, v12, v12, v10
	v_div_scale_f32 v13, null, v8, v8, v11
	v_div_scale_f32 v20, vcc_lo, v10, v12, v10
	s_delay_alu instid0(VALU_DEP_3) | instskip(NEXT) | instid1(VALU_DEP_2)
	v_rcp_f32_e32 v14, v9
	v_rcp_f32_e32 v15, v13
	s_waitcnt_depctr 0xfff
	v_fma_f32 v18, -v9, v14, 1.0
	v_fma_f32 v19, -v13, v15, 1.0
	s_delay_alu instid0(VALU_DEP_1) | instskip(SKIP_1) | instid1(VALU_DEP_2)
	v_dual_fmac_f32 v14, v18, v14 :: v_dual_fmac_f32 v15, v19, v15
	v_div_scale_f32 v18, s0, v11, v8, v11
	v_mul_f32_e32 v19, v20, v14
	s_delay_alu instid0(VALU_DEP_2) | instskip(NEXT) | instid1(VALU_DEP_2)
	v_mul_f32_e32 v21, v18, v15
	v_fma_f32 v22, -v9, v19, v20
	s_delay_alu instid0(VALU_DEP_2) | instskip(NEXT) | instid1(VALU_DEP_2)
	v_fma_f32 v23, -v13, v21, v18
	v_fmac_f32_e32 v19, v22, v14
	s_delay_alu instid0(VALU_DEP_2) | instskip(NEXT) | instid1(VALU_DEP_2)
	v_fmac_f32_e32 v21, v23, v15
	v_fma_f32 v9, -v9, v19, v20
	s_delay_alu instid0(VALU_DEP_2) | instskip(NEXT) | instid1(VALU_DEP_2)
	v_fma_f32 v13, -v13, v21, v18
	v_div_fmas_f32 v9, v9, v14, v19
	s_mov_b32 vcc_lo, s0
	s_delay_alu instid0(VALU_DEP_2) | instskip(NEXT) | instid1(VALU_DEP_2)
	v_div_fmas_f32 v13, v13, v15, v21
	v_div_fixup_f32 v19, v9, v12, v10
	s_delay_alu instid0(VALU_DEP_2)
	v_div_fixup_f32 v18, v13, v8, v11
.LBB52_190:                             ;   in Loop: Header=BB52_114 Depth=1
	s_or_b32 exec_lo, exec_lo, s6
                                        ; implicit-def: $vgpr12_vgpr13_vgpr14_vgpr15
                                        ; implicit-def: $vgpr8_vgpr9_vgpr10_vgpr11
.LBB52_191:                             ;   in Loop: Header=BB52_114 Depth=1
	s_and_not1_saveexec_b32 s0, s1
	s_cbranch_execz .LBB52_112
; %bb.192:                              ;   in Loop: Header=BB52_114 Depth=1
	v_div_scale_f32 v8, null, v15, v15, v14
	v_div_scale_f32 v13, vcc_lo, v14, v15, v14
	s_delay_alu instid0(VALU_DEP_2) | instskip(SKIP_2) | instid1(VALU_DEP_1)
	v_rcp_f32_e32 v9, v8
	s_waitcnt_depctr 0xfff
	v_fma_f32 v12, -v8, v9, 1.0
	v_fmac_f32_e32 v9, v12, v9
	s_delay_alu instid0(VALU_DEP_1) | instskip(NEXT) | instid1(VALU_DEP_1)
	v_mul_f32_e32 v12, v13, v9
	v_fma_f32 v18, -v8, v12, v13
	s_delay_alu instid0(VALU_DEP_1) | instskip(NEXT) | instid1(VALU_DEP_1)
	v_fmac_f32_e32 v12, v18, v9
	v_fma_f32 v8, -v8, v12, v13
	s_delay_alu instid0(VALU_DEP_1) | instskip(NEXT) | instid1(VALU_DEP_1)
	v_div_fmas_f32 v8, v8, v9, v12
	v_div_fixup_f32 v8, v8, v15, v14
	s_delay_alu instid0(VALU_DEP_1) | instskip(NEXT) | instid1(VALU_DEP_1)
	v_fmac_f32_e32 v15, v14, v8
	v_div_scale_f32 v9, null, v15, v15, 1.0
	v_div_scale_f32 v14, vcc_lo, 1.0, v15, 1.0
	s_delay_alu instid0(VALU_DEP_2) | instskip(SKIP_2) | instid1(VALU_DEP_1)
	v_rcp_f32_e32 v12, v9
	s_waitcnt_depctr 0xfff
	v_fma_f32 v13, -v9, v12, 1.0
	v_fmac_f32_e32 v12, v13, v12
	s_delay_alu instid0(VALU_DEP_1) | instskip(NEXT) | instid1(VALU_DEP_1)
	v_mul_f32_e32 v13, v14, v12
	v_fma_f32 v18, -v9, v13, v14
	s_delay_alu instid0(VALU_DEP_1) | instskip(NEXT) | instid1(VALU_DEP_1)
	v_fmac_f32_e32 v13, v18, v12
	v_fma_f32 v9, -v9, v13, v14
	s_delay_alu instid0(VALU_DEP_1) | instskip(SKIP_2) | instid1(VALU_DEP_3)
	v_div_fmas_f32 v9, v9, v12, v13
	v_fma_f32 v12, v10, v8, v11
	v_fma_f32 v8, v11, v8, -v10
	v_div_fixup_f32 v9, v9, v15, 1.0
	s_delay_alu instid0(VALU_DEP_1) | instskip(NEXT) | instid1(VALU_DEP_4)
	v_mul_f32_e32 v18, v8, v9
	v_mul_f32_e32 v19, v12, v9
	s_branch .LBB52_112
.LBB52_193:
	s_nop 0
	s_sendmsg sendmsg(MSG_DEALLOC_VGPRS)
	s_endpgm
	.section	.rodata,"a",@progbits
	.p2align	6, 0x0
	.amdhsa_kernel _ZN2at6native12_GLOBAL__N_125multi_tensor_apply_kernelINS1_18TensorListMetadataILi4EEENS1_24PointwiseOpScalarFunctorIN3c107complexIfEELi4ELi3ELi3EEEJSt7dividesIS8_ES8_EEEvT_T0_DpT1_
		.amdhsa_group_segment_fixed_size 0
		.amdhsa_private_segment_fixed_size 0
		.amdhsa_kernarg_size 3320
		.amdhsa_user_sgpr_count 15
		.amdhsa_user_sgpr_dispatch_ptr 0
		.amdhsa_user_sgpr_queue_ptr 0
		.amdhsa_user_sgpr_kernarg_segment_ptr 1
		.amdhsa_user_sgpr_dispatch_id 0
		.amdhsa_user_sgpr_private_segment_size 0
		.amdhsa_wavefront_size32 1
		.amdhsa_uses_dynamic_stack 0
		.amdhsa_enable_private_segment 0
		.amdhsa_system_sgpr_workgroup_id_x 1
		.amdhsa_system_sgpr_workgroup_id_y 0
		.amdhsa_system_sgpr_workgroup_id_z 0
		.amdhsa_system_sgpr_workgroup_info 0
		.amdhsa_system_vgpr_workitem_id 0
		.amdhsa_next_free_vgpr 71
		.amdhsa_next_free_sgpr 35
		.amdhsa_reserve_vcc 1
		.amdhsa_float_round_mode_32 0
		.amdhsa_float_round_mode_16_64 0
		.amdhsa_float_denorm_mode_32 3
		.amdhsa_float_denorm_mode_16_64 3
		.amdhsa_dx10_clamp 1
		.amdhsa_ieee_mode 1
		.amdhsa_fp16_overflow 0
		.amdhsa_workgroup_processor_mode 1
		.amdhsa_memory_ordered 1
		.amdhsa_forward_progress 0
		.amdhsa_shared_vgpr_count 0
		.amdhsa_exception_fp_ieee_invalid_op 0
		.amdhsa_exception_fp_denorm_src 0
		.amdhsa_exception_fp_ieee_div_zero 0
		.amdhsa_exception_fp_ieee_overflow 0
		.amdhsa_exception_fp_ieee_underflow 0
		.amdhsa_exception_fp_ieee_inexact 0
		.amdhsa_exception_int_div_zero 0
	.end_amdhsa_kernel
	.section	.text._ZN2at6native12_GLOBAL__N_125multi_tensor_apply_kernelINS1_18TensorListMetadataILi4EEENS1_24PointwiseOpScalarFunctorIN3c107complexIfEELi4ELi3ELi3EEEJSt7dividesIS8_ES8_EEEvT_T0_DpT1_,"axG",@progbits,_ZN2at6native12_GLOBAL__N_125multi_tensor_apply_kernelINS1_18TensorListMetadataILi4EEENS1_24PointwiseOpScalarFunctorIN3c107complexIfEELi4ELi3ELi3EEEJSt7dividesIS8_ES8_EEEvT_T0_DpT1_,comdat
.Lfunc_end52:
	.size	_ZN2at6native12_GLOBAL__N_125multi_tensor_apply_kernelINS1_18TensorListMetadataILi4EEENS1_24PointwiseOpScalarFunctorIN3c107complexIfEELi4ELi3ELi3EEEJSt7dividesIS8_ES8_EEEvT_T0_DpT1_, .Lfunc_end52-_ZN2at6native12_GLOBAL__N_125multi_tensor_apply_kernelINS1_18TensorListMetadataILi4EEENS1_24PointwiseOpScalarFunctorIN3c107complexIfEELi4ELi3ELi3EEEJSt7dividesIS8_ES8_EEEvT_T0_DpT1_
                                        ; -- End function
	.section	.AMDGPU.csdata,"",@progbits
; Kernel info:
; codeLenInByte = 14056
; NumSgprs: 37
; NumVgprs: 71
; ScratchSize: 0
; MemoryBound: 1
; FloatMode: 240
; IeeeMode: 1
; LDSByteSize: 0 bytes/workgroup (compile time only)
; SGPRBlocks: 4
; VGPRBlocks: 8
; NumSGPRsForWavesPerEU: 37
; NumVGPRsForWavesPerEU: 71
; Occupancy: 16
; WaveLimiterHint : 0
; COMPUTE_PGM_RSRC2:SCRATCH_EN: 0
; COMPUTE_PGM_RSRC2:USER_SGPR: 15
; COMPUTE_PGM_RSRC2:TRAP_HANDLER: 0
; COMPUTE_PGM_RSRC2:TGID_X_EN: 1
; COMPUTE_PGM_RSRC2:TGID_Y_EN: 0
; COMPUTE_PGM_RSRC2:TGID_Z_EN: 0
; COMPUTE_PGM_RSRC2:TIDIG_COMP_CNT: 0
	.section	.text._ZN2at6native12_GLOBAL__N_125multi_tensor_apply_kernelINS1_18TensorListMetadataILi4EEENS1_24PointwiseOpScalarFunctorIN3c104HalfELi4ELi3ELi3EEEJSt7dividesIfEfEEEvT_T0_DpT1_,"axG",@progbits,_ZN2at6native12_GLOBAL__N_125multi_tensor_apply_kernelINS1_18TensorListMetadataILi4EEENS1_24PointwiseOpScalarFunctorIN3c104HalfELi4ELi3ELi3EEEJSt7dividesIfEfEEEvT_T0_DpT1_,comdat
	.globl	_ZN2at6native12_GLOBAL__N_125multi_tensor_apply_kernelINS1_18TensorListMetadataILi4EEENS1_24PointwiseOpScalarFunctorIN3c104HalfELi4ELi3ELi3EEEJSt7dividesIfEfEEEvT_T0_DpT1_ ; -- Begin function _ZN2at6native12_GLOBAL__N_125multi_tensor_apply_kernelINS1_18TensorListMetadataILi4EEENS1_24PointwiseOpScalarFunctorIN3c104HalfELi4ELi3ELi3EEEJSt7dividesIfEfEEEvT_T0_DpT1_
	.p2align	8
	.type	_ZN2at6native12_GLOBAL__N_125multi_tensor_apply_kernelINS1_18TensorListMetadataILi4EEENS1_24PointwiseOpScalarFunctorIN3c104HalfELi4ELi3ELi3EEEJSt7dividesIfEfEEEvT_T0_DpT1_,@function
_ZN2at6native12_GLOBAL__N_125multi_tensor_apply_kernelINS1_18TensorListMetadataILi4EEENS1_24PointwiseOpScalarFunctorIN3c104HalfELi4ELi3ELi3EEEJSt7dividesIfEfEEEvT_T0_DpT1_: ; @_ZN2at6native12_GLOBAL__N_125multi_tensor_apply_kernelINS1_18TensorListMetadataILi4EEENS1_24PointwiseOpScalarFunctorIN3c104HalfELi4ELi3ELi3EEEJSt7dividesIfEfEEEvT_T0_DpT1_
; %bb.0:
	v_mov_b32_e32 v1, s15
	s_add_u32 s2, s0, s15
	s_mul_hi_u32 s3, s15, 3
	s_mul_i32 s15, s15, 3
	s_addc_u32 s4, s1, 0
	global_load_u8 v1, v1, s[0:1] offset:1440
	s_add_u32 s2, s2, s15
	s_addc_u32 s3, s4, s3
	s_mov_b32 s21, 0
	s_load_b32 s2, s[2:3], 0x6e0
	s_mov_b32 s7, s21
	s_waitcnt vmcnt(0)
	v_readfirstlane_b32 s3, v1
	s_delay_alu instid0(VALU_DEP_1)
	s_lshl_b32 s4, s3, 3
	s_waitcnt lgkmcnt(0)
	s_ashr_i32 s3, s2, 31
	s_clause 0x3
	s_load_b64 s[8:9], s[0:1], s4 offset:0x120
	s_load_b64 s[10:11], s[0:1], s4 offset:0x0
	;; [unrolled: 1-line block ×4, first 2 shown]
	s_lshl_b64 s[18:19], s[2:3], 17
	s_load_b64 s[4:5], s[0:1], s4 offset:0x480
	s_waitcnt lgkmcnt(0)
	s_add_u32 s6, s8, s18
	s_and_b32 s20, s10, 7
	s_and_b32 s6, s6, 7
	s_delay_alu instid0(SALU_CYCLE_1) | instskip(SKIP_2) | instid1(SALU_CYCLE_1)
	s_cmp_eq_u64 s[6:7], 0
	s_cselect_b32 s6, -1, 0
	s_add_u32 s7, s12, s18
	s_or_b32 s7, s16, s7
	s_delay_alu instid0(SALU_CYCLE_1) | instskip(NEXT) | instid1(SALU_CYCLE_1)
	s_and_b32 s7, s7, 7
	s_cmp_eq_u32 s7, 0
	s_load_b32 s7, s[0:1], 0xbec
	s_cselect_b32 s14, -1, 0
	s_lshl_b64 s[2:3], s[2:3], 16
	s_and_b32 s6, s14, s6
	s_sub_u32 s14, s4, s2
	s_subb_u32 s15, s5, s3
	s_and_b32 s2, s4, 3
	s_mov_b32 s3, s21
	s_delay_alu instid0(SALU_CYCLE_1) | instskip(NEXT) | instid1(SALU_CYCLE_1)
	s_or_b64 s[2:3], s[20:21], s[2:3]
	s_cmp_eq_u64 s[2:3], 0
	s_cselect_b32 s2, -1, 0
	s_delay_alu instid0(SALU_CYCLE_1) | instskip(NEXT) | instid1(SALU_CYCLE_1)
	s_and_b32 s2, s6, s2
	s_and_b32 vcc_lo, exec_lo, s2
	s_mov_b32 s2, -1
	s_cbranch_vccnz .LBB53_29
; %bb.1:
	v_cmp_lt_i64_e64 s2, s[14:15], 1
	s_delay_alu instid0(VALU_DEP_1)
	s_and_b32 vcc_lo, exec_lo, s2
	s_cbranch_vccnz .LBB53_28
; %bb.2:
	s_load_b32 s3, s[0:1], 0xbfc
	v_dual_mov_b32 v18, 0 :: v_dual_lshlrev_b32 v17, 1, v0
	v_cmp_gt_u64_e64 s4, 0x10000, s[14:15]
	s_waitcnt lgkmcnt(0)
	v_cmp_eq_f32_e64 s2, s7, 1.0
	s_mov_b64 s[22:23], 0
	v_add_co_u32 v1, s5, s10, v17
	s_delay_alu instid0(VALU_DEP_1)
	v_add_co_ci_u32_e64 v2, null, s11, 0, s5
	v_add_co_u32 v3, s5, s8, v17
	v_add_co_u32 v5, s6, s12, v17
	v_add_co_ci_u32_e64 v4, null, s9, 0, s5
	v_add_co_ci_u32_e64 v6, null, s13, 0, s6
	v_add_co_u32 v7, s6, s16, v17
	s_and_b32 s3, s3, 0xffff
	s_and_b32 s4, s4, exec_lo
	v_mad_u64_u32 v[15:16], null, s3, 6, v[17:18]
	s_cselect_b32 s21, s15, 0
	s_cselect_b32 s20, s14, 0x10000
	s_mul_i32 s5, s3, 3
	s_lshl_b32 s24, s3, 2
	v_add_co_ci_u32_e64 v8, null, s17, 0, s6
	s_delay_alu instid0(VALU_DEP_2) | instskip(NEXT) | instid1(VALU_DEP_3)
	v_add_co_u32 v9, vcc_lo, s10, v15
	v_add_co_ci_u32_e32 v10, vcc_lo, s11, v16, vcc_lo
	v_add_co_u32 v11, vcc_lo, s8, v15
	v_add_co_u32 v26, s6, s24, v17
	v_add_co_u32 v17, s5, s5, v0
	v_add_co_ci_u32_e32 v12, vcc_lo, s9, v16, vcc_lo
	v_add_co_ci_u32_e64 v18, null, 0, 0, s5
	v_add_co_u32 v25, s5, v0, s3
	v_add_co_u32 v13, vcc_lo, s12, v15
	v_add_co_ci_u32_e32 v14, vcc_lo, s13, v16, vcc_lo
	v_add_co_u32 v15, vcc_lo, s16, v15
	v_add_co_ci_u32_e64 v27, null, 0, 0, s6
	v_lshlrev_b32_e32 v37, 1, v25
	s_lshl_b32 s4, s3, 1
	v_add_co_ci_u32_e32 v16, vcc_lo, s17, v16, vcc_lo
	v_add_co_u32 v19, vcc_lo, s10, v26
	v_add_co_u32 v29, s4, s4, v0
	v_add_co_ci_u32_e32 v20, vcc_lo, s11, v27, vcc_lo
	v_add_co_u32 v21, vcc_lo, s8, v26
	v_add_co_ci_u32_e64 v30, null, 0, 0, s4
	v_add_co_u32 v31, s4, s10, v37
	v_add_co_ci_u32_e32 v22, vcc_lo, s9, v27, vcc_lo
	v_add_co_ci_u32_e64 v32, null, s11, 0, s4
	v_add_co_u32 v33, s4, s8, v37
	v_add_co_u32 v23, vcc_lo, s12, v26
	v_add_co_ci_u32_e64 v34, null, s9, 0, s4
	v_add_co_u32 v35, s4, s12, v37
	v_add_co_ci_u32_e32 v24, vcc_lo, s13, v27, vcc_lo
	v_add_co_u32 v26, vcc_lo, s16, v26
	v_add_co_ci_u32_e64 v36, null, s13, 0, s4
	v_add_co_u32 v37, s4, s16, v37
	v_add_co_ci_u32_e32 v27, vcc_lo, s17, v27, vcc_lo
	v_add_co_ci_u32_e64 v28, null, 0, 0, s5
	v_add_co_ci_u32_e64 v38, null, s17, 0, s4
	s_lshl_b32 s25, s3, 3
	s_branch .LBB53_4
.LBB53_3:                               ;   in Loop: Header=BB53_4 Depth=1
	s_or_b32 exec_lo, exec_lo, s3
	v_add_co_u32 v1, vcc_lo, v1, s25
	v_add_co_ci_u32_e32 v2, vcc_lo, 0, v2, vcc_lo
	v_add_co_u32 v3, vcc_lo, v3, s25
	v_add_co_ci_u32_e32 v4, vcc_lo, 0, v4, vcc_lo
	;; [unrolled: 2-line block ×13, first 2 shown]
	s_add_u32 s22, s22, s24
	v_add_co_u32 v33, vcc_lo, v33, s25
	s_addc_u32 s23, s23, 0
	v_add_co_ci_u32_e32 v34, vcc_lo, 0, v34, vcc_lo
	v_cmp_lt_i64_e64 s3, s[22:23], s[14:15]
	v_cmp_gt_u64_e64 s4, 0x10000, s[22:23]
	v_add_co_u32 v35, vcc_lo, v35, s25
	v_add_co_ci_u32_e32 v36, vcc_lo, 0, v36, vcc_lo
	v_add_co_u32 v37, vcc_lo, v37, s25
	v_add_co_ci_u32_e32 v38, vcc_lo, 0, v38, vcc_lo
	s_and_b32 s3, s3, s4
	s_delay_alu instid0(SALU_CYCLE_1)
	s_and_b32 vcc_lo, exec_lo, s3
	s_cbranch_vccz .LBB53_28
.LBB53_4:                               ; =>This Inner Loop Header: Depth=1
	s_waitcnt vmcnt(1)
	v_add_co_u32 v39, s3, v0, s22
	s_delay_alu instid0(VALU_DEP_1) | instskip(SKIP_2) | instid1(VALU_DEP_2)
	v_add_co_ci_u32_e64 v40, null, 0, s23, s3
	s_waitcnt vmcnt(0)
	v_mov_b32_e32 v43, 0
	v_cmp_gt_u64_e32 vcc_lo, s[20:21], v[39:40]
	v_mov_b32_e32 v40, 0
	s_and_saveexec_b32 s4, vcc_lo
	s_cbranch_execz .LBB53_6
; %bb.5:                                ;   in Loop: Header=BB53_4 Depth=1
	v_add_co_u32 v39, s3, v1, s18
	s_delay_alu instid0(VALU_DEP_1) | instskip(SKIP_1) | instid1(VALU_DEP_1)
	v_add_co_ci_u32_e64 v40, s3, s19, v2, s3
	v_add_co_u32 v41, s3, v3, s18
	v_add_co_ci_u32_e64 v42, s3, s19, v4, s3
	global_load_u16 v40, v[39:40], off
	global_load_u16 v43, v[41:42], off
.LBB53_6:                               ;   in Loop: Header=BB53_4 Depth=1
	s_or_b32 exec_lo, exec_lo, s4
	v_mov_b32_e32 v39, 0
	v_mov_b32_e32 v45, 0
	s_and_saveexec_b32 s4, vcc_lo
	s_cbranch_execz .LBB53_8
; %bb.7:                                ;   in Loop: Header=BB53_4 Depth=1
	v_add_co_u32 v41, s3, v5, s18
	s_delay_alu instid0(VALU_DEP_1)
	v_add_co_ci_u32_e64 v42, s3, s19, v6, s3
	global_load_u16 v45, v[41:42], off
.LBB53_8:                               ;   in Loop: Header=BB53_4 Depth=1
	s_or_b32 exec_lo, exec_lo, s4
	v_add_co_u32 v41, s3, v25, s22
	s_delay_alu instid0(VALU_DEP_1) | instskip(SKIP_1) | instid1(VALU_DEP_2)
	v_add_co_ci_u32_e64 v42, s3, s23, v28, s3
	v_mov_b32_e32 v44, 0
	v_cmp_gt_u64_e64 s3, s[20:21], v[41:42]
	s_delay_alu instid0(VALU_DEP_1)
	s_and_saveexec_b32 s5, s3
	s_cbranch_execz .LBB53_10
; %bb.9:                                ;   in Loop: Header=BB53_4 Depth=1
	v_add_co_u32 v41, s4, v31, s18
	s_delay_alu instid0(VALU_DEP_1) | instskip(SKIP_1) | instid1(VALU_DEP_1)
	v_add_co_ci_u32_e64 v42, s4, s19, v32, s4
	v_add_co_u32 v46, s4, v33, s18
	v_add_co_ci_u32_e64 v47, s4, s19, v34, s4
	global_load_u16 v39, v[41:42], off
	global_load_u16 v44, v[46:47], off
.LBB53_10:                              ;   in Loop: Header=BB53_4 Depth=1
	s_or_b32 exec_lo, exec_lo, s5
	v_mov_b32_e32 v41, 0
	v_mov_b32_e32 v47, 0
	s_and_saveexec_b32 s5, s3
	s_cbranch_execz .LBB53_12
; %bb.11:                               ;   in Loop: Header=BB53_4 Depth=1
	v_add_co_u32 v46, s4, v35, s18
	s_delay_alu instid0(VALU_DEP_1)
	v_add_co_ci_u32_e64 v47, s4, s19, v36, s4
	global_load_u16 v47, v[46:47], off
.LBB53_12:                              ;   in Loop: Header=BB53_4 Depth=1
	s_or_b32 exec_lo, exec_lo, s5
	v_add_co_u32 v48, s4, v29, s22
	s_delay_alu instid0(VALU_DEP_1) | instskip(SKIP_1) | instid1(VALU_DEP_2)
	v_add_co_ci_u32_e64 v49, s4, s23, v30, s4
	v_mov_b32_e32 v46, 0
	v_cmp_gt_u64_e64 s4, s[20:21], v[48:49]
	s_delay_alu instid0(VALU_DEP_1)
	s_and_saveexec_b32 s6, s4
	s_cbranch_execz .LBB53_14
; %bb.13:                               ;   in Loop: Header=BB53_4 Depth=1
	v_add_co_u32 v41, s5, v19, s18
	s_delay_alu instid0(VALU_DEP_1) | instskip(SKIP_1) | instid1(VALU_DEP_1)
	v_add_co_ci_u32_e64 v42, s5, s19, v20, s5
	v_add_co_u32 v48, s5, v21, s18
	v_add_co_ci_u32_e64 v49, s5, s19, v22, s5
	global_load_u16 v41, v[41:42], off
	global_load_u16 v46, v[48:49], off
.LBB53_14:                              ;   in Loop: Header=BB53_4 Depth=1
	s_or_b32 exec_lo, exec_lo, s6
	v_dual_mov_b32 v42, 0 :: v_dual_mov_b32 v49, 0
	s_and_saveexec_b32 s6, s4
	s_cbranch_execz .LBB53_16
; %bb.15:                               ;   in Loop: Header=BB53_4 Depth=1
	v_add_co_u32 v48, s5, v23, s18
	s_delay_alu instid0(VALU_DEP_1)
	v_add_co_ci_u32_e64 v49, s5, s19, v24, s5
	global_load_u16 v49, v[48:49], off
.LBB53_16:                              ;   in Loop: Header=BB53_4 Depth=1
	s_or_b32 exec_lo, exec_lo, s6
	v_add_co_u32 v50, s5, v17, s22
	s_delay_alu instid0(VALU_DEP_1) | instskip(SKIP_1) | instid1(VALU_DEP_2)
	v_add_co_ci_u32_e64 v51, s5, s23, v18, s5
	v_mov_b32_e32 v48, 0
	v_cmp_gt_u64_e64 s5, s[20:21], v[50:51]
	s_delay_alu instid0(VALU_DEP_1)
	s_and_saveexec_b32 s26, s5
	s_cbranch_execnz .LBB53_22
; %bb.17:                               ;   in Loop: Header=BB53_4 Depth=1
	s_or_b32 exec_lo, exec_lo, s26
	v_mov_b32_e32 v50, 0
	s_and_saveexec_b32 s26, s5
	s_cbranch_execnz .LBB53_23
.LBB53_18:                              ;   in Loop: Header=BB53_4 Depth=1
	s_or_b32 exec_lo, exec_lo, s26
	s_and_saveexec_b32 s6, vcc_lo
	s_cbranch_execnz .LBB53_24
.LBB53_19:                              ;   in Loop: Header=BB53_4 Depth=1
	s_or_b32 exec_lo, exec_lo, s6
	s_and_saveexec_b32 s6, s3
	s_cbranch_execnz .LBB53_25
.LBB53_20:                              ;   in Loop: Header=BB53_4 Depth=1
	s_or_b32 exec_lo, exec_lo, s6
	s_and_saveexec_b32 s3, s4
	s_cbranch_execnz .LBB53_26
.LBB53_21:                              ;   in Loop: Header=BB53_4 Depth=1
	s_or_b32 exec_lo, exec_lo, s3
	s_and_saveexec_b32 s3, s5
	s_cbranch_execz .LBB53_3
	s_branch .LBB53_27
.LBB53_22:                              ;   in Loop: Header=BB53_4 Depth=1
	v_add_co_u32 v50, s6, v9, s18
	s_delay_alu instid0(VALU_DEP_1) | instskip(SKIP_1) | instid1(VALU_DEP_1)
	v_add_co_ci_u32_e64 v51, s6, s19, v10, s6
	v_add_co_u32 v52, s6, v11, s18
	v_add_co_ci_u32_e64 v53, s6, s19, v12, s6
	global_load_u16 v42, v[50:51], off
	global_load_u16 v48, v[52:53], off
	s_or_b32 exec_lo, exec_lo, s26
	v_mov_b32_e32 v50, 0
	s_and_saveexec_b32 s26, s5
	s_cbranch_execz .LBB53_18
.LBB53_23:                              ;   in Loop: Header=BB53_4 Depth=1
	v_add_co_u32 v50, s6, v13, s18
	s_delay_alu instid0(VALU_DEP_1)
	v_add_co_ci_u32_e64 v51, s6, s19, v14, s6
	global_load_u16 v50, v[50:51], off
	s_or_b32 exec_lo, exec_lo, s26
	s_and_saveexec_b32 s6, vcc_lo
	s_cbranch_execz .LBB53_19
.LBB53_24:                              ;   in Loop: Header=BB53_4 Depth=1
	s_waitcnt vmcnt(0)
	v_cvt_f32_f16_e32 v43, v43
	v_cvt_f32_f16_e32 v45, v45
	s_delay_alu instid0(VALU_DEP_1) | instskip(SKIP_1) | instid1(VALU_DEP_2)
	v_div_scale_f32 v51, null, v45, v45, v43
	v_div_scale_f32 v54, vcc_lo, v43, v45, v43
	v_rcp_f32_e32 v52, v51
	s_waitcnt_depctr 0xfff
	v_fma_f32 v53, -v51, v52, 1.0
	s_delay_alu instid0(VALU_DEP_1) | instskip(NEXT) | instid1(VALU_DEP_1)
	v_fmac_f32_e32 v52, v53, v52
	v_mul_f32_e32 v53, v54, v52
	s_delay_alu instid0(VALU_DEP_1) | instskip(NEXT) | instid1(VALU_DEP_1)
	v_fma_f32 v55, -v51, v53, v54
	v_fmac_f32_e32 v53, v55, v52
	s_delay_alu instid0(VALU_DEP_1) | instskip(NEXT) | instid1(VALU_DEP_1)
	v_fma_f32 v51, -v51, v53, v54
	v_div_fmas_f32 v51, v51, v52, v53
	v_cvt_f32_f16_e32 v52, v40
	s_delay_alu instid0(VALU_DEP_2) | instskip(SKIP_1) | instid1(VALU_DEP_2)
	v_div_fixup_f32 v43, v51, v45, v43
	v_add_co_u32 v51, vcc_lo, v7, s18
	v_add_f32_e32 v45, v43, v52
	v_fma_mix_f32 v40, s7, v43, v40 op_sel_hi:[0,0,1]
	v_add_co_ci_u32_e32 v52, vcc_lo, s19, v8, vcc_lo
	s_delay_alu instid0(VALU_DEP_2) | instskip(NEXT) | instid1(VALU_DEP_1)
	v_cndmask_b32_e64 v40, v40, v45, s2
	v_cvt_f16_f32_e32 v40, v40
	global_store_b16 v[51:52], v40, off
	s_or_b32 exec_lo, exec_lo, s6
	s_and_saveexec_b32 s6, s3
	s_cbranch_execz .LBB53_20
.LBB53_25:                              ;   in Loop: Header=BB53_4 Depth=1
	s_waitcnt vmcnt(0)
	v_cvt_f32_f16_e32 v40, v44
	v_cvt_f32_f16_e32 v43, v47
	s_delay_alu instid0(VALU_DEP_1) | instskip(SKIP_1) | instid1(VALU_DEP_2)
	v_div_scale_f32 v44, null, v43, v43, v40
	v_div_scale_f32 v51, vcc_lo, v40, v43, v40
	v_rcp_f32_e32 v45, v44
	s_waitcnt_depctr 0xfff
	v_fma_f32 v47, -v44, v45, 1.0
	s_delay_alu instid0(VALU_DEP_1) | instskip(NEXT) | instid1(VALU_DEP_1)
	v_fmac_f32_e32 v45, v47, v45
	v_mul_f32_e32 v47, v51, v45
	s_delay_alu instid0(VALU_DEP_1) | instskip(NEXT) | instid1(VALU_DEP_1)
	v_fma_f32 v52, -v44, v47, v51
	v_fmac_f32_e32 v47, v52, v45
	s_delay_alu instid0(VALU_DEP_1) | instskip(NEXT) | instid1(VALU_DEP_1)
	v_fma_f32 v44, -v44, v47, v51
	v_div_fmas_f32 v44, v44, v45, v47
	v_cvt_f32_f16_e32 v45, v39
	s_delay_alu instid0(VALU_DEP_2) | instskip(NEXT) | instid1(VALU_DEP_1)
	v_div_fixup_f32 v40, v44, v43, v40
	v_add_f32_e32 v43, v40, v45
	v_fma_mix_f32 v39, s7, v40, v39 op_sel_hi:[0,0,1]
	s_delay_alu instid0(VALU_DEP_1) | instskip(NEXT) | instid1(VALU_DEP_1)
	v_cndmask_b32_e64 v39, v39, v43, s2
	v_cvt_f16_f32_e32 v43, v39
	v_add_co_u32 v39, vcc_lo, v37, s18
	v_add_co_ci_u32_e32 v40, vcc_lo, s19, v38, vcc_lo
	global_store_b16 v[39:40], v43, off
	s_or_b32 exec_lo, exec_lo, s6
	s_and_saveexec_b32 s3, s4
	s_cbranch_execz .LBB53_21
.LBB53_26:                              ;   in Loop: Header=BB53_4 Depth=1
	s_waitcnt vmcnt(0)
	v_cvt_f32_f16_e32 v39, v46
	v_cvt_f32_f16_e32 v40, v49
	s_delay_alu instid0(VALU_DEP_1) | instskip(SKIP_1) | instid1(VALU_DEP_2)
	v_div_scale_f32 v43, null, v40, v40, v39
	v_div_scale_f32 v46, vcc_lo, v39, v40, v39
	v_rcp_f32_e32 v44, v43
	s_waitcnt_depctr 0xfff
	v_fma_f32 v45, -v43, v44, 1.0
	s_delay_alu instid0(VALU_DEP_1) | instskip(NEXT) | instid1(VALU_DEP_1)
	v_fmac_f32_e32 v44, v45, v44
	v_mul_f32_e32 v45, v46, v44
	s_delay_alu instid0(VALU_DEP_1) | instskip(NEXT) | instid1(VALU_DEP_1)
	v_fma_f32 v47, -v43, v45, v46
	v_fmac_f32_e32 v45, v47, v44
	s_delay_alu instid0(VALU_DEP_1) | instskip(NEXT) | instid1(VALU_DEP_1)
	v_fma_f32 v43, -v43, v45, v46
	v_div_fmas_f32 v43, v43, v44, v45
	v_cvt_f32_f16_e32 v44, v41
	s_delay_alu instid0(VALU_DEP_2) | instskip(NEXT) | instid1(VALU_DEP_1)
	v_div_fixup_f32 v39, v43, v40, v39
	v_add_f32_e32 v40, v39, v44
	v_fma_mix_f32 v39, s7, v39, v41 op_sel_hi:[0,0,1]
	s_delay_alu instid0(VALU_DEP_1) | instskip(NEXT) | instid1(VALU_DEP_1)
	v_cndmask_b32_e64 v39, v39, v40, s2
	v_cvt_f16_f32_e32 v41, v39
	v_add_co_u32 v39, vcc_lo, v26, s18
	v_add_co_ci_u32_e32 v40, vcc_lo, s19, v27, vcc_lo
	global_store_b16 v[39:40], v41, off
	s_or_b32 exec_lo, exec_lo, s3
	s_and_saveexec_b32 s3, s5
	s_cbranch_execz .LBB53_3
.LBB53_27:                              ;   in Loop: Header=BB53_4 Depth=1
	s_waitcnt vmcnt(0)
	v_cvt_f32_f16_e32 v39, v48
	v_cvt_f32_f16_e32 v40, v50
	s_delay_alu instid0(VALU_DEP_1) | instskip(SKIP_1) | instid1(VALU_DEP_2)
	v_div_scale_f32 v41, null, v40, v40, v39
	v_div_scale_f32 v45, vcc_lo, v39, v40, v39
	v_rcp_f32_e32 v43, v41
	s_waitcnt_depctr 0xfff
	v_fma_f32 v44, -v41, v43, 1.0
	s_delay_alu instid0(VALU_DEP_1) | instskip(NEXT) | instid1(VALU_DEP_1)
	v_fmac_f32_e32 v43, v44, v43
	v_mul_f32_e32 v44, v45, v43
	s_delay_alu instid0(VALU_DEP_1) | instskip(NEXT) | instid1(VALU_DEP_1)
	v_fma_f32 v46, -v41, v44, v45
	v_fmac_f32_e32 v44, v46, v43
	s_delay_alu instid0(VALU_DEP_1) | instskip(NEXT) | instid1(VALU_DEP_1)
	v_fma_f32 v41, -v41, v44, v45
	v_div_fmas_f32 v41, v41, v43, v44
	v_cvt_f32_f16_e32 v43, v42
	s_delay_alu instid0(VALU_DEP_2) | instskip(NEXT) | instid1(VALU_DEP_1)
	v_div_fixup_f32 v39, v41, v40, v39
	v_add_f32_e32 v40, v39, v43
	v_fma_mix_f32 v39, s7, v39, v42 op_sel_hi:[0,0,1]
	s_delay_alu instid0(VALU_DEP_1) | instskip(NEXT) | instid1(VALU_DEP_1)
	v_cndmask_b32_e64 v39, v39, v40, s2
	v_cvt_f16_f32_e32 v41, v39
	v_add_co_u32 v39, vcc_lo, v15, s18
	v_add_co_ci_u32_e32 v40, vcc_lo, s19, v16, vcc_lo
	global_store_b16 v[39:40], v41, off
	s_branch .LBB53_3
.LBB53_28:
	s_mov_b32 s2, 0
.LBB53_29:
	s_delay_alu instid0(SALU_CYCLE_1)
	s_and_not1_b32 vcc_lo, exec_lo, s2
	s_cbranch_vccnz .LBB53_33
; %bb.30:
	v_dual_mov_b32 v2, 0 :: v_dual_lshlrev_b32 v1, 2, v0
	s_mov_b32 s6, 0
	s_mov_b32 s2, exec_lo
	s_delay_alu instid0(VALU_DEP_1)
	v_cmpx_gt_i64_e64 s[14:15], v[1:2]
	s_cbranch_execz .LBB53_33
; %bb.31:
	s_load_b32 s1, s[0:1], 0xbfc
	v_lshlrev_b32_e32 v1, 3, v0
	s_waitcnt lgkmcnt(0)
	v_cmp_eq_f32_e64 s0, s7, 1.0
	s_mov_b32 s20, s7
	s_delay_alu instid0(VALU_DEP_2) | instskip(NEXT) | instid1(VALU_DEP_1)
	v_add_co_u32 v3, s2, s18, v1
	v_add_co_ci_u32_e64 v4, null, s19, 0, s2
	s_and_b32 s1, s1, 0xffff
	s_delay_alu instid0(SALU_CYCLE_1)
	v_add_lshl_u32 v1, v0, s1, 2
	s_lshl_b32 s18, s1, 3
	s_lshl_b32 s19, s1, 2
	s_add_u32 s16, s16, 4
	s_addc_u32 s17, s17, 0
.LBB53_32:                              ; =>This Inner Loop Header: Depth=1
	v_add_co_u32 v5, vcc_lo, s8, v3
	v_add_co_ci_u32_e32 v6, vcc_lo, s9, v4, vcc_lo
	v_add_co_u32 v7, vcc_lo, s12, v3
	v_add_co_ci_u32_e32 v8, vcc_lo, s13, v4, vcc_lo
	v_add_co_u32 v9, vcc_lo, s10, v3
	v_add_co_ci_u32_e32 v10, vcc_lo, s11, v4, vcc_lo
	global_load_b64 v[5:6], v[5:6], off
	global_load_b64 v[7:8], v[7:8], off
	;; [unrolled: 1-line block ×3, first 2 shown]
	v_add_co_u32 v11, vcc_lo, s16, v3
	v_add_co_ci_u32_e32 v12, vcc_lo, s17, v4, vcc_lo
	v_add_co_u32 v3, vcc_lo, v3, s18
	v_add_co_ci_u32_e32 v4, vcc_lo, 0, v4, vcc_lo
	v_cmp_le_i64_e64 s1, s[14:15], v[1:2]
	v_cmp_lt_u64_e64 s2, 0xffff, v[1:2]
	s_delay_alu instid0(VALU_DEP_1) | instskip(NEXT) | instid1(SALU_CYCLE_1)
	s_or_b32 s1, s1, s2
	s_and_b32 s1, exec_lo, s1
	s_delay_alu instid0(SALU_CYCLE_1)
	s_or_b32 s6, s1, s6
	s_waitcnt vmcnt(2)
	v_lshrrev_b32_e32 v13, 16, v5
	s_waitcnt vmcnt(1)
	v_lshrrev_b32_e32 v14, 16, v7
	v_lshrrev_b32_e32 v18, 16, v6
	v_lshrrev_b32_e32 v19, 16, v8
	v_cvt_f32_f16_e32 v5, v5
	v_cvt_f32_f16_e32 v7, v7
	;; [unrolled: 1-line block ×8, first 2 shown]
	v_div_scale_f32 v20, null, v7, v7, v5
	v_div_scale_f32 v22, null, v8, v8, v6
	;; [unrolled: 1-line block ×3, first 2 shown]
	s_delay_alu instid0(VALU_DEP_4) | instskip(NEXT) | instid1(VALU_DEP_4)
	v_div_scale_f32 v27, null, v19, v19, v18
	v_rcp_f32_e32 v26, v20
	s_delay_alu instid0(VALU_DEP_3) | instskip(NEXT) | instid1(VALU_DEP_2)
	v_rcp_f32_e32 v29, v22
	v_rcp_f32_e32 v30, v24
	s_delay_alu instid0(VALU_DEP_1) | instskip(SKIP_4) | instid1(TRANS32_DEP_3)
	v_rcp_f32_e32 v31, v27
	v_div_scale_f32 v21, s3, v5, v7, v5
	v_div_scale_f32 v23, s4, v6, v8, v6
	v_div_scale_f32 v25, vcc_lo, v13, v14, v13
	v_fma_f32 v32, -v20, v26, 1.0
	v_fma_f32 v33, -v22, v29, 1.0
	s_delay_alu instid0(TRANS32_DEP_2) | instskip(NEXT) | instid1(TRANS32_DEP_1)
	v_fma_f32 v34, -v24, v30, 1.0
	v_fma_f32 v35, -v27, v31, 1.0
	v_div_scale_f32 v28, s5, v18, v19, v18
	s_delay_alu instid0(VALU_DEP_4) | instskip(NEXT) | instid1(VALU_DEP_3)
	v_dual_fmac_f32 v26, v32, v26 :: v_dual_fmac_f32 v29, v33, v29
	v_dual_fmac_f32 v30, v34, v30 :: v_dual_fmac_f32 v31, v35, v31
	s_waitcnt vmcnt(0)
	v_lshrrev_b32_e32 v0, 16, v9
	s_delay_alu instid0(VALU_DEP_3) | instskip(NEXT) | instid1(VALU_DEP_3)
	v_dual_mul_f32 v32, v21, v26 :: v_dual_mul_f32 v33, v23, v29
	v_dual_mul_f32 v34, v25, v30 :: v_dual_mul_f32 v35, v28, v31
	v_lshrrev_b32_e32 v16, 16, v10
	s_delay_alu instid0(VALU_DEP_3) | instskip(NEXT) | instid1(VALU_DEP_4)
	v_fma_f32 v36, -v20, v32, v21
	v_fma_f32 v37, -v22, v33, v23
	s_delay_alu instid0(VALU_DEP_4) | instskip(SKIP_2) | instid1(VALU_DEP_4)
	v_fma_f32 v38, -v24, v34, v25
	v_fma_f32 v39, -v27, v35, v28
	v_cvt_f32_f16_e32 v15, v9
	v_dual_fmac_f32 v32, v36, v26 :: v_dual_fmac_f32 v33, v37, v29
	s_delay_alu instid0(VALU_DEP_3) | instskip(SKIP_1) | instid1(VALU_DEP_3)
	v_dual_fmac_f32 v34, v38, v30 :: v_dual_fmac_f32 v35, v39, v31
	v_cvt_f32_f16_e32 v17, v10
	v_fma_f32 v20, -v20, v32, v21
	s_delay_alu instid0(VALU_DEP_4) | instskip(NEXT) | instid1(VALU_DEP_4)
	v_fma_f32 v21, -v22, v33, v23
	v_fma_f32 v22, -v24, v34, v25
	;; [unrolled: 1-line block ×3, first 2 shown]
	v_cvt_f32_f16_e32 v0, v0
	v_cvt_f32_f16_e32 v16, v16
	s_delay_alu instid0(VALU_DEP_4) | instskip(SKIP_3) | instid1(VALU_DEP_2)
	v_div_fmas_f32 v22, v22, v30, v34
	s_mov_b32 vcc_lo, s3
	v_div_fmas_f32 v20, v20, v26, v32
	s_mov_b32 vcc_lo, s5
	v_div_fixup_f32 v13, v22, v14, v13
	v_div_fmas_f32 v23, v23, v31, v35
	s_mov_b32 vcc_lo, s4
	v_div_fixup_f32 v5, v20, v7, v5
	v_div_fmas_f32 v14, v21, v29, v33
	v_add_f32_e32 v0, v13, v0
	v_div_fixup_f32 v7, v23, v19, v18
	v_fma_mix_f32 v13, s20, v13, v9 op_sel:[0,0,1] op_sel_hi:[0,0,1]
	v_add_co_u32 v1, vcc_lo, v1, s19
	v_div_fixup_f32 v6, v14, v8, v6
	v_add_f32_e32 v8, v5, v15
	v_fma_mix_f32 v5, s7, v5, v9 op_sel_hi:[0,0,1]
	v_add_f32_e32 v9, v7, v16
	v_fma_mix_f32 v7, s20, v7, v10 op_sel:[0,0,1] op_sel_hi:[0,0,1]
	v_add_f32_e32 v14, v6, v17
	v_fma_mix_f32 v6, s7, v6, v10 op_sel_hi:[0,0,1]
	v_cndmask_b32_e64 v0, v13, v0, s0
	v_cndmask_b32_e64 v5, v5, v8, s0
	;; [unrolled: 1-line block ×3, first 2 shown]
	v_add_co_ci_u32_e32 v2, vcc_lo, 0, v2, vcc_lo
	v_cndmask_b32_e64 v6, v6, v14, s0
	v_cvt_f16_f32_e32 v0, v0
	v_cvt_f16_f32_e32 v5, v5
	;; [unrolled: 1-line block ×3, first 2 shown]
	s_delay_alu instid0(VALU_DEP_4) | instskip(NEXT) | instid1(VALU_DEP_3)
	v_cvt_f16_f32_e32 v6, v6
	v_pack_b32_f16 v5, v5, v0
	s_delay_alu instid0(VALU_DEP_2)
	v_pack_b32_f16 v6, v6, v7
	global_store_b64 v[11:12], v[5:6], off offset:-4
	s_and_not1_b32 exec_lo, exec_lo, s6
	s_cbranch_execnz .LBB53_32
.LBB53_33:
	s_nop 0
	s_sendmsg sendmsg(MSG_DEALLOC_VGPRS)
	s_endpgm
	.section	.rodata,"a",@progbits
	.p2align	6, 0x0
	.amdhsa_kernel _ZN2at6native12_GLOBAL__N_125multi_tensor_apply_kernelINS1_18TensorListMetadataILi4EEENS1_24PointwiseOpScalarFunctorIN3c104HalfELi4ELi3ELi3EEEJSt7dividesIfEfEEEvT_T0_DpT1_
		.amdhsa_group_segment_fixed_size 0
		.amdhsa_private_segment_fixed_size 0
		.amdhsa_kernarg_size 3312
		.amdhsa_user_sgpr_count 15
		.amdhsa_user_sgpr_dispatch_ptr 0
		.amdhsa_user_sgpr_queue_ptr 0
		.amdhsa_user_sgpr_kernarg_segment_ptr 1
		.amdhsa_user_sgpr_dispatch_id 0
		.amdhsa_user_sgpr_private_segment_size 0
		.amdhsa_wavefront_size32 1
		.amdhsa_uses_dynamic_stack 0
		.amdhsa_enable_private_segment 0
		.amdhsa_system_sgpr_workgroup_id_x 1
		.amdhsa_system_sgpr_workgroup_id_y 0
		.amdhsa_system_sgpr_workgroup_id_z 0
		.amdhsa_system_sgpr_workgroup_info 0
		.amdhsa_system_vgpr_workitem_id 0
		.amdhsa_next_free_vgpr 56
		.amdhsa_next_free_sgpr 27
		.amdhsa_reserve_vcc 1
		.amdhsa_float_round_mode_32 0
		.amdhsa_float_round_mode_16_64 0
		.amdhsa_float_denorm_mode_32 3
		.amdhsa_float_denorm_mode_16_64 3
		.amdhsa_dx10_clamp 1
		.amdhsa_ieee_mode 1
		.amdhsa_fp16_overflow 0
		.amdhsa_workgroup_processor_mode 1
		.amdhsa_memory_ordered 1
		.amdhsa_forward_progress 0
		.amdhsa_shared_vgpr_count 0
		.amdhsa_exception_fp_ieee_invalid_op 0
		.amdhsa_exception_fp_denorm_src 0
		.amdhsa_exception_fp_ieee_div_zero 0
		.amdhsa_exception_fp_ieee_overflow 0
		.amdhsa_exception_fp_ieee_underflow 0
		.amdhsa_exception_fp_ieee_inexact 0
		.amdhsa_exception_int_div_zero 0
	.end_amdhsa_kernel
	.section	.text._ZN2at6native12_GLOBAL__N_125multi_tensor_apply_kernelINS1_18TensorListMetadataILi4EEENS1_24PointwiseOpScalarFunctorIN3c104HalfELi4ELi3ELi3EEEJSt7dividesIfEfEEEvT_T0_DpT1_,"axG",@progbits,_ZN2at6native12_GLOBAL__N_125multi_tensor_apply_kernelINS1_18TensorListMetadataILi4EEENS1_24PointwiseOpScalarFunctorIN3c104HalfELi4ELi3ELi3EEEJSt7dividesIfEfEEEvT_T0_DpT1_,comdat
.Lfunc_end53:
	.size	_ZN2at6native12_GLOBAL__N_125multi_tensor_apply_kernelINS1_18TensorListMetadataILi4EEENS1_24PointwiseOpScalarFunctorIN3c104HalfELi4ELi3ELi3EEEJSt7dividesIfEfEEEvT_T0_DpT1_, .Lfunc_end53-_ZN2at6native12_GLOBAL__N_125multi_tensor_apply_kernelINS1_18TensorListMetadataILi4EEENS1_24PointwiseOpScalarFunctorIN3c104HalfELi4ELi3ELi3EEEJSt7dividesIfEfEEEvT_T0_DpT1_
                                        ; -- End function
	.section	.AMDGPU.csdata,"",@progbits
; Kernel info:
; codeLenInByte = 3092
; NumSgprs: 29
; NumVgprs: 56
; ScratchSize: 0
; MemoryBound: 0
; FloatMode: 240
; IeeeMode: 1
; LDSByteSize: 0 bytes/workgroup (compile time only)
; SGPRBlocks: 3
; VGPRBlocks: 6
; NumSGPRsForWavesPerEU: 29
; NumVGPRsForWavesPerEU: 56
; Occupancy: 16
; WaveLimiterHint : 0
; COMPUTE_PGM_RSRC2:SCRATCH_EN: 0
; COMPUTE_PGM_RSRC2:USER_SGPR: 15
; COMPUTE_PGM_RSRC2:TRAP_HANDLER: 0
; COMPUTE_PGM_RSRC2:TGID_X_EN: 1
; COMPUTE_PGM_RSRC2:TGID_Y_EN: 0
; COMPUTE_PGM_RSRC2:TGID_Z_EN: 0
; COMPUTE_PGM_RSRC2:TIDIG_COMP_CNT: 0
	.section	.text._ZN2at6native12_GLOBAL__N_125multi_tensor_apply_kernelINS1_18TensorListMetadataILi4EEENS1_24PointwiseOpScalarFunctorIN3c108BFloat16ELi4ELi3ELi3EEEJSt7dividesIfEfEEEvT_T0_DpT1_,"axG",@progbits,_ZN2at6native12_GLOBAL__N_125multi_tensor_apply_kernelINS1_18TensorListMetadataILi4EEENS1_24PointwiseOpScalarFunctorIN3c108BFloat16ELi4ELi3ELi3EEEJSt7dividesIfEfEEEvT_T0_DpT1_,comdat
	.globl	_ZN2at6native12_GLOBAL__N_125multi_tensor_apply_kernelINS1_18TensorListMetadataILi4EEENS1_24PointwiseOpScalarFunctorIN3c108BFloat16ELi4ELi3ELi3EEEJSt7dividesIfEfEEEvT_T0_DpT1_ ; -- Begin function _ZN2at6native12_GLOBAL__N_125multi_tensor_apply_kernelINS1_18TensorListMetadataILi4EEENS1_24PointwiseOpScalarFunctorIN3c108BFloat16ELi4ELi3ELi3EEEJSt7dividesIfEfEEEvT_T0_DpT1_
	.p2align	8
	.type	_ZN2at6native12_GLOBAL__N_125multi_tensor_apply_kernelINS1_18TensorListMetadataILi4EEENS1_24PointwiseOpScalarFunctorIN3c108BFloat16ELi4ELi3ELi3EEEJSt7dividesIfEfEEEvT_T0_DpT1_,@function
_ZN2at6native12_GLOBAL__N_125multi_tensor_apply_kernelINS1_18TensorListMetadataILi4EEENS1_24PointwiseOpScalarFunctorIN3c108BFloat16ELi4ELi3ELi3EEEJSt7dividesIfEfEEEvT_T0_DpT1_: ; @_ZN2at6native12_GLOBAL__N_125multi_tensor_apply_kernelINS1_18TensorListMetadataILi4EEENS1_24PointwiseOpScalarFunctorIN3c108BFloat16ELi4ELi3ELi3EEEJSt7dividesIfEfEEEvT_T0_DpT1_
; %bb.0:
	v_mov_b32_e32 v1, s15
	s_add_u32 s2, s0, s15
	s_mul_hi_u32 s3, s15, 3
	s_mul_i32 s15, s15, 3
	s_addc_u32 s4, s1, 0
	global_load_u8 v1, v1, s[0:1] offset:1440
	s_add_u32 s2, s2, s15
	s_addc_u32 s3, s4, s3
	s_mov_b32 s21, 0
	s_load_b32 s2, s[2:3], 0x6e0
	s_mov_b32 s7, s21
	s_waitcnt vmcnt(0)
	v_readfirstlane_b32 s3, v1
	s_delay_alu instid0(VALU_DEP_1)
	s_lshl_b32 s4, s3, 3
	s_waitcnt lgkmcnt(0)
	s_ashr_i32 s3, s2, 31
	s_clause 0x3
	s_load_b64 s[8:9], s[0:1], s4 offset:0x120
	s_load_b64 s[10:11], s[0:1], s4 offset:0x0
	;; [unrolled: 1-line block ×4, first 2 shown]
	s_lshl_b64 s[18:19], s[2:3], 17
	s_load_b64 s[4:5], s[0:1], s4 offset:0x480
	s_waitcnt lgkmcnt(0)
	s_add_u32 s6, s8, s18
	s_and_b32 s20, s10, 7
	s_and_b32 s6, s6, 7
	s_delay_alu instid0(SALU_CYCLE_1) | instskip(SKIP_2) | instid1(SALU_CYCLE_1)
	s_cmp_eq_u64 s[6:7], 0
	s_cselect_b32 s6, -1, 0
	s_add_u32 s7, s12, s18
	s_or_b32 s7, s14, s7
	s_delay_alu instid0(SALU_CYCLE_1) | instskip(NEXT) | instid1(SALU_CYCLE_1)
	s_and_b32 s7, s7, 7
	s_cmp_eq_u32 s7, 0
	s_load_b32 s7, s[0:1], 0xbec
	s_cselect_b32 s16, -1, 0
	s_lshl_b64 s[2:3], s[2:3], 16
	s_and_b32 s6, s16, s6
	s_sub_u32 s16, s4, s2
	s_subb_u32 s17, s5, s3
	s_and_b32 s2, s4, 3
	s_mov_b32 s3, s21
	s_delay_alu instid0(SALU_CYCLE_1) | instskip(NEXT) | instid1(SALU_CYCLE_1)
	s_or_b64 s[2:3], s[20:21], s[2:3]
	s_cmp_eq_u64 s[2:3], 0
	s_cselect_b32 s2, -1, 0
	s_delay_alu instid0(SALU_CYCLE_1) | instskip(NEXT) | instid1(SALU_CYCLE_1)
	s_and_b32 s2, s6, s2
	s_and_b32 vcc_lo, exec_lo, s2
	s_mov_b32 s2, -1
	s_cbranch_vccnz .LBB54_29
; %bb.1:
	v_cmp_lt_i64_e64 s2, s[16:17], 1
	s_delay_alu instid0(VALU_DEP_1)
	s_and_b32 vcc_lo, exec_lo, s2
	s_cbranch_vccnz .LBB54_28
; %bb.2:
	s_load_b32 s3, s[0:1], 0xbfc
	v_dual_mov_b32 v18, 0 :: v_dual_lshlrev_b32 v17, 1, v0
	v_cmp_gt_u64_e64 s4, 0x10000, s[16:17]
	s_waitcnt lgkmcnt(0)
	v_cmp_eq_f32_e64 s2, s7, 1.0
	s_mov_b64 s[22:23], 0
	v_add_co_u32 v1, s5, s10, v17
	s_delay_alu instid0(VALU_DEP_1)
	v_add_co_ci_u32_e64 v2, null, s11, 0, s5
	v_add_co_u32 v3, s5, s8, v17
	v_add_co_u32 v5, s6, s12, v17
	v_add_co_ci_u32_e64 v4, null, s9, 0, s5
	v_add_co_ci_u32_e64 v6, null, s13, 0, s6
	v_add_co_u32 v7, s6, s14, v17
	s_and_b32 s3, s3, 0xffff
	s_and_b32 s4, s4, exec_lo
	v_mad_u64_u32 v[15:16], null, s3, 6, v[17:18]
	s_cselect_b32 s21, s17, 0
	s_cselect_b32 s20, s16, 0x10000
	s_mul_i32 s5, s3, 3
	s_lshl_b32 s24, s3, 2
	v_add_co_ci_u32_e64 v8, null, s15, 0, s6
	s_delay_alu instid0(VALU_DEP_2) | instskip(NEXT) | instid1(VALU_DEP_3)
	v_add_co_u32 v9, vcc_lo, s10, v15
	v_add_co_ci_u32_e32 v10, vcc_lo, s11, v16, vcc_lo
	v_add_co_u32 v11, vcc_lo, s8, v15
	v_add_co_u32 v26, s6, s24, v17
	v_add_co_u32 v17, s5, s5, v0
	v_add_co_ci_u32_e32 v12, vcc_lo, s9, v16, vcc_lo
	v_add_co_ci_u32_e64 v18, null, 0, 0, s5
	v_add_co_u32 v25, s5, v0, s3
	v_add_co_u32 v13, vcc_lo, s12, v15
	v_add_co_ci_u32_e32 v14, vcc_lo, s13, v16, vcc_lo
	v_add_co_u32 v15, vcc_lo, s14, v15
	v_add_co_ci_u32_e64 v27, null, 0, 0, s6
	v_lshlrev_b32_e32 v37, 1, v25
	s_lshl_b32 s4, s3, 1
	v_add_co_ci_u32_e32 v16, vcc_lo, s15, v16, vcc_lo
	v_add_co_u32 v19, vcc_lo, s10, v26
	v_add_co_u32 v29, s4, s4, v0
	v_add_co_ci_u32_e32 v20, vcc_lo, s11, v27, vcc_lo
	v_add_co_u32 v21, vcc_lo, s8, v26
	v_add_co_ci_u32_e64 v30, null, 0, 0, s4
	v_add_co_u32 v31, s4, s10, v37
	v_add_co_ci_u32_e32 v22, vcc_lo, s9, v27, vcc_lo
	v_add_co_ci_u32_e64 v32, null, s11, 0, s4
	v_add_co_u32 v33, s4, s8, v37
	v_add_co_u32 v23, vcc_lo, s12, v26
	v_add_co_ci_u32_e64 v34, null, s9, 0, s4
	v_add_co_u32 v35, s4, s12, v37
	v_add_co_ci_u32_e32 v24, vcc_lo, s13, v27, vcc_lo
	v_add_co_u32 v26, vcc_lo, s14, v26
	v_add_co_ci_u32_e64 v36, null, s13, 0, s4
	v_add_co_u32 v37, s4, s14, v37
	v_add_co_ci_u32_e32 v27, vcc_lo, s15, v27, vcc_lo
	v_add_co_ci_u32_e64 v28, null, 0, 0, s5
	v_add_co_ci_u32_e64 v38, null, s15, 0, s4
	s_lshl_b32 s25, s3, 3
	s_branch .LBB54_4
.LBB54_3:                               ;   in Loop: Header=BB54_4 Depth=1
	s_or_b32 exec_lo, exec_lo, s3
	v_add_co_u32 v1, vcc_lo, v1, s25
	v_add_co_ci_u32_e32 v2, vcc_lo, 0, v2, vcc_lo
	v_add_co_u32 v3, vcc_lo, v3, s25
	v_add_co_ci_u32_e32 v4, vcc_lo, 0, v4, vcc_lo
	;; [unrolled: 2-line block ×13, first 2 shown]
	s_add_u32 s22, s22, s24
	v_add_co_u32 v33, vcc_lo, v33, s25
	s_addc_u32 s23, s23, 0
	v_add_co_ci_u32_e32 v34, vcc_lo, 0, v34, vcc_lo
	v_cmp_lt_i64_e64 s3, s[22:23], s[16:17]
	v_cmp_gt_u64_e64 s4, 0x10000, s[22:23]
	v_add_co_u32 v35, vcc_lo, v35, s25
	v_add_co_ci_u32_e32 v36, vcc_lo, 0, v36, vcc_lo
	v_add_co_u32 v37, vcc_lo, v37, s25
	v_add_co_ci_u32_e32 v38, vcc_lo, 0, v38, vcc_lo
	s_and_b32 s3, s3, s4
	s_delay_alu instid0(SALU_CYCLE_1)
	s_and_b32 vcc_lo, exec_lo, s3
	s_cbranch_vccz .LBB54_28
.LBB54_4:                               ; =>This Inner Loop Header: Depth=1
	s_waitcnt vmcnt(1)
	v_add_co_u32 v39, s3, v0, s22
	s_delay_alu instid0(VALU_DEP_1) | instskip(SKIP_2) | instid1(VALU_DEP_2)
	v_add_co_ci_u32_e64 v40, null, 0, s23, s3
	s_waitcnt vmcnt(0)
	v_dual_mov_b32 v42, 0 :: v_dual_mov_b32 v43, 0
	v_cmp_gt_u64_e32 vcc_lo, s[20:21], v[39:40]
	s_and_saveexec_b32 s4, vcc_lo
	s_cbranch_execz .LBB54_6
; %bb.5:                                ;   in Loop: Header=BB54_4 Depth=1
	v_add_co_u32 v39, s3, v1, s18
	s_delay_alu instid0(VALU_DEP_1) | instskip(SKIP_1) | instid1(VALU_DEP_1)
	v_add_co_ci_u32_e64 v40, s3, s19, v2, s3
	v_add_co_u32 v43, s3, v3, s18
	v_add_co_ci_u32_e64 v44, s3, s19, v4, s3
	global_load_u16 v42, v[39:40], off
	global_load_u16 v43, v[43:44], off
.LBB54_6:                               ;   in Loop: Header=BB54_4 Depth=1
	s_or_b32 exec_lo, exec_lo, s4
	v_dual_mov_b32 v39, 0 :: v_dual_mov_b32 v46, 0
	s_and_saveexec_b32 s4, vcc_lo
	s_cbranch_execz .LBB54_8
; %bb.7:                                ;   in Loop: Header=BB54_4 Depth=1
	v_add_co_u32 v40, s3, v5, s18
	s_delay_alu instid0(VALU_DEP_1)
	v_add_co_ci_u32_e64 v41, s3, s19, v6, s3
	global_load_u16 v46, v[40:41], off
.LBB54_8:                               ;   in Loop: Header=BB54_4 Depth=1
	s_or_b32 exec_lo, exec_lo, s4
	v_add_co_u32 v40, s3, v25, s22
	s_delay_alu instid0(VALU_DEP_1) | instskip(SKIP_1) | instid1(VALU_DEP_2)
	v_add_co_ci_u32_e64 v41, s3, s23, v28, s3
	v_mov_b32_e32 v44, 0
	v_cmp_gt_u64_e64 s3, s[20:21], v[40:41]
	s_delay_alu instid0(VALU_DEP_1)
	s_and_saveexec_b32 s5, s3
	s_cbranch_execz .LBB54_10
; %bb.9:                                ;   in Loop: Header=BB54_4 Depth=1
	v_add_co_u32 v39, s4, v31, s18
	s_delay_alu instid0(VALU_DEP_1) | instskip(SKIP_1) | instid1(VALU_DEP_1)
	v_add_co_ci_u32_e64 v40, s4, s19, v32, s4
	v_add_co_u32 v44, s4, v33, s18
	v_add_co_ci_u32_e64 v45, s4, s19, v34, s4
	global_load_u16 v39, v[39:40], off
	global_load_u16 v44, v[44:45], off
.LBB54_10:                              ;   in Loop: Header=BB54_4 Depth=1
	s_or_b32 exec_lo, exec_lo, s5
	v_mov_b32_e32 v40, 0
	v_mov_b32_e32 v48, 0
	s_and_saveexec_b32 s5, s3
	s_cbranch_execz .LBB54_12
; %bb.11:                               ;   in Loop: Header=BB54_4 Depth=1
	v_add_co_u32 v47, s4, v35, s18
	s_delay_alu instid0(VALU_DEP_1)
	v_add_co_ci_u32_e64 v48, s4, s19, v36, s4
	global_load_u16 v48, v[47:48], off
.LBB54_12:                              ;   in Loop: Header=BB54_4 Depth=1
	s_or_b32 exec_lo, exec_lo, s5
	v_add_co_u32 v49, s4, v29, s22
	s_delay_alu instid0(VALU_DEP_1) | instskip(SKIP_1) | instid1(VALU_DEP_2)
	v_add_co_ci_u32_e64 v50, s4, s23, v30, s4
	v_mov_b32_e32 v45, 0
	v_cmp_gt_u64_e64 s4, s[20:21], v[49:50]
	s_delay_alu instid0(VALU_DEP_1)
	s_and_saveexec_b32 s6, s4
	s_cbranch_execz .LBB54_14
; %bb.13:                               ;   in Loop: Header=BB54_4 Depth=1
	v_add_co_u32 v40, s5, v19, s18
	s_delay_alu instid0(VALU_DEP_1) | instskip(SKIP_1) | instid1(VALU_DEP_1)
	v_add_co_ci_u32_e64 v41, s5, s19, v20, s5
	v_add_co_u32 v49, s5, v21, s18
	v_add_co_ci_u32_e64 v50, s5, s19, v22, s5
	global_load_u16 v40, v[40:41], off
	global_load_u16 v45, v[49:50], off
.LBB54_14:                              ;   in Loop: Header=BB54_4 Depth=1
	s_or_b32 exec_lo, exec_lo, s6
	v_mov_b32_e32 v41, 0
	v_mov_b32_e32 v49, 0
	s_and_saveexec_b32 s6, s4
	s_cbranch_execz .LBB54_16
; %bb.15:                               ;   in Loop: Header=BB54_4 Depth=1
	v_add_co_u32 v49, s5, v23, s18
	s_delay_alu instid0(VALU_DEP_1)
	v_add_co_ci_u32_e64 v50, s5, s19, v24, s5
	global_load_u16 v49, v[49:50], off
.LBB54_16:                              ;   in Loop: Header=BB54_4 Depth=1
	s_or_b32 exec_lo, exec_lo, s6
	v_add_co_u32 v50, s5, v17, s22
	s_delay_alu instid0(VALU_DEP_1) | instskip(SKIP_1) | instid1(VALU_DEP_2)
	v_add_co_ci_u32_e64 v51, s5, s23, v18, s5
	v_mov_b32_e32 v47, 0
	v_cmp_gt_u64_e64 s5, s[20:21], v[50:51]
	s_delay_alu instid0(VALU_DEP_1)
	s_and_saveexec_b32 s26, s5
	s_cbranch_execnz .LBB54_22
; %bb.17:                               ;   in Loop: Header=BB54_4 Depth=1
	s_or_b32 exec_lo, exec_lo, s26
	v_mov_b32_e32 v50, 0
	s_and_saveexec_b32 s26, s5
	s_cbranch_execnz .LBB54_23
.LBB54_18:                              ;   in Loop: Header=BB54_4 Depth=1
	s_or_b32 exec_lo, exec_lo, s26
	s_and_saveexec_b32 s6, vcc_lo
	s_cbranch_execnz .LBB54_24
.LBB54_19:                              ;   in Loop: Header=BB54_4 Depth=1
	s_or_b32 exec_lo, exec_lo, s6
	s_and_saveexec_b32 s6, s3
	s_cbranch_execnz .LBB54_25
.LBB54_20:                              ;   in Loop: Header=BB54_4 Depth=1
	s_or_b32 exec_lo, exec_lo, s6
	s_and_saveexec_b32 s3, s4
	s_cbranch_execnz .LBB54_26
.LBB54_21:                              ;   in Loop: Header=BB54_4 Depth=1
	s_or_b32 exec_lo, exec_lo, s3
	s_and_saveexec_b32 s3, s5
	s_cbranch_execz .LBB54_3
	s_branch .LBB54_27
.LBB54_22:                              ;   in Loop: Header=BB54_4 Depth=1
	v_add_co_u32 v50, s6, v9, s18
	s_delay_alu instid0(VALU_DEP_1) | instskip(SKIP_1) | instid1(VALU_DEP_1)
	v_add_co_ci_u32_e64 v51, s6, s19, v10, s6
	v_add_co_u32 v52, s6, v11, s18
	v_add_co_ci_u32_e64 v53, s6, s19, v12, s6
	global_load_u16 v41, v[50:51], off
	global_load_u16 v47, v[52:53], off
	s_or_b32 exec_lo, exec_lo, s26
	v_mov_b32_e32 v50, 0
	s_and_saveexec_b32 s26, s5
	s_cbranch_execz .LBB54_18
.LBB54_23:                              ;   in Loop: Header=BB54_4 Depth=1
	v_add_co_u32 v50, s6, v13, s18
	s_delay_alu instid0(VALU_DEP_1)
	v_add_co_ci_u32_e64 v51, s6, s19, v14, s6
	global_load_u16 v50, v[50:51], off
	s_or_b32 exec_lo, exec_lo, s26
	s_and_saveexec_b32 s6, vcc_lo
	s_cbranch_execz .LBB54_19
.LBB54_24:                              ;   in Loop: Header=BB54_4 Depth=1
	s_waitcnt vmcnt(0)
	v_lshlrev_b32_e32 v43, 16, v43
	v_lshlrev_b32_e32 v46, 16, v46
	;; [unrolled: 1-line block ×3, first 2 shown]
	s_delay_alu instid0(VALU_DEP_2) | instskip(NEXT) | instid1(VALU_DEP_1)
	v_div_scale_f32 v51, null, v46, v46, v43
	v_rcp_f32_e32 v52, v51
	s_waitcnt_depctr 0xfff
	v_fma_f32 v53, -v51, v52, 1.0
	s_delay_alu instid0(VALU_DEP_1) | instskip(SKIP_1) | instid1(VALU_DEP_1)
	v_fmac_f32_e32 v52, v53, v52
	v_div_scale_f32 v54, vcc_lo, v43, v46, v43
	v_mul_f32_e32 v53, v54, v52
	s_delay_alu instid0(VALU_DEP_1) | instskip(NEXT) | instid1(VALU_DEP_1)
	v_fma_f32 v55, -v51, v53, v54
	v_fmac_f32_e32 v53, v55, v52
	s_delay_alu instid0(VALU_DEP_1) | instskip(NEXT) | instid1(VALU_DEP_1)
	v_fma_f32 v51, -v51, v53, v54
	v_div_fmas_f32 v51, v51, v52, v53
	s_delay_alu instid0(VALU_DEP_1) | instskip(NEXT) | instid1(VALU_DEP_1)
	v_div_fixup_f32 v43, v51, v46, v43
	v_add_f32_e32 v46, v43, v42
	v_fmac_f32_e32 v42, s7, v43
	s_delay_alu instid0(VALU_DEP_1) | instskip(NEXT) | instid1(VALU_DEP_1)
	v_cndmask_b32_e64 v42, v42, v46, s2
	v_bfe_u32 v43, v42, 16, 1
	v_cmp_o_f32_e32 vcc_lo, v42, v42
	s_delay_alu instid0(VALU_DEP_2) | instskip(NEXT) | instid1(VALU_DEP_1)
	v_add3_u32 v43, v42, v43, 0x7fff
	v_lshrrev_b32_e32 v43, 16, v43
	s_delay_alu instid0(VALU_DEP_1)
	v_cndmask_b32_e32 v46, 0x7fc0, v43, vcc_lo
	v_add_co_u32 v42, vcc_lo, v7, s18
	v_add_co_ci_u32_e32 v43, vcc_lo, s19, v8, vcc_lo
	global_store_b16 v[42:43], v46, off
	s_or_b32 exec_lo, exec_lo, s6
	s_and_saveexec_b32 s6, s3
	s_cbranch_execz .LBB54_20
.LBB54_25:                              ;   in Loop: Header=BB54_4 Depth=1
	s_waitcnt vmcnt(0)
	v_lshlrev_b32_e32 v42, 16, v44
	v_lshlrev_b32_e32 v43, 16, v48
	v_lshlrev_b32_e32 v39, 16, v39
	s_delay_alu instid0(VALU_DEP_2) | instskip(NEXT) | instid1(VALU_DEP_1)
	v_div_scale_f32 v44, null, v43, v43, v42
	v_rcp_f32_e32 v46, v44
	s_waitcnt_depctr 0xfff
	v_fma_f32 v48, -v44, v46, 1.0
	s_delay_alu instid0(VALU_DEP_1) | instskip(SKIP_1) | instid1(VALU_DEP_1)
	v_fmac_f32_e32 v46, v48, v46
	v_div_scale_f32 v51, vcc_lo, v42, v43, v42
	v_mul_f32_e32 v48, v51, v46
	s_delay_alu instid0(VALU_DEP_1) | instskip(NEXT) | instid1(VALU_DEP_1)
	v_fma_f32 v52, -v44, v48, v51
	v_fmac_f32_e32 v48, v52, v46
	s_delay_alu instid0(VALU_DEP_1) | instskip(NEXT) | instid1(VALU_DEP_1)
	v_fma_f32 v44, -v44, v48, v51
	v_div_fmas_f32 v44, v44, v46, v48
	s_delay_alu instid0(VALU_DEP_1) | instskip(NEXT) | instid1(VALU_DEP_1)
	v_div_fixup_f32 v42, v44, v43, v42
	v_add_f32_e32 v43, v42, v39
	v_fmac_f32_e32 v39, s7, v42
	s_delay_alu instid0(VALU_DEP_1) | instskip(NEXT) | instid1(VALU_DEP_1)
	v_cndmask_b32_e64 v39, v39, v43, s2
	v_bfe_u32 v42, v39, 16, 1
	s_delay_alu instid0(VALU_DEP_1) | instskip(NEXT) | instid1(VALU_DEP_1)
	v_add3_u32 v42, v39, v42, 0x7fff
	v_lshrrev_b32_e32 v44, 16, v42
	v_add_co_u32 v42, vcc_lo, v37, s18
	v_add_co_ci_u32_e32 v43, vcc_lo, s19, v38, vcc_lo
	v_cmp_o_f32_e32 vcc_lo, v39, v39
	s_delay_alu instid0(VALU_DEP_4)
	v_cndmask_b32_e32 v39, 0x7fc0, v44, vcc_lo
	global_store_b16 v[42:43], v39, off
	s_or_b32 exec_lo, exec_lo, s6
	s_and_saveexec_b32 s3, s4
	s_cbranch_execz .LBB54_21
.LBB54_26:                              ;   in Loop: Header=BB54_4 Depth=1
	s_waitcnt vmcnt(0)
	v_lshlrev_b32_e32 v39, 16, v45
	v_lshlrev_b32_e32 v42, 16, v49
	;; [unrolled: 1-line block ×3, first 2 shown]
	s_delay_alu instid0(VALU_DEP_2) | instskip(NEXT) | instid1(VALU_DEP_1)
	v_div_scale_f32 v43, null, v42, v42, v39
	v_rcp_f32_e32 v44, v43
	s_waitcnt_depctr 0xfff
	v_fma_f32 v45, -v43, v44, 1.0
	s_delay_alu instid0(VALU_DEP_1) | instskip(SKIP_1) | instid1(VALU_DEP_1)
	v_fmac_f32_e32 v44, v45, v44
	v_div_scale_f32 v46, vcc_lo, v39, v42, v39
	v_mul_f32_e32 v45, v46, v44
	s_delay_alu instid0(VALU_DEP_1) | instskip(NEXT) | instid1(VALU_DEP_1)
	v_fma_f32 v48, -v43, v45, v46
	v_fmac_f32_e32 v45, v48, v44
	s_delay_alu instid0(VALU_DEP_1) | instskip(NEXT) | instid1(VALU_DEP_1)
	v_fma_f32 v43, -v43, v45, v46
	v_div_fmas_f32 v43, v43, v44, v45
	s_delay_alu instid0(VALU_DEP_1) | instskip(NEXT) | instid1(VALU_DEP_1)
	v_div_fixup_f32 v39, v43, v42, v39
	v_add_f32_e32 v42, v39, v40
	v_fmac_f32_e32 v40, s7, v39
	s_delay_alu instid0(VALU_DEP_1) | instskip(NEXT) | instid1(VALU_DEP_1)
	v_cndmask_b32_e64 v42, v40, v42, s2
	v_bfe_u32 v39, v42, 16, 1
	s_delay_alu instid0(VALU_DEP_1) | instskip(NEXT) | instid1(VALU_DEP_1)
	v_add3_u32 v39, v42, v39, 0x7fff
	v_lshrrev_b32_e32 v43, 16, v39
	v_add_co_u32 v39, vcc_lo, v26, s18
	v_add_co_ci_u32_e32 v40, vcc_lo, s19, v27, vcc_lo
	v_cmp_o_f32_e32 vcc_lo, v42, v42
	s_delay_alu instid0(VALU_DEP_4)
	v_cndmask_b32_e32 v42, 0x7fc0, v43, vcc_lo
	global_store_b16 v[39:40], v42, off
	s_or_b32 exec_lo, exec_lo, s3
	s_and_saveexec_b32 s3, s5
	s_cbranch_execz .LBB54_3
.LBB54_27:                              ;   in Loop: Header=BB54_4 Depth=1
	s_waitcnt vmcnt(0)
	v_lshlrev_b32_e32 v39, 16, v47
	v_lshlrev_b32_e32 v40, 16, v50
	;; [unrolled: 1-line block ×3, first 2 shown]
	s_delay_alu instid0(VALU_DEP_2) | instskip(NEXT) | instid1(VALU_DEP_1)
	v_div_scale_f32 v42, null, v40, v40, v39
	v_rcp_f32_e32 v43, v42
	s_waitcnt_depctr 0xfff
	v_fma_f32 v44, -v42, v43, 1.0
	s_delay_alu instid0(VALU_DEP_1) | instskip(SKIP_1) | instid1(VALU_DEP_1)
	v_fmac_f32_e32 v43, v44, v43
	v_div_scale_f32 v45, vcc_lo, v39, v40, v39
	v_mul_f32_e32 v44, v45, v43
	s_delay_alu instid0(VALU_DEP_1) | instskip(NEXT) | instid1(VALU_DEP_1)
	v_fma_f32 v46, -v42, v44, v45
	v_fmac_f32_e32 v44, v46, v43
	s_delay_alu instid0(VALU_DEP_1) | instskip(NEXT) | instid1(VALU_DEP_1)
	v_fma_f32 v42, -v42, v44, v45
	v_div_fmas_f32 v42, v42, v43, v44
	s_delay_alu instid0(VALU_DEP_1) | instskip(NEXT) | instid1(VALU_DEP_1)
	v_div_fixup_f32 v39, v42, v40, v39
	v_dual_add_f32 v40, v39, v41 :: v_dual_fmac_f32 v41, s7, v39
	s_delay_alu instid0(VALU_DEP_1) | instskip(NEXT) | instid1(VALU_DEP_1)
	v_cndmask_b32_e64 v41, v41, v40, s2
	v_bfe_u32 v39, v41, 16, 1
	s_delay_alu instid0(VALU_DEP_1) | instskip(NEXT) | instid1(VALU_DEP_1)
	v_add3_u32 v39, v41, v39, 0x7fff
	v_lshrrev_b32_e32 v42, 16, v39
	v_add_co_u32 v39, vcc_lo, v15, s18
	v_add_co_ci_u32_e32 v40, vcc_lo, s19, v16, vcc_lo
	v_cmp_o_f32_e32 vcc_lo, v41, v41
	s_delay_alu instid0(VALU_DEP_4)
	v_cndmask_b32_e32 v41, 0x7fc0, v42, vcc_lo
	global_store_b16 v[39:40], v41, off
	s_branch .LBB54_3
.LBB54_28:
	s_mov_b32 s2, 0
.LBB54_29:
	s_delay_alu instid0(SALU_CYCLE_1)
	s_and_not1_b32 vcc_lo, exec_lo, s2
	s_cbranch_vccnz .LBB54_33
; %bb.30:
	v_dual_mov_b32 v2, 0 :: v_dual_lshlrev_b32 v1, 2, v0
	s_mov_b32 s20, 0
	s_mov_b32 s2, exec_lo
	s_delay_alu instid0(VALU_DEP_1)
	v_cmpx_gt_i64_e64 s[16:17], v[1:2]
	s_cbranch_execz .LBB54_33
; %bb.31:
	s_load_b32 s1, s[0:1], 0xbfc
	v_lshlrev_b32_e32 v1, 3, v0
	s_waitcnt lgkmcnt(0)
	v_cmp_eq_f32_e64 s0, s7, 1.0
	s_delay_alu instid0(VALU_DEP_2) | instskip(NEXT) | instid1(VALU_DEP_1)
	v_add_co_u32 v3, s2, s18, v1
	v_add_co_ci_u32_e64 v4, null, s19, 0, s2
	s_and_b32 s1, s1, 0xffff
	s_delay_alu instid0(SALU_CYCLE_1)
	v_add_lshl_u32 v1, v0, s1, 2
	s_lshl_b32 s18, s1, 3
	s_lshl_b32 s19, s1, 2
.LBB54_32:                              ; =>This Inner Loop Header: Depth=1
	v_add_co_u32 v5, vcc_lo, s8, v3
	v_add_co_ci_u32_e32 v6, vcc_lo, s9, v4, vcc_lo
	v_add_co_u32 v7, vcc_lo, s12, v3
	v_add_co_ci_u32_e32 v8, vcc_lo, s13, v4, vcc_lo
	;; [unrolled: 2-line block ×3, first 2 shown]
	global_load_b64 v[5:6], v[5:6], off
	global_load_b64 v[7:8], v[7:8], off
	;; [unrolled: 1-line block ×3, first 2 shown]
	v_add_co_u32 v11, vcc_lo, s14, v3
	v_add_co_ci_u32_e32 v12, vcc_lo, s15, v4, vcc_lo
	v_add_co_u32 v3, vcc_lo, v3, s18
	v_add_co_ci_u32_e32 v4, vcc_lo, 0, v4, vcc_lo
	v_cmp_le_i64_e64 s1, s[16:17], v[1:2]
	v_cmp_lt_u64_e64 s2, 0xffff, v[1:2]
	v_add_co_u32 v1, s3, v1, s19
	s_delay_alu instid0(VALU_DEP_2) | instskip(NEXT) | instid1(SALU_CYCLE_1)
	s_or_b32 s1, s1, s2
	s_and_b32 s1, exec_lo, s1
	s_delay_alu instid0(SALU_CYCLE_1)
	s_or_b32 s20, s1, s20
	s_waitcnt vmcnt(2)
	v_and_b32_e32 v16, 0xffff0000, v5
	s_waitcnt vmcnt(1)
	v_and_b32_e32 v17, 0xffff0000, v7
	v_lshlrev_b32_e32 v13, 16, v5
	v_alignbit_b32 v5, v6, v5, 16
	s_delay_alu instid0(VALU_DEP_3) | instskip(NEXT) | instid1(VALU_DEP_1)
	v_div_scale_f32 v20, null, v17, v17, v16
	v_rcp_f32_e32 v25, v20
	s_waitcnt_depctr 0xfff
	v_fma_f32 v31, -v20, v25, 1.0
	v_lshlrev_b32_e32 v14, 16, v7
	v_alignbit_b32 v7, v8, v7, 16
	s_delay_alu instid0(VALU_DEP_3) | instskip(NEXT) | instid1(VALU_DEP_3)
	v_dual_fmac_f32 v25, v31, v25 :: v_dual_and_b32 v8, 0xffff0000, v8
	v_div_scale_f32 v18, null, v14, v14, v13
	s_delay_alu instid0(VALU_DEP_3) | instskip(NEXT) | instid1(VALU_DEP_2)
	v_and_b32_e32 v7, 0xffff0000, v7
	v_rcp_f32_e32 v24, v18
	s_waitcnt_depctr 0xfff
	v_fma_f32 v30, -v18, v24, 1.0
	s_delay_alu instid0(VALU_DEP_1) | instskip(SKIP_1) | instid1(VALU_DEP_1)
	v_fmac_f32_e32 v24, v30, v24
	v_div_scale_f32 v19, vcc_lo, v13, v14, v13
	v_mul_f32_e32 v31, v19, v24
	v_div_scale_f32 v21, s4, v16, v17, v16
	s_delay_alu instid0(VALU_DEP_2) | instskip(NEXT) | instid1(VALU_DEP_1)
	v_fma_f32 v33, -v18, v31, v19
	v_fmac_f32_e32 v31, v33, v24
	s_delay_alu instid0(VALU_DEP_1) | instskip(NEXT) | instid1(VALU_DEP_1)
	v_fma_f32 v18, -v18, v31, v19
	v_div_fmas_f32 v18, v18, v24, v31
	s_mov_b32 vcc_lo, s4
	s_delay_alu instid0(VALU_DEP_1) | instskip(SKIP_1) | instid1(VALU_DEP_1)
	v_div_fixup_f32 v13, v18, v14, v13
	v_and_b32_e32 v5, 0xffff0000, v5
	v_div_scale_f32 v28, s6, v5, v7, v5
	v_and_b32_e32 v6, 0xffff0000, v6
	s_delay_alu instid0(VALU_DEP_1) | instskip(SKIP_1) | instid1(VALU_DEP_2)
	v_div_scale_f32 v22, null, v8, v8, v6
	v_div_scale_f32 v23, s5, v6, v8, v6
	v_rcp_f32_e32 v27, v22
	s_waitcnt_depctr 0xfff
	v_fma_f32 v32, -v22, v27, 1.0
	s_waitcnt vmcnt(0)
	s_delay_alu instid0(VALU_DEP_1) | instskip(SKIP_1) | instid1(VALU_DEP_2)
	v_dual_fmac_f32 v27, v32, v27 :: v_dual_lshlrev_b32 v0, 16, v9
	v_mul_f32_e32 v32, v21, v25
	v_dual_add_f32 v18, v13, v0 :: v_dual_and_b32 v15, 0xffff0000, v9
	v_alignbit_b32 v9, v10, v9, 16
	v_fmac_f32_e32 v0, s7, v13
	s_delay_alu instid0(VALU_DEP_4) | instskip(NEXT) | instid1(VALU_DEP_2)
	v_fma_f32 v34, -v20, v32, v21
	v_cndmask_b32_e64 v0, v0, v18, s0
	s_delay_alu instid0(VALU_DEP_2) | instskip(SKIP_1) | instid1(VALU_DEP_2)
	v_fmac_f32_e32 v32, v34, v25
	v_div_scale_f32 v26, null, v7, v7, v5
	v_fma_f32 v19, -v20, v32, v21
	s_delay_alu instid0(VALU_DEP_2) | instskip(NEXT) | instid1(VALU_DEP_1)
	v_rcp_f32_e32 v29, v26
	v_div_fmas_f32 v19, v19, v25, v32
	s_mov_b32 vcc_lo, s6
	s_delay_alu instid0(VALU_DEP_1) | instskip(SKIP_2) | instid1(VALU_DEP_1)
	v_div_fixup_f32 v16, v19, v17, v16
	s_waitcnt_depctr 0xfff
	v_fma_f32 v30, -v26, v29, 1.0
	v_dual_fmac_f32 v29, v30, v29 :: v_dual_and_b32 v10, 0xffff0000, v10
	s_delay_alu instid0(VALU_DEP_1) | instskip(NEXT) | instid1(VALU_DEP_1)
	v_dual_mul_f32 v30, v23, v27 :: v_dual_mul_f32 v35, v28, v29
	v_fma_f32 v36, -v22, v30, v23
	v_and_b32_e32 v9, 0xffff0000, v9
	s_delay_alu instid0(VALU_DEP_3) | instskip(NEXT) | instid1(VALU_DEP_1)
	v_fma_f32 v33, -v26, v35, v28
	v_dual_fmac_f32 v30, v36, v27 :: v_dual_fmac_f32 v35, v33, v29
	s_delay_alu instid0(VALU_DEP_1) | instskip(NEXT) | instid1(VALU_DEP_2)
	v_fma_f32 v20, -v22, v30, v23
	v_fma_f32 v21, -v26, v35, v28
	s_delay_alu instid0(VALU_DEP_1) | instskip(SKIP_1) | instid1(VALU_DEP_3)
	v_div_fmas_f32 v14, v21, v29, v35
	s_mov_b32 vcc_lo, s5
	v_div_fmas_f32 v17, v20, v27, v30
	v_cmp_o_f32_e32 vcc_lo, v0, v0
	s_delay_alu instid0(VALU_DEP_3) | instskip(SKIP_1) | instid1(VALU_DEP_4)
	v_div_fixup_f32 v5, v14, v7, v5
	v_add_f32_e32 v7, v16, v15
	v_div_fixup_f32 v6, v17, v8, v6
	s_delay_alu instid0(VALU_DEP_3) | instskip(SKIP_1) | instid1(VALU_DEP_3)
	v_dual_fmac_f32 v15, s7, v16 :: v_dual_add_f32 v8, v5, v9
	v_fmac_f32_e32 v9, s7, v5
	v_add_f32_e32 v5, v6, v10
	v_fmac_f32_e32 v10, s7, v6
	s_delay_alu instid0(VALU_DEP_4) | instskip(SKIP_1) | instid1(VALU_DEP_3)
	v_cndmask_b32_e64 v6, v15, v7, s0
	v_bfe_u32 v7, v0, 16, 1
	v_cndmask_b32_e64 v5, v10, v5, s0
	s_delay_alu instid0(VALU_DEP_3) | instskip(NEXT) | instid1(VALU_DEP_3)
	v_cmp_o_f32_e64 s4, v6, v6
	v_add3_u32 v7, v0, v7, 0x7fff
	s_delay_alu instid0(VALU_DEP_3) | instskip(NEXT) | instid1(VALU_DEP_2)
	v_bfe_u32 v13, v5, 16, 1
	v_lshrrev_b32_e32 v7, 16, v7
	s_delay_alu instid0(VALU_DEP_2) | instskip(NEXT) | instid1(VALU_DEP_1)
	v_add3_u32 v0, v5, v13, 0x7fff
	v_and_b32_e32 v0, 0xffff0000, v0
	v_cndmask_b32_e64 v8, v9, v8, s0
	v_bfe_u32 v9, v6, 16, 1
	s_delay_alu instid0(VALU_DEP_2) | instskip(NEXT) | instid1(VALU_DEP_2)
	v_bfe_u32 v10, v8, 16, 1
	v_add3_u32 v9, v6, v9, 0x7fff
	v_cndmask_b32_e32 v6, 0x7fc0, v7, vcc_lo
	v_cmp_o_f32_e32 vcc_lo, v8, v8
	s_delay_alu instid0(VALU_DEP_4) | instskip(NEXT) | instid1(VALU_DEP_4)
	v_add3_u32 v10, v8, v10, 0x7fff
	v_and_b32_e32 v9, 0xffff0000, v9
	s_delay_alu instid0(VALU_DEP_2) | instskip(NEXT) | instid1(VALU_DEP_2)
	v_lshrrev_b32_e32 v7, 16, v10
	v_cndmask_b32_e64 v9, 0x7fc00000, v9, s4
	v_cmp_o_f32_e64 s4, v5, v5
	s_delay_alu instid0(VALU_DEP_3) | instskip(NEXT) | instid1(VALU_DEP_3)
	v_cndmask_b32_e32 v5, 0x7fc0, v7, vcc_lo
	v_or_b32_e32 v7, v6, v9
	s_delay_alu instid0(VALU_DEP_3) | instskip(SKIP_1) | instid1(VALU_DEP_2)
	v_cndmask_b32_e64 v0, 0x7fc00000, v0, s4
	v_add_co_ci_u32_e64 v2, vcc_lo, 0, v2, s3
	v_or3_b32 v6, 0, v5, v0
	s_delay_alu instid0(VALU_DEP_4)
	v_or3_b32 v5, v7, 0, 0
	global_store_b64 v[11:12], v[5:6], off
	s_and_not1_b32 exec_lo, exec_lo, s20
	s_cbranch_execnz .LBB54_32
.LBB54_33:
	s_nop 0
	s_sendmsg sendmsg(MSG_DEALLOC_VGPRS)
	s_endpgm
	.section	.rodata,"a",@progbits
	.p2align	6, 0x0
	.amdhsa_kernel _ZN2at6native12_GLOBAL__N_125multi_tensor_apply_kernelINS1_18TensorListMetadataILi4EEENS1_24PointwiseOpScalarFunctorIN3c108BFloat16ELi4ELi3ELi3EEEJSt7dividesIfEfEEEvT_T0_DpT1_
		.amdhsa_group_segment_fixed_size 0
		.amdhsa_private_segment_fixed_size 0
		.amdhsa_kernarg_size 3312
		.amdhsa_user_sgpr_count 15
		.amdhsa_user_sgpr_dispatch_ptr 0
		.amdhsa_user_sgpr_queue_ptr 0
		.amdhsa_user_sgpr_kernarg_segment_ptr 1
		.amdhsa_user_sgpr_dispatch_id 0
		.amdhsa_user_sgpr_private_segment_size 0
		.amdhsa_wavefront_size32 1
		.amdhsa_uses_dynamic_stack 0
		.amdhsa_enable_private_segment 0
		.amdhsa_system_sgpr_workgroup_id_x 1
		.amdhsa_system_sgpr_workgroup_id_y 0
		.amdhsa_system_sgpr_workgroup_id_z 0
		.amdhsa_system_sgpr_workgroup_info 0
		.amdhsa_system_vgpr_workitem_id 0
		.amdhsa_next_free_vgpr 56
		.amdhsa_next_free_sgpr 27
		.amdhsa_reserve_vcc 1
		.amdhsa_float_round_mode_32 0
		.amdhsa_float_round_mode_16_64 0
		.amdhsa_float_denorm_mode_32 3
		.amdhsa_float_denorm_mode_16_64 3
		.amdhsa_dx10_clamp 1
		.amdhsa_ieee_mode 1
		.amdhsa_fp16_overflow 0
		.amdhsa_workgroup_processor_mode 1
		.amdhsa_memory_ordered 1
		.amdhsa_forward_progress 0
		.amdhsa_shared_vgpr_count 0
		.amdhsa_exception_fp_ieee_invalid_op 0
		.amdhsa_exception_fp_denorm_src 0
		.amdhsa_exception_fp_ieee_div_zero 0
		.amdhsa_exception_fp_ieee_overflow 0
		.amdhsa_exception_fp_ieee_underflow 0
		.amdhsa_exception_fp_ieee_inexact 0
		.amdhsa_exception_int_div_zero 0
	.end_amdhsa_kernel
	.section	.text._ZN2at6native12_GLOBAL__N_125multi_tensor_apply_kernelINS1_18TensorListMetadataILi4EEENS1_24PointwiseOpScalarFunctorIN3c108BFloat16ELi4ELi3ELi3EEEJSt7dividesIfEfEEEvT_T0_DpT1_,"axG",@progbits,_ZN2at6native12_GLOBAL__N_125multi_tensor_apply_kernelINS1_18TensorListMetadataILi4EEENS1_24PointwiseOpScalarFunctorIN3c108BFloat16ELi4ELi3ELi3EEEJSt7dividesIfEfEEEvT_T0_DpT1_,comdat
.Lfunc_end54:
	.size	_ZN2at6native12_GLOBAL__N_125multi_tensor_apply_kernelINS1_18TensorListMetadataILi4EEENS1_24PointwiseOpScalarFunctorIN3c108BFloat16ELi4ELi3ELi3EEEJSt7dividesIfEfEEEvT_T0_DpT1_, .Lfunc_end54-_ZN2at6native12_GLOBAL__N_125multi_tensor_apply_kernelINS1_18TensorListMetadataILi4EEENS1_24PointwiseOpScalarFunctorIN3c108BFloat16ELi4ELi3ELi3EEEJSt7dividesIfEfEEEvT_T0_DpT1_
                                        ; -- End function
	.section	.AMDGPU.csdata,"",@progbits
; Kernel info:
; codeLenInByte = 3484
; NumSgprs: 29
; NumVgprs: 56
; ScratchSize: 0
; MemoryBound: 0
; FloatMode: 240
; IeeeMode: 1
; LDSByteSize: 0 bytes/workgroup (compile time only)
; SGPRBlocks: 3
; VGPRBlocks: 6
; NumSGPRsForWavesPerEU: 29
; NumVGPRsForWavesPerEU: 56
; Occupancy: 16
; WaveLimiterHint : 0
; COMPUTE_PGM_RSRC2:SCRATCH_EN: 0
; COMPUTE_PGM_RSRC2:USER_SGPR: 15
; COMPUTE_PGM_RSRC2:TRAP_HANDLER: 0
; COMPUTE_PGM_RSRC2:TGID_X_EN: 1
; COMPUTE_PGM_RSRC2:TGID_Y_EN: 0
; COMPUTE_PGM_RSRC2:TGID_Z_EN: 0
; COMPUTE_PGM_RSRC2:TIDIG_COMP_CNT: 0
	.section	.text._ZN2at6native12_GLOBAL__N_125multi_tensor_apply_kernelINS1_18TensorListMetadataILi4EEENS1_32PointwiseOpScalar0dTensorFunctorIhLi4ELi2ELi3EEEJSt7dividesIhEhEEEvT_T0_DpT1_,"axG",@progbits,_ZN2at6native12_GLOBAL__N_125multi_tensor_apply_kernelINS1_18TensorListMetadataILi4EEENS1_32PointwiseOpScalar0dTensorFunctorIhLi4ELi2ELi3EEEJSt7dividesIhEhEEEvT_T0_DpT1_,comdat
	.globl	_ZN2at6native12_GLOBAL__N_125multi_tensor_apply_kernelINS1_18TensorListMetadataILi4EEENS1_32PointwiseOpScalar0dTensorFunctorIhLi4ELi2ELi3EEEJSt7dividesIhEhEEEvT_T0_DpT1_ ; -- Begin function _ZN2at6native12_GLOBAL__N_125multi_tensor_apply_kernelINS1_18TensorListMetadataILi4EEENS1_32PointwiseOpScalar0dTensorFunctorIhLi4ELi2ELi3EEEJSt7dividesIhEhEEEvT_T0_DpT1_
	.p2align	8
	.type	_ZN2at6native12_GLOBAL__N_125multi_tensor_apply_kernelINS1_18TensorListMetadataILi4EEENS1_32PointwiseOpScalar0dTensorFunctorIhLi4ELi2ELi3EEEJSt7dividesIhEhEEEvT_T0_DpT1_,@function
_ZN2at6native12_GLOBAL__N_125multi_tensor_apply_kernelINS1_18TensorListMetadataILi4EEENS1_32PointwiseOpScalar0dTensorFunctorIhLi4ELi2ELi3EEEJSt7dividesIhEhEEEvT_T0_DpT1_: ; @_ZN2at6native12_GLOBAL__N_125multi_tensor_apply_kernelINS1_18TensorListMetadataILi4EEENS1_32PointwiseOpScalar0dTensorFunctorIhLi4ELi2ELi3EEEJSt7dividesIhEhEEEvT_T0_DpT1_
; %bb.0:
	v_dual_mov_b32 v1, s15 :: v_dual_mov_b32 v2, 0
	s_add_u32 s2, s0, s15
	s_mul_i32 s4, s15, 3
	s_addc_u32 s3, s1, 0
	global_load_u8 v1, v1, s[0:1] offset:1440
	s_load_b32 s16, s[0:1], 0xbe8
	s_mul_hi_u32 s5, s15, 3
	s_add_u32 s2, s2, s4
	s_addc_u32 s3, s3, s5
	s_mov_b32 s23, 0
	s_load_b32 s2, s[2:3], 0x6e0
	s_waitcnt vmcnt(0)
	v_readfirstlane_b32 s3, v1
	s_delay_alu instid0(VALU_DEP_1)
	s_lshl_b32 s14, s3, 3
	s_waitcnt lgkmcnt(0)
	s_ashr_i32 s3, s2, 31
	s_clause 0x4
	s_load_b64 s[4:5], s[0:1], s14 offset:0x120
	s_load_b64 s[6:7], s[0:1], s14 offset:0x240
	;; [unrolled: 1-line block ×5, first 2 shown]
	s_lshl_b64 s[12:13], s[2:3], 16
	s_waitcnt lgkmcnt(0)
	global_load_u8 v3, v2, s[4:5]
	s_add_u32 s14, s10, s12
	s_addc_u32 s15, s11, s13
	s_add_u32 s2, s4, s12
	s_delay_alu instid0(SALU_CYCLE_1) | instskip(NEXT) | instid1(SALU_CYCLE_1)
	s_and_b32 s22, s2, 3
	s_cmp_lg_u64 s[22:23], 0
	s_cselect_b32 s2, -1, 0
	s_add_u32 s3, s6, s12
	s_addc_u32 s17, s7, s13
	s_add_u32 s18, s8, s12
	s_addc_u32 s19, s9, s13
	s_or_b32 s4, s18, s3
	s_delay_alu instid0(SALU_CYCLE_1) | instskip(NEXT) | instid1(SALU_CYCLE_1)
	s_and_b32 s4, s4, 3
	s_cmp_lg_u32 s4, 0
	s_cselect_b32 s4, -1, 0
	s_delay_alu instid0(SALU_CYCLE_1) | instskip(SKIP_3) | instid1(SALU_CYCLE_1)
	s_or_b32 s2, s4, s2
	s_sub_u32 s4, s20, s12
	s_subb_u32 s5, s21, s13
	s_or_b64 s[20:21], s[20:21], s[14:15]
	s_and_b32 s22, s20, 3
	s_delay_alu instid0(SALU_CYCLE_1) | instskip(SKIP_1) | instid1(SALU_CYCLE_1)
	s_cmp_lg_u64 s[22:23], 0
	s_cselect_b32 s20, -1, 0
	s_or_b32 s2, s2, s20
	s_delay_alu instid0(SALU_CYCLE_1)
	s_and_not1_b32 vcc_lo, exec_lo, s2
	s_mov_b32 s2, -1
	s_cbranch_vccz .LBB55_5
; %bb.1:
	v_lshlrev_b32_e32 v1, 2, v0
	s_mov_b32 s20, exec_lo
	s_delay_alu instid0(VALU_DEP_1)
	v_cmpx_gt_i64_e64 s[4:5], v[1:2]
	s_cbranch_execz .LBB55_4
; %bb.2:
	s_load_b32 s2, s[0:1], 0xbfc
	s_waitcnt vmcnt(0)
	v_cvt_f32_ubyte0_e32 v4, v3
	s_mov_b32 s21, 0
	s_lshr_b32 s23, s16, 16
	s_waitcnt lgkmcnt(0)
	s_and_b32 s2, s2, 0xffff
	s_delay_alu instid0(SALU_CYCLE_1)
	s_lshl_b32 s22, s2, 2
.LBB55_3:                               ; =>This Inner Loop Header: Depth=1
	v_add_co_u32 v5, vcc_lo, s3, v1
	v_add_co_ci_u32_e32 v6, vcc_lo, s17, v2, vcc_lo
	v_add_co_u32 v7, vcc_lo, s14, v1
	v_add_co_ci_u32_e32 v8, vcc_lo, s15, v2, vcc_lo
	global_load_b32 v9, v[5:6], off
	global_load_b32 v7, v[7:8], off
	v_add_co_u32 v5, vcc_lo, s18, v1
	v_add_co_ci_u32_e32 v6, vcc_lo, s19, v2, vcc_lo
	v_add_co_u32 v1, vcc_lo, s22, v1
	v_add_co_ci_u32_e32 v2, vcc_lo, 0, v2, vcc_lo
	s_delay_alu instid0(VALU_DEP_1)
	v_cmp_le_i64_e32 vcc_lo, s[4:5], v[1:2]
	s_waitcnt vmcnt(1)
	v_cvt_f32_ubyte0_e32 v8, v9
	v_cvt_f32_ubyte1_e32 v11, v9
	v_cvt_f32_ubyte2_e32 v13, v9
	v_cvt_f32_ubyte3_e32 v9, v9
	s_waitcnt vmcnt(0)
	v_lshrrev_b32_e32 v10, 8, v7
	v_rcp_iflag_f32_e32 v15, v8
	v_rcp_iflag_f32_e32 v16, v11
	;; [unrolled: 1-line block ×4, first 2 shown]
	v_lshrrev_b32_e32 v12, 16, v7
	v_lshrrev_b32_e32 v14, 24, v7
	v_mul_f32_e32 v15, v4, v15
	s_delay_alu instid0(TRANS32_DEP_3)
	v_mul_f32_e32 v16, v4, v16
	s_waitcnt_depctr 0xfff
	v_mul_f32_e32 v17, v4, v17
	v_mul_f32_e32 v18, v4, v18
	v_trunc_f32_e32 v15, v15
	v_trunc_f32_e32 v16, v16
	s_delay_alu instid0(VALU_DEP_4) | instskip(NEXT) | instid1(VALU_DEP_4)
	v_trunc_f32_e32 v17, v17
	v_trunc_f32_e32 v18, v18
	s_delay_alu instid0(VALU_DEP_4)
	v_fma_f32 v19, -v15, v8, v4
	v_cvt_u32_f32_e32 v15, v15
	v_fma_f32 v20, -v16, v11, v4
	v_cvt_u32_f32_e32 v16, v16
	v_fma_f32 v21, -v17, v13, v4
	v_cmp_ge_f32_e64 s2, |v19|, v8
	v_cvt_u32_f32_e32 v17, v17
	v_fma_f32 v22, -v18, v9, v4
	v_cvt_u32_f32_e32 v18, v18
	s_delay_alu instid0(VALU_DEP_4) | instskip(SKIP_1) | instid1(VALU_DEP_2)
	v_add_co_ci_u32_e64 v8, s2, 0, v15, s2
	v_cmp_ge_f32_e64 s2, |v20|, v11
	v_mad_u16 v7, v8, s23, v7
	s_delay_alu instid0(VALU_DEP_2) | instskip(SKIP_1) | instid1(VALU_DEP_2)
	v_add_co_ci_u32_e64 v11, s2, 0, v16, s2
	v_cmp_ge_f32_e64 s2, |v21|, v13
	v_mad_u16 v10, v11, s23, v10
	s_delay_alu instid0(VALU_DEP_2) | instskip(SKIP_1) | instid1(VALU_DEP_2)
	;; [unrolled: 4-line block ×3, first 2 shown]
	v_add_co_ci_u32_e64 v9, s2, 0, v18, s2
	v_cmp_lt_u64_e64 s2, 0xffff, v[1:2]
	v_mad_u16 v8, v9, s23, v14
	v_and_b32_e32 v9, 0xff, v10
	v_and_b32_e32 v10, 0xff, v11
	s_delay_alu instid0(VALU_DEP_4) | instskip(NEXT) | instid1(VALU_DEP_3)
	s_or_b32 s2, vcc_lo, s2
	v_lshlrev_b32_e32 v8, 24, v8
	s_delay_alu instid0(VALU_DEP_3) | instskip(NEXT) | instid1(VALU_DEP_3)
	v_perm_b32 v7, v9, v7, 0x6050400
	v_lshlrev_b32_e32 v9, 16, v10
	s_and_b32 s2, exec_lo, s2
	s_delay_alu instid0(SALU_CYCLE_1) | instskip(NEXT) | instid1(VALU_DEP_1)
	s_or_b32 s21, s2, s21
	v_or3_b32 v7, v7, v9, v8
	global_store_b32 v[5:6], v7, off
	s_and_not1_b32 exec_lo, exec_lo, s21
	s_cbranch_execnz .LBB55_3
.LBB55_4:
	s_or_b32 exec_lo, exec_lo, s20
	s_mov_b32 s2, 0
.LBB55_5:
	s_delay_alu instid0(SALU_CYCLE_1)
	s_and_not1_b32 vcc_lo, exec_lo, s2
	s_cbranch_vccnz .LBB55_25
; %bb.6:
	v_cmp_lt_i64_e64 s2, s[4:5], 1
	s_delay_alu instid0(VALU_DEP_1)
	s_and_b32 vcc_lo, exec_lo, s2
	s_cbranch_vccnz .LBB55_25
; %bb.7:
	s_load_b32 s0, s[0:1], 0xbfc
	v_cmp_gt_u64_e64 s1, 0x10000, s[4:5]
	v_add_co_u32 v1, s2, s12, v0
	s_delay_alu instid0(VALU_DEP_1) | instskip(SKIP_2) | instid1(VALU_DEP_3)
	v_add_co_ci_u32_e64 v2, null, s13, 0, s2
	s_waitcnt vmcnt(0)
	v_cvt_f32_ubyte0_e32 v9, v3
	v_add_co_u32 v10, vcc_lo, s10, v1
	s_delay_alu instid0(VALU_DEP_3)
	v_add_co_ci_u32_e32 v11, vcc_lo, s11, v2, vcc_lo
	v_add_co_u32 v12, vcc_lo, s6, v1
	v_add_co_ci_u32_e32 v13, vcc_lo, s7, v2, vcc_lo
	v_add_co_u32 v14, vcc_lo, s8, v1
	v_add_co_ci_u32_e32 v15, vcc_lo, s9, v2, vcc_lo
	s_waitcnt lgkmcnt(0)
	s_and_b32 s0, s0, 0xffff
	s_and_b32 s1, s1, exec_lo
	s_mul_i32 s15, s0, 3
	s_cselect_b32 s3, s5, 0
	s_cselect_b32 s2, s4, 0x10000
	s_lshl_b32 s14, s0, 1
	s_lshl_b32 s1, s0, 2
	s_add_u32 s17, s12, s15
	s_addc_u32 s18, s13, 0
	v_add_co_u32 v3, s17, s17, v0
	s_delay_alu instid0(VALU_DEP_1) | instskip(SKIP_1) | instid1(VALU_DEP_2)
	v_add_co_ci_u32_e64 v4, null, s18, 0, s17
	s_add_u32 s12, s12, s14
	v_add_co_u32 v16, vcc_lo, s10, v3
	s_delay_alu instid0(VALU_DEP_2)
	v_add_co_ci_u32_e32 v17, vcc_lo, s11, v4, vcc_lo
	v_add_co_u32 v18, vcc_lo, s6, v3
	v_add_co_ci_u32_e32 v19, vcc_lo, s7, v4, vcc_lo
	v_add_co_u32 v20, vcc_lo, s8, v3
	s_addc_u32 s13, s13, 0
	v_add_co_u32 v3, s12, s12, v0
	v_add_co_ci_u32_e32 v21, vcc_lo, s9, v4, vcc_lo
	v_add_co_ci_u32_e64 v4, null, s13, 0, s12
	s_delay_alu instid0(VALU_DEP_3) | instskip(SKIP_1) | instid1(VALU_DEP_3)
	v_add_co_u32 v24, vcc_lo, s10, v3
	v_add_co_u32 v22, s12, s15, v0
	v_add_co_ci_u32_e32 v25, vcc_lo, s11, v4, vcc_lo
	v_add_co_u32 v26, vcc_lo, s6, v3
	v_add_co_ci_u32_e32 v27, vcc_lo, s7, v4, vcc_lo
	v_add_co_u32 v28, vcc_lo, s8, v3
	;; [unrolled: 2-line block ×3, first 2 shown]
	v_add_co_ci_u32_e32 v2, vcc_lo, 0, v2, vcc_lo
	v_add_co_ci_u32_e64 v23, null, 0, 0, s12
	s_delay_alu instid0(VALU_DEP_3) | instskip(NEXT) | instid1(VALU_DEP_3)
	v_add_co_u32 v32, vcc_lo, s10, v1
	v_add_co_ci_u32_e32 v33, vcc_lo, s11, v2, vcc_lo
	v_add_co_u32 v34, vcc_lo, s6, v1
	v_add_co_ci_u32_e32 v35, vcc_lo, s7, v2, vcc_lo
	v_add_co_u32 v30, s12, s14, v0
	v_add_co_u32 v36, vcc_lo, s8, v1
	v_add_co_u32 v38, s0, v0, s0
	v_add_co_ci_u32_e64 v31, null, 0, 0, s12
	v_add_co_ci_u32_e32 v37, vcc_lo, s9, v2, vcc_lo
	v_add_co_ci_u32_e64 v39, null, 0, 0, s0
	s_mov_b64 s[6:7], 0
	s_lshr_b32 s8, s16, 16
	s_branch .LBB55_9
.LBB55_8:                               ;   in Loop: Header=BB55_9 Depth=1
	s_or_b32 exec_lo, exec_lo, s0
	s_add_u32 s6, s6, s1
	s_addc_u32 s7, s7, 0
	s_delay_alu instid0(SALU_CYCLE_1) | instskip(SKIP_1) | instid1(VALU_DEP_1)
	v_cmp_ge_i64_e64 s0, s[6:7], s[4:5]
	v_cmp_lt_u64_e64 s9, 0xffff, s[6:7]
	s_or_b32 s0, s0, s9
	s_delay_alu instid0(SALU_CYCLE_1)
	s_and_b32 vcc_lo, exec_lo, s0
	s_cbranch_vccnz .LBB55_25
.LBB55_9:                               ; =>This Inner Loop Header: Depth=1
	v_add_co_u32 v1, s0, v0, s6
	s_delay_alu instid0(VALU_DEP_1) | instskip(SKIP_2) | instid1(VALU_DEP_2)
	v_add_co_ci_u32_e64 v2, null, 0, s7, s0
	s_waitcnt vmcnt(0)
	v_dual_mov_b32 v41, 0 :: v_dual_mov_b32 v40, 0
	v_cmp_gt_i64_e32 vcc_lo, s[4:5], v[1:2]
	v_cmp_gt_u64_e64 s0, 0x10000, v[1:2]
	s_delay_alu instid0(VALU_DEP_1) | instskip(NEXT) | instid1(SALU_CYCLE_1)
	s_and_b32 s9, vcc_lo, s0
	s_and_saveexec_b32 s0, s9
	s_cbranch_execz .LBB55_11
; %bb.10:                               ;   in Loop: Header=BB55_9 Depth=1
	v_add_co_u32 v3, vcc_lo, v10, s6
	v_add_co_ci_u32_e32 v4, vcc_lo, s7, v11, vcc_lo
	v_add_co_u32 v5, vcc_lo, v12, s6
	v_add_co_ci_u32_e32 v6, vcc_lo, s7, v13, vcc_lo
	global_load_u8 v40, v[3:4], off
	global_load_u8 v41, v[5:6], off
.LBB55_11:                              ;   in Loop: Header=BB55_9 Depth=1
	s_or_b32 exec_lo, exec_lo, s0
	v_add_co_u32 v3, vcc_lo, v38, s6
	v_add_co_ci_u32_e32 v4, vcc_lo, s7, v39, vcc_lo
	s_delay_alu instid0(VALU_DEP_1) | instskip(SKIP_1) | instid1(VALU_DEP_1)
	v_cmp_gt_i64_e32 vcc_lo, s[4:5], v[3:4]
	v_cmp_gt_u64_e64 s0, 0x10000, v[3:4]
	s_and_b32 s9, vcc_lo, s0
	s_delay_alu instid0(SALU_CYCLE_1)
	s_and_saveexec_b32 s0, s9
	s_cbranch_execz .LBB55_13
; %bb.12:                               ;   in Loop: Header=BB55_9 Depth=1
	v_add_co_u32 v5, vcc_lo, v32, s6
	v_add_co_ci_u32_e32 v6, vcc_lo, s7, v33, vcc_lo
	v_add_co_u32 v7, vcc_lo, v34, s6
	v_add_co_ci_u32_e32 v8, vcc_lo, s7, v35, vcc_lo
	global_load_u8 v5, v[5:6], off
	global_load_u8 v6, v[7:8], off
	s_waitcnt vmcnt(1)
	v_lshl_or_b32 v40, v5, 8, v40
	s_waitcnt vmcnt(0)
	v_lshl_or_b32 v41, v6, 8, v41
.LBB55_13:                              ;   in Loop: Header=BB55_9 Depth=1
	s_or_b32 exec_lo, exec_lo, s0
	v_add_co_u32 v5, vcc_lo, v30, s6
	v_add_co_ci_u32_e32 v6, vcc_lo, s7, v31, vcc_lo
	s_delay_alu instid0(VALU_DEP_1) | instskip(SKIP_1) | instid1(VALU_DEP_1)
	v_cmp_gt_i64_e32 vcc_lo, s[4:5], v[5:6]
	v_cmp_gt_u64_e64 s0, 0x10000, v[5:6]
	s_and_b32 s9, vcc_lo, s0
	s_delay_alu instid0(SALU_CYCLE_1)
	s_and_saveexec_b32 s0, s9
	s_cbranch_execz .LBB55_15
; %bb.14:                               ;   in Loop: Header=BB55_9 Depth=1
	v_add_co_u32 v7, vcc_lo, v24, s6
	v_add_co_ci_u32_e32 v8, vcc_lo, s7, v25, vcc_lo
	v_add_co_u32 v42, vcc_lo, v26, s6
	v_add_co_ci_u32_e32 v43, vcc_lo, s7, v27, vcc_lo
	global_load_u8 v7, v[7:8], off
	global_load_u8 v8, v[42:43], off
	s_waitcnt vmcnt(1)
	v_lshl_or_b32 v40, v7, 16, v40
	s_waitcnt vmcnt(0)
	v_lshl_or_b32 v41, v8, 16, v41
.LBB55_15:                              ;   in Loop: Header=BB55_9 Depth=1
	s_or_b32 exec_lo, exec_lo, s0
	v_add_co_u32 v7, vcc_lo, v22, s6
	v_add_co_ci_u32_e32 v8, vcc_lo, s7, v23, vcc_lo
	s_delay_alu instid0(VALU_DEP_1) | instskip(SKIP_1) | instid1(VALU_DEP_1)
	v_cmp_gt_i64_e32 vcc_lo, s[4:5], v[7:8]
	v_cmp_gt_u64_e64 s0, 0x10000, v[7:8]
	s_and_b32 s9, vcc_lo, s0
	s_delay_alu instid0(SALU_CYCLE_1)
	s_and_saveexec_b32 s0, s9
	s_cbranch_execnz .LBB55_20
; %bb.16:                               ;   in Loop: Header=BB55_9 Depth=1
	s_or_b32 exec_lo, exec_lo, s0
	s_delay_alu instid0(SALU_CYCLE_1)
	s_mov_b32 s0, exec_lo
	v_cmpx_gt_u64_e64 s[2:3], v[1:2]
	s_cbranch_execnz .LBB55_21
.LBB55_17:                              ;   in Loop: Header=BB55_9 Depth=1
	s_or_b32 exec_lo, exec_lo, s0
	s_delay_alu instid0(SALU_CYCLE_1)
	s_mov_b32 s0, exec_lo
	v_cmpx_gt_u64_e64 s[2:3], v[3:4]
	s_cbranch_execnz .LBB55_22
.LBB55_18:                              ;   in Loop: Header=BB55_9 Depth=1
	s_or_b32 exec_lo, exec_lo, s0
	s_delay_alu instid0(SALU_CYCLE_1)
	s_mov_b32 s0, exec_lo
	v_cmpx_gt_u64_e64 s[2:3], v[5:6]
	s_cbranch_execnz .LBB55_23
.LBB55_19:                              ;   in Loop: Header=BB55_9 Depth=1
	s_or_b32 exec_lo, exec_lo, s0
	s_delay_alu instid0(SALU_CYCLE_1)
	s_mov_b32 s0, exec_lo
	v_cmpx_gt_u64_e64 s[2:3], v[7:8]
	s_cbranch_execz .LBB55_8
	s_branch .LBB55_24
.LBB55_20:                              ;   in Loop: Header=BB55_9 Depth=1
	v_add_co_u32 v42, vcc_lo, v16, s6
	v_add_co_ci_u32_e32 v43, vcc_lo, s7, v17, vcc_lo
	v_add_co_u32 v44, vcc_lo, v18, s6
	v_add_co_ci_u32_e32 v45, vcc_lo, s7, v19, vcc_lo
	global_load_u8 v42, v[42:43], off
	global_load_u8 v43, v[44:45], off
	s_waitcnt vmcnt(1)
	v_lshl_or_b32 v40, v42, 24, v40
	s_waitcnt vmcnt(0)
	v_lshl_or_b32 v41, v43, 24, v41
	s_or_b32 exec_lo, exec_lo, s0
	s_delay_alu instid0(SALU_CYCLE_1)
	s_mov_b32 s0, exec_lo
	v_cmpx_gt_u64_e64 s[2:3], v[1:2]
	s_cbranch_execz .LBB55_17
.LBB55_21:                              ;   in Loop: Header=BB55_9 Depth=1
	s_waitcnt vmcnt(0)
	v_cvt_f32_ubyte0_e32 v1, v41
	s_delay_alu instid0(VALU_DEP_1) | instskip(SKIP_2) | instid1(VALU_DEP_1)
	v_rcp_iflag_f32_e32 v2, v1
	s_waitcnt_depctr 0xfff
	v_mul_f32_e32 v2, v9, v2
	v_trunc_f32_e32 v2, v2
	s_delay_alu instid0(VALU_DEP_1) | instskip(SKIP_1) | instid1(VALU_DEP_2)
	v_fma_f32 v42, -v2, v1, v9
	v_cvt_u32_f32_e32 v2, v2
	v_cmp_ge_f32_e64 vcc_lo, |v42|, v1
	s_delay_alu instid0(VALU_DEP_2) | instskip(SKIP_2) | instid1(VALU_DEP_3)
	v_add_co_ci_u32_e32 v42, vcc_lo, 0, v2, vcc_lo
	v_add_co_u32 v1, vcc_lo, v14, s6
	v_add_co_ci_u32_e32 v2, vcc_lo, s7, v15, vcc_lo
	v_mad_u16 v42, v42, s8, v40
	global_store_b8 v[1:2], v42, off
	s_or_b32 exec_lo, exec_lo, s0
	s_delay_alu instid0(SALU_CYCLE_1)
	s_mov_b32 s0, exec_lo
	v_cmpx_gt_u64_e64 s[2:3], v[3:4]
	s_cbranch_execz .LBB55_18
.LBB55_22:                              ;   in Loop: Header=BB55_9 Depth=1
	s_waitcnt vmcnt(0)
	v_cvt_f32_ubyte1_e32 v1, v41
	v_lshrrev_b32_e32 v4, 8, v40
	s_delay_alu instid0(VALU_DEP_2) | instskip(SKIP_2) | instid1(VALU_DEP_1)
	v_rcp_iflag_f32_e32 v2, v1
	s_waitcnt_depctr 0xfff
	v_mul_f32_e32 v2, v9, v2
	v_trunc_f32_e32 v2, v2
	s_delay_alu instid0(VALU_DEP_1) | instskip(SKIP_1) | instid1(VALU_DEP_2)
	v_fma_f32 v3, -v2, v1, v9
	v_cvt_u32_f32_e32 v2, v2
	v_cmp_ge_f32_e64 vcc_lo, |v3|, v1
	s_delay_alu instid0(VALU_DEP_2) | instskip(NEXT) | instid1(VALU_DEP_1)
	v_add_co_ci_u32_e32 v1, vcc_lo, 0, v2, vcc_lo
	v_mad_u16 v3, v1, s8, v4
	v_add_co_u32 v1, vcc_lo, v36, s6
	v_add_co_ci_u32_e32 v2, vcc_lo, s7, v37, vcc_lo
	global_store_b8 v[1:2], v3, off
	s_or_b32 exec_lo, exec_lo, s0
	s_delay_alu instid0(SALU_CYCLE_1)
	s_mov_b32 s0, exec_lo
	v_cmpx_gt_u64_e64 s[2:3], v[5:6]
	s_cbranch_execz .LBB55_19
.LBB55_23:                              ;   in Loop: Header=BB55_9 Depth=1
	s_waitcnt vmcnt(0)
	v_cvt_f32_ubyte2_e32 v1, v41
	v_lshrrev_b32_e32 v4, 16, v40
	s_delay_alu instid0(VALU_DEP_2) | instskip(SKIP_2) | instid1(VALU_DEP_1)
	v_rcp_iflag_f32_e32 v2, v1
	s_waitcnt_depctr 0xfff
	v_mul_f32_e32 v2, v9, v2
	v_trunc_f32_e32 v2, v2
	s_delay_alu instid0(VALU_DEP_1) | instskip(SKIP_1) | instid1(VALU_DEP_2)
	v_fma_f32 v3, -v2, v1, v9
	v_cvt_u32_f32_e32 v2, v2
	v_cmp_ge_f32_e64 vcc_lo, |v3|, v1
	s_delay_alu instid0(VALU_DEP_2) | instskip(NEXT) | instid1(VALU_DEP_1)
	v_add_co_ci_u32_e32 v1, vcc_lo, 0, v2, vcc_lo
	v_mad_u16 v3, v1, s8, v4
	v_add_co_u32 v1, vcc_lo, v28, s6
	v_add_co_ci_u32_e32 v2, vcc_lo, s7, v29, vcc_lo
	global_store_b8 v[1:2], v3, off
	s_or_b32 exec_lo, exec_lo, s0
	s_delay_alu instid0(SALU_CYCLE_1)
	s_mov_b32 s0, exec_lo
	v_cmpx_gt_u64_e64 s[2:3], v[7:8]
	s_cbranch_execz .LBB55_8
.LBB55_24:                              ;   in Loop: Header=BB55_9 Depth=1
	s_waitcnt vmcnt(0)
	v_cvt_f32_ubyte3_e32 v1, v41
	v_lshrrev_b32_e32 v4, 24, v40
	s_delay_alu instid0(VALU_DEP_2) | instskip(SKIP_2) | instid1(VALU_DEP_1)
	v_rcp_iflag_f32_e32 v2, v1
	s_waitcnt_depctr 0xfff
	v_mul_f32_e32 v2, v9, v2
	v_trunc_f32_e32 v2, v2
	s_delay_alu instid0(VALU_DEP_1) | instskip(SKIP_1) | instid1(VALU_DEP_2)
	v_fma_f32 v3, -v2, v1, v9
	v_cvt_u32_f32_e32 v2, v2
	v_cmp_ge_f32_e64 vcc_lo, |v3|, v1
	s_delay_alu instid0(VALU_DEP_2) | instskip(NEXT) | instid1(VALU_DEP_1)
	v_add_co_ci_u32_e32 v1, vcc_lo, 0, v2, vcc_lo
	v_mad_u16 v3, v1, s8, v4
	v_add_co_u32 v1, vcc_lo, v20, s6
	v_add_co_ci_u32_e32 v2, vcc_lo, s7, v21, vcc_lo
	global_store_b8 v[1:2], v3, off
	s_branch .LBB55_8
.LBB55_25:
	s_nop 0
	s_sendmsg sendmsg(MSG_DEALLOC_VGPRS)
	s_endpgm
	.section	.rodata,"a",@progbits
	.p2align	6, 0x0
	.amdhsa_kernel _ZN2at6native12_GLOBAL__N_125multi_tensor_apply_kernelINS1_18TensorListMetadataILi4EEENS1_32PointwiseOpScalar0dTensorFunctorIhLi4ELi2ELi3EEEJSt7dividesIhEhEEEvT_T0_DpT1_
		.amdhsa_group_segment_fixed_size 0
		.amdhsa_private_segment_fixed_size 0
		.amdhsa_kernarg_size 3312
		.amdhsa_user_sgpr_count 15
		.amdhsa_user_sgpr_dispatch_ptr 0
		.amdhsa_user_sgpr_queue_ptr 0
		.amdhsa_user_sgpr_kernarg_segment_ptr 1
		.amdhsa_user_sgpr_dispatch_id 0
		.amdhsa_user_sgpr_private_segment_size 0
		.amdhsa_wavefront_size32 1
		.amdhsa_uses_dynamic_stack 0
		.amdhsa_enable_private_segment 0
		.amdhsa_system_sgpr_workgroup_id_x 1
		.amdhsa_system_sgpr_workgroup_id_y 0
		.amdhsa_system_sgpr_workgroup_id_z 0
		.amdhsa_system_sgpr_workgroup_info 0
		.amdhsa_system_vgpr_workitem_id 0
		.amdhsa_next_free_vgpr 46
		.amdhsa_next_free_sgpr 24
		.amdhsa_reserve_vcc 1
		.amdhsa_float_round_mode_32 0
		.amdhsa_float_round_mode_16_64 0
		.amdhsa_float_denorm_mode_32 3
		.amdhsa_float_denorm_mode_16_64 3
		.amdhsa_dx10_clamp 1
		.amdhsa_ieee_mode 1
		.amdhsa_fp16_overflow 0
		.amdhsa_workgroup_processor_mode 1
		.amdhsa_memory_ordered 1
		.amdhsa_forward_progress 0
		.amdhsa_shared_vgpr_count 0
		.amdhsa_exception_fp_ieee_invalid_op 0
		.amdhsa_exception_fp_denorm_src 0
		.amdhsa_exception_fp_ieee_div_zero 0
		.amdhsa_exception_fp_ieee_overflow 0
		.amdhsa_exception_fp_ieee_underflow 0
		.amdhsa_exception_fp_ieee_inexact 0
		.amdhsa_exception_int_div_zero 0
	.end_amdhsa_kernel
	.section	.text._ZN2at6native12_GLOBAL__N_125multi_tensor_apply_kernelINS1_18TensorListMetadataILi4EEENS1_32PointwiseOpScalar0dTensorFunctorIhLi4ELi2ELi3EEEJSt7dividesIhEhEEEvT_T0_DpT1_,"axG",@progbits,_ZN2at6native12_GLOBAL__N_125multi_tensor_apply_kernelINS1_18TensorListMetadataILi4EEENS1_32PointwiseOpScalar0dTensorFunctorIhLi4ELi2ELi3EEEJSt7dividesIhEhEEEvT_T0_DpT1_,comdat
.Lfunc_end55:
	.size	_ZN2at6native12_GLOBAL__N_125multi_tensor_apply_kernelINS1_18TensorListMetadataILi4EEENS1_32PointwiseOpScalar0dTensorFunctorIhLi4ELi2ELi3EEEJSt7dividesIhEhEEEvT_T0_DpT1_, .Lfunc_end55-_ZN2at6native12_GLOBAL__N_125multi_tensor_apply_kernelINS1_18TensorListMetadataILi4EEENS1_32PointwiseOpScalar0dTensorFunctorIhLi4ELi2ELi3EEEJSt7dividesIhEhEEEvT_T0_DpT1_
                                        ; -- End function
	.section	.AMDGPU.csdata,"",@progbits
; Kernel info:
; codeLenInByte = 2252
; NumSgprs: 26
; NumVgprs: 46
; ScratchSize: 0
; MemoryBound: 0
; FloatMode: 240
; IeeeMode: 1
; LDSByteSize: 0 bytes/workgroup (compile time only)
; SGPRBlocks: 3
; VGPRBlocks: 5
; NumSGPRsForWavesPerEU: 26
; NumVGPRsForWavesPerEU: 46
; Occupancy: 16
; WaveLimiterHint : 0
; COMPUTE_PGM_RSRC2:SCRATCH_EN: 0
; COMPUTE_PGM_RSRC2:USER_SGPR: 15
; COMPUTE_PGM_RSRC2:TRAP_HANDLER: 0
; COMPUTE_PGM_RSRC2:TGID_X_EN: 1
; COMPUTE_PGM_RSRC2:TGID_Y_EN: 0
; COMPUTE_PGM_RSRC2:TGID_Z_EN: 0
; COMPUTE_PGM_RSRC2:TIDIG_COMP_CNT: 0
	.section	.text._ZN2at6native12_GLOBAL__N_125multi_tensor_apply_kernelINS1_18TensorListMetadataILi4EEENS1_32PointwiseOpScalar0dTensorFunctorIaLi4ELi2ELi3EEEJSt7dividesIaEaEEEvT_T0_DpT1_,"axG",@progbits,_ZN2at6native12_GLOBAL__N_125multi_tensor_apply_kernelINS1_18TensorListMetadataILi4EEENS1_32PointwiseOpScalar0dTensorFunctorIaLi4ELi2ELi3EEEJSt7dividesIaEaEEEvT_T0_DpT1_,comdat
	.globl	_ZN2at6native12_GLOBAL__N_125multi_tensor_apply_kernelINS1_18TensorListMetadataILi4EEENS1_32PointwiseOpScalar0dTensorFunctorIaLi4ELi2ELi3EEEJSt7dividesIaEaEEEvT_T0_DpT1_ ; -- Begin function _ZN2at6native12_GLOBAL__N_125multi_tensor_apply_kernelINS1_18TensorListMetadataILi4EEENS1_32PointwiseOpScalar0dTensorFunctorIaLi4ELi2ELi3EEEJSt7dividesIaEaEEEvT_T0_DpT1_
	.p2align	8
	.type	_ZN2at6native12_GLOBAL__N_125multi_tensor_apply_kernelINS1_18TensorListMetadataILi4EEENS1_32PointwiseOpScalar0dTensorFunctorIaLi4ELi2ELi3EEEJSt7dividesIaEaEEEvT_T0_DpT1_,@function
_ZN2at6native12_GLOBAL__N_125multi_tensor_apply_kernelINS1_18TensorListMetadataILi4EEENS1_32PointwiseOpScalar0dTensorFunctorIaLi4ELi2ELi3EEEJSt7dividesIaEaEEEvT_T0_DpT1_: ; @_ZN2at6native12_GLOBAL__N_125multi_tensor_apply_kernelINS1_18TensorListMetadataILi4EEENS1_32PointwiseOpScalar0dTensorFunctorIaLi4ELi2ELi3EEEJSt7dividesIaEaEEEvT_T0_DpT1_
; %bb.0:
	v_dual_mov_b32 v1, s15 :: v_dual_mov_b32 v2, 0
	s_add_u32 s2, s0, s15
	s_mul_i32 s4, s15, 3
	s_addc_u32 s3, s1, 0
	global_load_u8 v1, v1, s[0:1] offset:1440
	s_load_b32 s16, s[0:1], 0xbe8
	s_mul_hi_u32 s5, s15, 3
	s_add_u32 s2, s2, s4
	s_addc_u32 s3, s3, s5
	s_mov_b32 s23, 0
	s_load_b32 s2, s[2:3], 0x6e0
	s_waitcnt vmcnt(0)
	v_readfirstlane_b32 s3, v1
	s_delay_alu instid0(VALU_DEP_1)
	s_lshl_b32 s14, s3, 3
	s_waitcnt lgkmcnt(0)
	s_ashr_i32 s3, s2, 31
	s_clause 0x4
	s_load_b64 s[4:5], s[0:1], s14 offset:0x120
	s_load_b64 s[6:7], s[0:1], s14 offset:0x240
	;; [unrolled: 1-line block ×5, first 2 shown]
	s_lshl_b64 s[12:13], s[2:3], 16
	s_waitcnt lgkmcnt(0)
	global_load_u8 v3, v2, s[4:5]
	s_add_u32 s14, s10, s12
	s_addc_u32 s15, s11, s13
	s_add_u32 s2, s4, s12
	s_delay_alu instid0(SALU_CYCLE_1) | instskip(NEXT) | instid1(SALU_CYCLE_1)
	s_and_b32 s22, s2, 3
	s_cmp_lg_u64 s[22:23], 0
	s_cselect_b32 s2, -1, 0
	s_add_u32 s3, s6, s12
	s_addc_u32 s17, s7, s13
	s_add_u32 s18, s8, s12
	s_addc_u32 s19, s9, s13
	s_or_b32 s4, s18, s3
	s_delay_alu instid0(SALU_CYCLE_1) | instskip(NEXT) | instid1(SALU_CYCLE_1)
	s_and_b32 s4, s4, 3
	s_cmp_lg_u32 s4, 0
	s_cselect_b32 s4, -1, 0
	s_delay_alu instid0(SALU_CYCLE_1) | instskip(SKIP_3) | instid1(SALU_CYCLE_1)
	s_or_b32 s2, s4, s2
	s_sub_u32 s4, s20, s12
	s_subb_u32 s5, s21, s13
	s_or_b64 s[20:21], s[20:21], s[14:15]
	s_and_b32 s22, s20, 3
	s_delay_alu instid0(SALU_CYCLE_1) | instskip(SKIP_1) | instid1(SALU_CYCLE_1)
	s_cmp_lg_u64 s[22:23], 0
	s_cselect_b32 s20, -1, 0
	s_or_b32 s2, s2, s20
	s_delay_alu instid0(SALU_CYCLE_1)
	s_and_not1_b32 vcc_lo, exec_lo, s2
	s_mov_b32 s2, -1
	s_cbranch_vccz .LBB56_5
; %bb.1:
	v_lshlrev_b32_e32 v1, 2, v0
	s_mov_b32 s20, exec_lo
	s_delay_alu instid0(VALU_DEP_1)
	v_cmpx_gt_i64_e64 s[4:5], v[1:2]
	s_cbranch_execz .LBB56_4
; %bb.2:
	s_load_b32 s2, s[0:1], 0xbfc
	s_waitcnt vmcnt(0)
	v_bfe_i32 v4, v3, 0, 8
	s_mov_b32 s21, 0
	s_lshr_b32 s23, s16, 16
	s_delay_alu instid0(VALU_DEP_1) | instskip(SKIP_2) | instid1(SALU_CYCLE_1)
	v_cvt_f32_i32_e32 v5, v4
	s_waitcnt lgkmcnt(0)
	s_and_b32 s2, s2, 0xffff
	s_lshl_b32 s22, s2, 2
.LBB56_3:                               ; =>This Inner Loop Header: Depth=1
	v_add_co_u32 v6, vcc_lo, s3, v1
	v_add_co_ci_u32_e32 v7, vcc_lo, s17, v2, vcc_lo
	v_add_co_u32 v8, vcc_lo, s14, v1
	v_add_co_ci_u32_e32 v9, vcc_lo, s15, v2, vcc_lo
	global_load_b32 v10, v[6:7], off
	global_load_b32 v8, v[8:9], off
	v_add_co_u32 v6, vcc_lo, s18, v1
	v_add_co_ci_u32_e32 v7, vcc_lo, s19, v2, vcc_lo
	v_add_co_u32 v1, vcc_lo, s22, v1
	v_add_co_ci_u32_e32 v2, vcc_lo, 0, v2, vcc_lo
	s_delay_alu instid0(VALU_DEP_1)
	v_cmp_le_i64_e32 vcc_lo, s[4:5], v[1:2]
	s_waitcnt vmcnt(1)
	v_bfe_i32 v9, v10, 0, 8
	v_bfe_i32 v14, v10, 16, 8
	;; [unrolled: 1-line block ×3, first 2 shown]
	v_ashrrev_i32_e32 v10, 24, v10
	s_waitcnt vmcnt(0)
	v_lshrrev_b32_e32 v11, 8, v8
	v_xor_b32_e32 v16, v4, v9
	v_cvt_f32_i32_e32 v9, v9
	v_xor_b32_e32 v18, v4, v14
	v_cvt_f32_i32_e32 v14, v14
	;; [unrolled: 2-line block ×3, first 2 shown]
	v_rcp_iflag_f32_e32 v20, v9
	v_xor_b32_e32 v19, v4, v10
	v_rcp_iflag_f32_e32 v22, v14
	v_cvt_f32_i32_e32 v10, v10
	v_rcp_iflag_f32_e32 v21, v12
	v_ashrrev_i32_e32 v17, 30, v17
	v_ashrrev_i32_e32 v18, 30, v18
	;; [unrolled: 1-line block ×3, first 2 shown]
	v_rcp_iflag_f32_e32 v23, v10
	v_ashrrev_i32_e32 v19, 30, v19
	v_mul_f32_e32 v20, v5, v20
	v_or_b32_e32 v17, 1, v17
	v_or_b32_e32 v18, 1, v18
	;; [unrolled: 1-line block ×4, first 2 shown]
	v_trunc_f32_e32 v20, v20
	v_lshrrev_b32_e32 v13, 16, v8
	v_lshrrev_b32_e32 v15, 24, v8
	v_mul_f32_e32 v23, v5, v23
	s_delay_alu instid0(VALU_DEP_4) | instskip(SKIP_2) | instid1(VALU_DEP_4)
	v_fma_f32 v24, -v20, v9, v5
	v_cvt_i32_f32_e32 v20, v20
	v_mul_f32_e32 v22, v5, v22
	v_trunc_f32_e32 v23, v23
	s_delay_alu instid0(VALU_DEP_2) | instskip(NEXT) | instid1(VALU_DEP_2)
	v_trunc_f32_e32 v22, v22
	v_fma_f32 v27, -v23, v10, v5
	v_cvt_i32_f32_e32 v23, v23
	s_delay_alu instid0(VALU_DEP_3) | instskip(SKIP_2) | instid1(VALU_DEP_1)
	v_fma_f32 v26, -v22, v14, v5
	v_cvt_i32_f32_e32 v22, v22
	v_mul_f32_e32 v21, v5, v21
	v_trunc_f32_e32 v21, v21
	s_delay_alu instid0(VALU_DEP_1) | instskip(SKIP_1) | instid1(VALU_DEP_2)
	v_fma_f32 v25, -v21, v12, v5
	v_cvt_i32_f32_e32 v21, v21
	v_cmp_ge_f32_e64 s2, |v25|, |v12|
	s_delay_alu instid0(VALU_DEP_1) | instskip(SKIP_1) | instid1(VALU_DEP_2)
	v_cndmask_b32_e64 v12, 0, v17, s2
	v_cmp_ge_f32_e64 s2, |v26|, |v14|
	v_add_nc_u32_e32 v12, v21, v12
	s_delay_alu instid0(VALU_DEP_2) | instskip(SKIP_1) | instid1(VALU_DEP_3)
	v_cndmask_b32_e64 v14, 0, v18, s2
	v_cmp_ge_f32_e64 s2, |v24|, |v9|
	v_mad_u16 v11, v12, s23, v11
	s_delay_alu instid0(VALU_DEP_3) | instskip(NEXT) | instid1(VALU_DEP_3)
	v_add_nc_u32_e32 v14, v22, v14
	v_cndmask_b32_e64 v9, 0, v16, s2
	v_cmp_ge_f32_e64 s2, |v27|, |v10|
	s_delay_alu instid0(VALU_DEP_3) | instskip(NEXT) | instid1(VALU_DEP_3)
	v_mad_u16 v12, v14, s23, v13
	v_add_nc_u32_e32 v9, v20, v9
	s_delay_alu instid0(VALU_DEP_3) | instskip(SKIP_1) | instid1(VALU_DEP_3)
	v_cndmask_b32_e64 v10, 0, v19, s2
	v_cmp_lt_u64_e64 s2, 0xffff, v[1:2]
	v_mad_u16 v8, v9, s23, v8
	s_delay_alu instid0(VALU_DEP_3) | instskip(NEXT) | instid1(VALU_DEP_3)
	v_add_nc_u32_e32 v10, v23, v10
	s_or_b32 s2, vcc_lo, s2
	s_delay_alu instid0(SALU_CYCLE_1) | instskip(NEXT) | instid1(VALU_DEP_1)
	s_and_b32 s2, exec_lo, s2
	v_mad_u16 v9, v10, s23, v15
	v_and_b32_e32 v10, 0xff, v11
	v_and_b32_e32 v11, 0xff, v12
	s_or_b32 s21, s2, s21
	s_delay_alu instid0(VALU_DEP_3) | instskip(NEXT) | instid1(VALU_DEP_3)
	v_lshlrev_b32_e32 v9, 24, v9
	v_perm_b32 v8, v10, v8, 0x6050400
	s_delay_alu instid0(VALU_DEP_3) | instskip(NEXT) | instid1(VALU_DEP_1)
	v_lshlrev_b32_e32 v10, 16, v11
	v_or3_b32 v8, v8, v10, v9
	global_store_b32 v[6:7], v8, off
	s_and_not1_b32 exec_lo, exec_lo, s21
	s_cbranch_execnz .LBB56_3
.LBB56_4:
	s_or_b32 exec_lo, exec_lo, s20
	s_mov_b32 s2, 0
.LBB56_5:
	s_delay_alu instid0(SALU_CYCLE_1)
	s_and_not1_b32 vcc_lo, exec_lo, s2
	s_cbranch_vccnz .LBB56_25
; %bb.6:
	v_cmp_lt_i64_e64 s2, s[4:5], 1
	s_delay_alu instid0(VALU_DEP_1)
	s_and_b32 vcc_lo, exec_lo, s2
	s_cbranch_vccnz .LBB56_25
; %bb.7:
	s_load_b32 s0, s[0:1], 0xbfc
	v_cmp_gt_u64_e64 s1, 0x10000, s[4:5]
	v_add_co_u32 v1, s2, s12, v0
	s_delay_alu instid0(VALU_DEP_1) | instskip(SKIP_2) | instid1(VALU_DEP_3)
	v_add_co_ci_u32_e64 v2, null, s13, 0, s2
	s_waitcnt vmcnt(0)
	v_bfe_i32 v9, v3, 0, 8
	v_add_co_u32 v11, vcc_lo, s10, v1
	s_delay_alu instid0(VALU_DEP_3)
	v_add_co_ci_u32_e32 v12, vcc_lo, s11, v2, vcc_lo
	v_add_co_u32 v13, vcc_lo, s6, v1
	v_add_co_ci_u32_e32 v14, vcc_lo, s7, v2, vcc_lo
	v_add_co_u32 v15, vcc_lo, s8, v1
	v_add_co_ci_u32_e32 v16, vcc_lo, s9, v2, vcc_lo
	v_cvt_f32_i32_e32 v10, v9
	s_waitcnt lgkmcnt(0)
	s_and_b32 s0, s0, 0xffff
	s_and_b32 s1, s1, exec_lo
	s_mul_i32 s15, s0, 3
	s_cselect_b32 s3, s5, 0
	s_cselect_b32 s2, s4, 0x10000
	s_lshl_b32 s14, s0, 1
	s_lshl_b32 s1, s0, 2
	s_add_u32 s17, s12, s15
	s_addc_u32 s18, s13, 0
	v_add_co_u32 v3, s17, s17, v0
	s_delay_alu instid0(VALU_DEP_1) | instskip(SKIP_1) | instid1(VALU_DEP_2)
	v_add_co_ci_u32_e64 v4, null, s18, 0, s17
	s_add_u32 s12, s12, s14
	v_add_co_u32 v17, vcc_lo, s10, v3
	s_delay_alu instid0(VALU_DEP_2)
	v_add_co_ci_u32_e32 v18, vcc_lo, s11, v4, vcc_lo
	v_add_co_u32 v19, vcc_lo, s6, v3
	v_add_co_ci_u32_e32 v20, vcc_lo, s7, v4, vcc_lo
	v_add_co_u32 v21, vcc_lo, s8, v3
	s_addc_u32 s13, s13, 0
	v_add_co_u32 v3, s12, s12, v0
	v_add_co_ci_u32_e32 v22, vcc_lo, s9, v4, vcc_lo
	v_add_co_ci_u32_e64 v4, null, s13, 0, s12
	s_delay_alu instid0(VALU_DEP_3) | instskip(SKIP_1) | instid1(VALU_DEP_3)
	v_add_co_u32 v25, vcc_lo, s10, v3
	v_add_co_u32 v23, s12, s15, v0
	v_add_co_ci_u32_e32 v26, vcc_lo, s11, v4, vcc_lo
	v_add_co_u32 v27, vcc_lo, s6, v3
	v_add_co_ci_u32_e32 v28, vcc_lo, s7, v4, vcc_lo
	v_add_co_u32 v29, vcc_lo, s8, v3
	;; [unrolled: 2-line block ×3, first 2 shown]
	v_add_co_ci_u32_e32 v2, vcc_lo, 0, v2, vcc_lo
	v_add_co_ci_u32_e64 v24, null, 0, 0, s12
	s_delay_alu instid0(VALU_DEP_3) | instskip(NEXT) | instid1(VALU_DEP_3)
	v_add_co_u32 v33, vcc_lo, s10, v1
	v_add_co_ci_u32_e32 v34, vcc_lo, s11, v2, vcc_lo
	v_add_co_u32 v35, vcc_lo, s6, v1
	v_add_co_ci_u32_e32 v36, vcc_lo, s7, v2, vcc_lo
	v_add_co_u32 v31, s12, s14, v0
	v_add_co_u32 v37, vcc_lo, s8, v1
	v_add_co_u32 v39, s0, v0, s0
	v_add_co_ci_u32_e64 v32, null, 0, 0, s12
	v_add_co_ci_u32_e32 v38, vcc_lo, s9, v2, vcc_lo
	v_add_co_ci_u32_e64 v40, null, 0, 0, s0
	s_mov_b64 s[6:7], 0
	s_lshr_b32 s8, s16, 16
	s_branch .LBB56_9
.LBB56_8:                               ;   in Loop: Header=BB56_9 Depth=1
	s_or_b32 exec_lo, exec_lo, s0
	s_add_u32 s6, s6, s1
	s_addc_u32 s7, s7, 0
	s_delay_alu instid0(SALU_CYCLE_1) | instskip(SKIP_1) | instid1(VALU_DEP_1)
	v_cmp_ge_i64_e64 s0, s[6:7], s[4:5]
	v_cmp_lt_u64_e64 s9, 0xffff, s[6:7]
	s_or_b32 s0, s0, s9
	s_delay_alu instid0(SALU_CYCLE_1)
	s_and_b32 vcc_lo, exec_lo, s0
	s_cbranch_vccnz .LBB56_25
.LBB56_9:                               ; =>This Inner Loop Header: Depth=1
	v_add_co_u32 v1, s0, v0, s6
	s_delay_alu instid0(VALU_DEP_1) | instskip(SKIP_2) | instid1(VALU_DEP_2)
	v_add_co_ci_u32_e64 v2, null, 0, s7, s0
	s_waitcnt vmcnt(0)
	v_dual_mov_b32 v42, 0 :: v_dual_mov_b32 v41, 0
	v_cmp_gt_i64_e32 vcc_lo, s[4:5], v[1:2]
	v_cmp_gt_u64_e64 s0, 0x10000, v[1:2]
	s_delay_alu instid0(VALU_DEP_1) | instskip(NEXT) | instid1(SALU_CYCLE_1)
	s_and_b32 s9, vcc_lo, s0
	s_and_saveexec_b32 s0, s9
	s_cbranch_execz .LBB56_11
; %bb.10:                               ;   in Loop: Header=BB56_9 Depth=1
	v_add_co_u32 v3, vcc_lo, v11, s6
	v_add_co_ci_u32_e32 v4, vcc_lo, s7, v12, vcc_lo
	v_add_co_u32 v5, vcc_lo, v13, s6
	v_add_co_ci_u32_e32 v6, vcc_lo, s7, v14, vcc_lo
	global_load_u8 v41, v[3:4], off
	global_load_u8 v42, v[5:6], off
.LBB56_11:                              ;   in Loop: Header=BB56_9 Depth=1
	s_or_b32 exec_lo, exec_lo, s0
	v_add_co_u32 v3, vcc_lo, v39, s6
	v_add_co_ci_u32_e32 v4, vcc_lo, s7, v40, vcc_lo
	s_delay_alu instid0(VALU_DEP_1) | instskip(SKIP_1) | instid1(VALU_DEP_1)
	v_cmp_gt_i64_e32 vcc_lo, s[4:5], v[3:4]
	v_cmp_gt_u64_e64 s0, 0x10000, v[3:4]
	s_and_b32 s9, vcc_lo, s0
	s_delay_alu instid0(SALU_CYCLE_1)
	s_and_saveexec_b32 s0, s9
	s_cbranch_execz .LBB56_13
; %bb.12:                               ;   in Loop: Header=BB56_9 Depth=1
	v_add_co_u32 v5, vcc_lo, v33, s6
	v_add_co_ci_u32_e32 v6, vcc_lo, s7, v34, vcc_lo
	v_add_co_u32 v7, vcc_lo, v35, s6
	v_add_co_ci_u32_e32 v8, vcc_lo, s7, v36, vcc_lo
	global_load_u8 v5, v[5:6], off
	global_load_u8 v6, v[7:8], off
	s_waitcnt vmcnt(1)
	v_lshl_or_b32 v41, v5, 8, v41
	s_waitcnt vmcnt(0)
	v_lshl_or_b32 v42, v6, 8, v42
.LBB56_13:                              ;   in Loop: Header=BB56_9 Depth=1
	s_or_b32 exec_lo, exec_lo, s0
	v_add_co_u32 v5, vcc_lo, v31, s6
	v_add_co_ci_u32_e32 v6, vcc_lo, s7, v32, vcc_lo
	s_delay_alu instid0(VALU_DEP_1) | instskip(SKIP_1) | instid1(VALU_DEP_1)
	v_cmp_gt_i64_e32 vcc_lo, s[4:5], v[5:6]
	v_cmp_gt_u64_e64 s0, 0x10000, v[5:6]
	s_and_b32 s9, vcc_lo, s0
	s_delay_alu instid0(SALU_CYCLE_1)
	s_and_saveexec_b32 s0, s9
	s_cbranch_execz .LBB56_15
; %bb.14:                               ;   in Loop: Header=BB56_9 Depth=1
	v_add_co_u32 v7, vcc_lo, v25, s6
	v_add_co_ci_u32_e32 v8, vcc_lo, s7, v26, vcc_lo
	v_add_co_u32 v43, vcc_lo, v27, s6
	v_add_co_ci_u32_e32 v44, vcc_lo, s7, v28, vcc_lo
	global_load_u8 v7, v[7:8], off
	global_load_u8 v8, v[43:44], off
	s_waitcnt vmcnt(1)
	v_lshl_or_b32 v41, v7, 16, v41
	s_waitcnt vmcnt(0)
	v_lshl_or_b32 v42, v8, 16, v42
.LBB56_15:                              ;   in Loop: Header=BB56_9 Depth=1
	s_or_b32 exec_lo, exec_lo, s0
	v_add_co_u32 v7, vcc_lo, v23, s6
	v_add_co_ci_u32_e32 v8, vcc_lo, s7, v24, vcc_lo
	s_delay_alu instid0(VALU_DEP_1) | instskip(SKIP_1) | instid1(VALU_DEP_1)
	v_cmp_gt_i64_e32 vcc_lo, s[4:5], v[7:8]
	v_cmp_gt_u64_e64 s0, 0x10000, v[7:8]
	s_and_b32 s9, vcc_lo, s0
	s_delay_alu instid0(SALU_CYCLE_1)
	s_and_saveexec_b32 s0, s9
	s_cbranch_execnz .LBB56_20
; %bb.16:                               ;   in Loop: Header=BB56_9 Depth=1
	s_or_b32 exec_lo, exec_lo, s0
	s_delay_alu instid0(SALU_CYCLE_1)
	s_mov_b32 s0, exec_lo
	v_cmpx_gt_u64_e64 s[2:3], v[1:2]
	s_cbranch_execnz .LBB56_21
.LBB56_17:                              ;   in Loop: Header=BB56_9 Depth=1
	s_or_b32 exec_lo, exec_lo, s0
	s_delay_alu instid0(SALU_CYCLE_1)
	s_mov_b32 s0, exec_lo
	v_cmpx_gt_u64_e64 s[2:3], v[3:4]
	s_cbranch_execnz .LBB56_22
.LBB56_18:                              ;   in Loop: Header=BB56_9 Depth=1
	s_or_b32 exec_lo, exec_lo, s0
	s_delay_alu instid0(SALU_CYCLE_1)
	s_mov_b32 s0, exec_lo
	v_cmpx_gt_u64_e64 s[2:3], v[5:6]
	s_cbranch_execnz .LBB56_23
.LBB56_19:                              ;   in Loop: Header=BB56_9 Depth=1
	s_or_b32 exec_lo, exec_lo, s0
	s_delay_alu instid0(SALU_CYCLE_1)
	s_mov_b32 s0, exec_lo
	v_cmpx_gt_u64_e64 s[2:3], v[7:8]
	s_cbranch_execz .LBB56_8
	s_branch .LBB56_24
.LBB56_20:                              ;   in Loop: Header=BB56_9 Depth=1
	v_add_co_u32 v43, vcc_lo, v17, s6
	v_add_co_ci_u32_e32 v44, vcc_lo, s7, v18, vcc_lo
	v_add_co_u32 v45, vcc_lo, v19, s6
	v_add_co_ci_u32_e32 v46, vcc_lo, s7, v20, vcc_lo
	global_load_u8 v43, v[43:44], off
	global_load_u8 v44, v[45:46], off
	s_waitcnt vmcnt(1)
	v_lshl_or_b32 v41, v43, 24, v41
	s_waitcnt vmcnt(0)
	v_lshl_or_b32 v42, v44, 24, v42
	s_or_b32 exec_lo, exec_lo, s0
	s_delay_alu instid0(SALU_CYCLE_1)
	s_mov_b32 s0, exec_lo
	v_cmpx_gt_u64_e64 s[2:3], v[1:2]
	s_cbranch_execz .LBB56_17
.LBB56_21:                              ;   in Loop: Header=BB56_9 Depth=1
	s_waitcnt vmcnt(0)
	v_bfe_i32 v1, v42, 0, 8
	s_delay_alu instid0(VALU_DEP_1) | instskip(SKIP_1) | instid1(VALU_DEP_2)
	v_cvt_f32_i32_e32 v2, v1
	v_xor_b32_e32 v1, v9, v1
	v_rcp_iflag_f32_e32 v43, v2
	s_delay_alu instid0(VALU_DEP_1) | instskip(NEXT) | instid1(VALU_DEP_1)
	v_ashrrev_i32_e32 v1, 30, v1
	v_or_b32_e32 v1, 1, v1
	s_waitcnt_depctr 0xfff
	v_mul_f32_e32 v43, v10, v43
	s_delay_alu instid0(VALU_DEP_1) | instskip(NEXT) | instid1(VALU_DEP_1)
	v_trunc_f32_e32 v43, v43
	v_fma_f32 v44, -v43, v2, v10
	v_cvt_i32_f32_e32 v43, v43
	s_delay_alu instid0(VALU_DEP_2) | instskip(SKIP_1) | instid1(VALU_DEP_1)
	v_cmp_ge_f32_e64 vcc_lo, |v44|, |v2|
	v_cndmask_b32_e32 v1, 0, v1, vcc_lo
	v_add_nc_u32_e32 v1, v43, v1
	s_delay_alu instid0(VALU_DEP_1) | instskip(SKIP_4) | instid1(SALU_CYCLE_1)
	v_mad_u16 v43, v1, s8, v41
	v_add_co_u32 v1, vcc_lo, v15, s6
	v_add_co_ci_u32_e32 v2, vcc_lo, s7, v16, vcc_lo
	global_store_b8 v[1:2], v43, off
	s_or_b32 exec_lo, exec_lo, s0
	s_mov_b32 s0, exec_lo
	v_cmpx_gt_u64_e64 s[2:3], v[3:4]
	s_cbranch_execz .LBB56_18
.LBB56_22:                              ;   in Loop: Header=BB56_9 Depth=1
	s_waitcnt vmcnt(0)
	v_bfe_i32 v1, v42, 8, 8
	s_delay_alu instid0(VALU_DEP_1) | instskip(SKIP_1) | instid1(VALU_DEP_2)
	v_cvt_f32_i32_e32 v2, v1
	v_xor_b32_e32 v1, v9, v1
	v_rcp_iflag_f32_e32 v3, v2
	s_delay_alu instid0(VALU_DEP_1) | instskip(NEXT) | instid1(VALU_DEP_1)
	v_ashrrev_i32_e32 v1, 30, v1
	v_or_b32_e32 v1, 1, v1
	s_waitcnt_depctr 0xfff
	v_mul_f32_e32 v3, v10, v3
	s_delay_alu instid0(VALU_DEP_1) | instskip(NEXT) | instid1(VALU_DEP_1)
	v_trunc_f32_e32 v3, v3
	v_fma_f32 v4, -v3, v2, v10
	v_cvt_i32_f32_e32 v3, v3
	s_delay_alu instid0(VALU_DEP_2) | instskip(SKIP_2) | instid1(VALU_DEP_1)
	v_cmp_ge_f32_e64 vcc_lo, |v4|, |v2|
	v_lshrrev_b32_e32 v2, 8, v41
	v_cndmask_b32_e32 v1, 0, v1, vcc_lo
	v_add_nc_u32_e32 v1, v3, v1
	s_delay_alu instid0(VALU_DEP_1) | instskip(SKIP_4) | instid1(SALU_CYCLE_1)
	v_mad_u16 v3, v1, s8, v2
	v_add_co_u32 v1, vcc_lo, v37, s6
	v_add_co_ci_u32_e32 v2, vcc_lo, s7, v38, vcc_lo
	global_store_b8 v[1:2], v3, off
	s_or_b32 exec_lo, exec_lo, s0
	s_mov_b32 s0, exec_lo
	v_cmpx_gt_u64_e64 s[2:3], v[5:6]
	s_cbranch_execz .LBB56_19
.LBB56_23:                              ;   in Loop: Header=BB56_9 Depth=1
	s_waitcnt vmcnt(0)
	v_bfe_i32 v1, v42, 16, 8
	s_delay_alu instid0(VALU_DEP_1) | instskip(SKIP_1) | instid1(VALU_DEP_2)
	v_cvt_f32_i32_e32 v2, v1
	v_xor_b32_e32 v1, v9, v1
	v_rcp_iflag_f32_e32 v3, v2
	s_delay_alu instid0(VALU_DEP_1) | instskip(NEXT) | instid1(VALU_DEP_1)
	v_ashrrev_i32_e32 v1, 30, v1
	v_or_b32_e32 v1, 1, v1
	s_waitcnt_depctr 0xfff
	v_mul_f32_e32 v3, v10, v3
	s_delay_alu instid0(VALU_DEP_1) | instskip(NEXT) | instid1(VALU_DEP_1)
	v_trunc_f32_e32 v3, v3
	v_fma_f32 v4, -v3, v2, v10
	v_cvt_i32_f32_e32 v3, v3
	s_delay_alu instid0(VALU_DEP_2) | instskip(SKIP_2) | instid1(VALU_DEP_1)
	v_cmp_ge_f32_e64 vcc_lo, |v4|, |v2|
	v_lshrrev_b32_e32 v2, 16, v41
	v_cndmask_b32_e32 v1, 0, v1, vcc_lo
	v_add_nc_u32_e32 v1, v3, v1
	s_delay_alu instid0(VALU_DEP_1) | instskip(SKIP_4) | instid1(SALU_CYCLE_1)
	v_mad_u16 v3, v1, s8, v2
	v_add_co_u32 v1, vcc_lo, v29, s6
	v_add_co_ci_u32_e32 v2, vcc_lo, s7, v30, vcc_lo
	global_store_b8 v[1:2], v3, off
	s_or_b32 exec_lo, exec_lo, s0
	s_mov_b32 s0, exec_lo
	v_cmpx_gt_u64_e64 s[2:3], v[7:8]
	s_cbranch_execz .LBB56_8
.LBB56_24:                              ;   in Loop: Header=BB56_9 Depth=1
	s_waitcnt vmcnt(0)
	v_ashrrev_i32_e32 v1, 24, v42
	s_delay_alu instid0(VALU_DEP_1) | instskip(SKIP_1) | instid1(VALU_DEP_2)
	v_cvt_f32_i32_e32 v2, v1
	v_xor_b32_e32 v1, v9, v1
	v_rcp_iflag_f32_e32 v3, v2
	s_delay_alu instid0(VALU_DEP_1) | instskip(NEXT) | instid1(VALU_DEP_1)
	v_ashrrev_i32_e32 v1, 30, v1
	v_or_b32_e32 v1, 1, v1
	s_waitcnt_depctr 0xfff
	v_mul_f32_e32 v3, v10, v3
	s_delay_alu instid0(VALU_DEP_1) | instskip(NEXT) | instid1(VALU_DEP_1)
	v_trunc_f32_e32 v3, v3
	v_fma_f32 v4, -v3, v2, v10
	v_cvt_i32_f32_e32 v3, v3
	s_delay_alu instid0(VALU_DEP_2) | instskip(SKIP_2) | instid1(VALU_DEP_1)
	v_cmp_ge_f32_e64 vcc_lo, |v4|, |v2|
	v_lshrrev_b32_e32 v2, 24, v41
	v_cndmask_b32_e32 v1, 0, v1, vcc_lo
	v_add_nc_u32_e32 v1, v3, v1
	s_delay_alu instid0(VALU_DEP_1)
	v_mad_u16 v3, v1, s8, v2
	v_add_co_u32 v1, vcc_lo, v21, s6
	v_add_co_ci_u32_e32 v2, vcc_lo, s7, v22, vcc_lo
	global_store_b8 v[1:2], v3, off
	s_branch .LBB56_8
.LBB56_25:
	s_nop 0
	s_sendmsg sendmsg(MSG_DEALLOC_VGPRS)
	s_endpgm
	.section	.rodata,"a",@progbits
	.p2align	6, 0x0
	.amdhsa_kernel _ZN2at6native12_GLOBAL__N_125multi_tensor_apply_kernelINS1_18TensorListMetadataILi4EEENS1_32PointwiseOpScalar0dTensorFunctorIaLi4ELi2ELi3EEEJSt7dividesIaEaEEEvT_T0_DpT1_
		.amdhsa_group_segment_fixed_size 0
		.amdhsa_private_segment_fixed_size 0
		.amdhsa_kernarg_size 3312
		.amdhsa_user_sgpr_count 15
		.amdhsa_user_sgpr_dispatch_ptr 0
		.amdhsa_user_sgpr_queue_ptr 0
		.amdhsa_user_sgpr_kernarg_segment_ptr 1
		.amdhsa_user_sgpr_dispatch_id 0
		.amdhsa_user_sgpr_private_segment_size 0
		.amdhsa_wavefront_size32 1
		.amdhsa_uses_dynamic_stack 0
		.amdhsa_enable_private_segment 0
		.amdhsa_system_sgpr_workgroup_id_x 1
		.amdhsa_system_sgpr_workgroup_id_y 0
		.amdhsa_system_sgpr_workgroup_id_z 0
		.amdhsa_system_sgpr_workgroup_info 0
		.amdhsa_system_vgpr_workitem_id 0
		.amdhsa_next_free_vgpr 47
		.amdhsa_next_free_sgpr 24
		.amdhsa_reserve_vcc 1
		.amdhsa_float_round_mode_32 0
		.amdhsa_float_round_mode_16_64 0
		.amdhsa_float_denorm_mode_32 3
		.amdhsa_float_denorm_mode_16_64 3
		.amdhsa_dx10_clamp 1
		.amdhsa_ieee_mode 1
		.amdhsa_fp16_overflow 0
		.amdhsa_workgroup_processor_mode 1
		.amdhsa_memory_ordered 1
		.amdhsa_forward_progress 0
		.amdhsa_shared_vgpr_count 0
		.amdhsa_exception_fp_ieee_invalid_op 0
		.amdhsa_exception_fp_denorm_src 0
		.amdhsa_exception_fp_ieee_div_zero 0
		.amdhsa_exception_fp_ieee_overflow 0
		.amdhsa_exception_fp_ieee_underflow 0
		.amdhsa_exception_fp_ieee_inexact 0
		.amdhsa_exception_int_div_zero 0
	.end_amdhsa_kernel
	.section	.text._ZN2at6native12_GLOBAL__N_125multi_tensor_apply_kernelINS1_18TensorListMetadataILi4EEENS1_32PointwiseOpScalar0dTensorFunctorIaLi4ELi2ELi3EEEJSt7dividesIaEaEEEvT_T0_DpT1_,"axG",@progbits,_ZN2at6native12_GLOBAL__N_125multi_tensor_apply_kernelINS1_18TensorListMetadataILi4EEENS1_32PointwiseOpScalar0dTensorFunctorIaLi4ELi2ELi3EEEJSt7dividesIaEaEEEvT_T0_DpT1_,comdat
.Lfunc_end56:
	.size	_ZN2at6native12_GLOBAL__N_125multi_tensor_apply_kernelINS1_18TensorListMetadataILi4EEENS1_32PointwiseOpScalar0dTensorFunctorIaLi4ELi2ELi3EEEJSt7dividesIaEaEEEvT_T0_DpT1_, .Lfunc_end56-_ZN2at6native12_GLOBAL__N_125multi_tensor_apply_kernelINS1_18TensorListMetadataILi4EEENS1_32PointwiseOpScalar0dTensorFunctorIaLi4ELi2ELi3EEEJSt7dividesIaEaEEEvT_T0_DpT1_
                                        ; -- End function
	.section	.AMDGPU.csdata,"",@progbits
; Kernel info:
; codeLenInByte = 2480
; NumSgprs: 26
; NumVgprs: 47
; ScratchSize: 0
; MemoryBound: 0
; FloatMode: 240
; IeeeMode: 1
; LDSByteSize: 0 bytes/workgroup (compile time only)
; SGPRBlocks: 3
; VGPRBlocks: 5
; NumSGPRsForWavesPerEU: 26
; NumVGPRsForWavesPerEU: 47
; Occupancy: 16
; WaveLimiterHint : 0
; COMPUTE_PGM_RSRC2:SCRATCH_EN: 0
; COMPUTE_PGM_RSRC2:USER_SGPR: 15
; COMPUTE_PGM_RSRC2:TRAP_HANDLER: 0
; COMPUTE_PGM_RSRC2:TGID_X_EN: 1
; COMPUTE_PGM_RSRC2:TGID_Y_EN: 0
; COMPUTE_PGM_RSRC2:TGID_Z_EN: 0
; COMPUTE_PGM_RSRC2:TIDIG_COMP_CNT: 0
	.section	.text._ZN2at6native12_GLOBAL__N_125multi_tensor_apply_kernelINS1_18TensorListMetadataILi4EEENS1_32PointwiseOpScalar0dTensorFunctorIiLi4ELi2ELi3EEEJSt7dividesIiEiEEEvT_T0_DpT1_,"axG",@progbits,_ZN2at6native12_GLOBAL__N_125multi_tensor_apply_kernelINS1_18TensorListMetadataILi4EEENS1_32PointwiseOpScalar0dTensorFunctorIiLi4ELi2ELi3EEEJSt7dividesIiEiEEEvT_T0_DpT1_,comdat
	.globl	_ZN2at6native12_GLOBAL__N_125multi_tensor_apply_kernelINS1_18TensorListMetadataILi4EEENS1_32PointwiseOpScalar0dTensorFunctorIiLi4ELi2ELi3EEEJSt7dividesIiEiEEEvT_T0_DpT1_ ; -- Begin function _ZN2at6native12_GLOBAL__N_125multi_tensor_apply_kernelINS1_18TensorListMetadataILi4EEENS1_32PointwiseOpScalar0dTensorFunctorIiLi4ELi2ELi3EEEJSt7dividesIiEiEEEvT_T0_DpT1_
	.p2align	8
	.type	_ZN2at6native12_GLOBAL__N_125multi_tensor_apply_kernelINS1_18TensorListMetadataILi4EEENS1_32PointwiseOpScalar0dTensorFunctorIiLi4ELi2ELi3EEEJSt7dividesIiEiEEEvT_T0_DpT1_,@function
_ZN2at6native12_GLOBAL__N_125multi_tensor_apply_kernelINS1_18TensorListMetadataILi4EEENS1_32PointwiseOpScalar0dTensorFunctorIiLi4ELi2ELi3EEEJSt7dividesIiEiEEEvT_T0_DpT1_: ; @_ZN2at6native12_GLOBAL__N_125multi_tensor_apply_kernelINS1_18TensorListMetadataILi4EEENS1_32PointwiseOpScalar0dTensorFunctorIiLi4ELi2ELi3EEEJSt7dividesIiEiEEEvT_T0_DpT1_
; %bb.0:
	v_mov_b32_e32 v1, s15
	s_add_u32 s2, s0, s15
	s_mul_hi_u32 s3, s15, 3
	s_mul_i32 s15, s15, 3
	s_addc_u32 s4, s1, 0
	global_load_u8 v1, v1, s[0:1] offset:1440
	s_load_b32 s16, s[0:1], 0xbec
	s_add_u32 s2, s2, s15
	s_addc_u32 s3, s4, s3
	s_mov_b32 s27, 0
	s_load_b32 s2, s[2:3], 0x6e0
	s_mov_b32 s9, s27
	s_mov_b32 s31, s27
	s_waitcnt vmcnt(0)
	v_readfirstlane_b32 s3, v1
	s_delay_alu instid0(VALU_DEP_1)
	s_lshl_b32 s4, s3, 3
	s_waitcnt lgkmcnt(0)
	s_ashr_i32 s3, s2, 31
	s_clause 0x3
	s_load_b64 s[10:11], s[0:1], s4 offset:0x0
	s_load_b64 s[24:25], s[0:1], s4 offset:0x120
	;; [unrolled: 1-line block ×4, first 2 shown]
	s_lshl_b64 s[6:7], s[2:3], 18
	s_load_b64 s[28:29], s[0:1], s4 offset:0x480
	s_waitcnt lgkmcnt(0)
	s_add_u32 s5, s10, s6
	s_addc_u32 s17, s11, s7
	s_add_u32 s4, s24, s6
	s_and_b32 s26, s5, 15
	s_and_b32 s8, s4, 15
	s_load_b32 s20, s[24:25], 0x0
	s_cmp_lg_u64 s[8:9], 0
	s_cselect_b32 s4, -1, 0
	s_add_u32 s18, s12, s6
	s_addc_u32 s19, s13, s7
	s_add_u32 s21, s14, s6
	s_addc_u32 s22, s15, s7
	s_or_b32 s8, s21, s18
	s_delay_alu instid0(SALU_CYCLE_1) | instskip(NEXT) | instid1(SALU_CYCLE_1)
	s_and_b32 s8, s8, 15
	s_cmp_lg_u32 s8, 0
	s_cselect_b32 s8, -1, 0
	s_lshl_b64 s[2:3], s[2:3], 16
	s_or_b32 s4, s8, s4
	s_sub_u32 s8, s28, s2
	s_subb_u32 s9, s29, s3
	s_and_b32 s30, s28, 3
	s_delay_alu instid0(SALU_CYCLE_1) | instskip(NEXT) | instid1(SALU_CYCLE_1)
	s_or_b64 s[2:3], s[26:27], s[30:31]
	s_cmp_lg_u64 s[2:3], 0
	s_cselect_b32 s2, -1, 0
	s_delay_alu instid0(SALU_CYCLE_1) | instskip(NEXT) | instid1(SALU_CYCLE_1)
	s_or_b32 s2, s4, s2
	s_and_not1_b32 vcc_lo, exec_lo, s2
	s_mov_b32 s2, -1
	s_cbranch_vccz .LBB57_5
; %bb.1:
	v_dual_mov_b32 v2, 0 :: v_dual_lshlrev_b32 v1, 2, v0
	s_mov_b32 s23, exec_lo
	s_delay_alu instid0(VALU_DEP_1)
	v_cmpx_gt_i64_e64 s[8:9], v[1:2]
	s_cbranch_execz .LBB57_4
; %bb.2:
	s_load_b32 s2, s[0:1], 0xbfc
	v_lshlrev_b32_e32 v3, 4, v0
	s_waitcnt lgkmcnt(0)
	s_ashr_i32 s24, s20, 31
	s_abs_i32 s25, s20
	s_mov_b32 s26, 0
	s_and_b32 s2, s2, 0xffff
	s_delay_alu instid0(SALU_CYCLE_1)
	v_add_lshl_u32 v1, v0, s2, 2
	s_lshl_b32 s27, s2, 2
	s_lshl_b32 s28, s2, 4
.LBB57_3:                               ; =>This Inner Loop Header: Depth=1
	v_add_co_u32 v4, s2, s18, v3
	s_delay_alu instid0(VALU_DEP_1) | instskip(SKIP_1) | instid1(VALU_DEP_1)
	v_add_co_ci_u32_e64 v5, null, s19, 0, s2
	v_add_co_u32 v8, s2, s5, v3
	v_add_co_ci_u32_e64 v9, null, s17, 0, s2
	global_load_b128 v[4:7], v[4:5], off
	global_load_b128 v[8:11], v[8:9], off
	v_cmp_le_i64_e32 vcc_lo, s[8:9], v[1:2]
	v_cmp_lt_u64_e64 s2, 0xffff, v[1:2]
	v_add_co_u32 v12, s3, s21, v3
	s_delay_alu instid0(VALU_DEP_1) | instskip(SKIP_1) | instid1(VALU_DEP_4)
	v_add_co_ci_u32_e64 v13, null, s22, 0, s3
	v_add_co_u32 v1, s3, v1, s27
	s_or_b32 s29, vcc_lo, s2
	v_add_co_ci_u32_e64 v2, s3, 0, v2, s3
	s_add_u32 s5, s5, s28
	s_addc_u32 s17, s17, 0
	s_add_u32 s21, s21, s28
	s_addc_u32 s22, s22, 0
	;; [unrolled: 2-line block ×3, first 2 shown]
	s_waitcnt vmcnt(1)
	v_sub_nc_u32_e32 v16, 0, v4
	v_ashrrev_i32_e32 v15, 31, v4
	v_ashrrev_i32_e32 v17, 31, v5
	v_ashrrev_i32_e32 v19, 31, v6
	v_sub_nc_u32_e32 v20, 0, v6
	v_max_i32_e32 v4, v4, v16
	v_sub_nc_u32_e32 v22, 0, v7
	v_xor_b32_e32 v16, s24, v17
	v_xor_b32_e32 v17, s24, v19
	v_max_i32_e32 v6, v6, v20
	v_cvt_f32_u32_e32 v19, v4
	v_sub_nc_u32_e32 v20, 0, v4
	v_ashrrev_i32_e32 v21, 31, v7
	v_max_i32_e32 v7, v7, v22
	v_sub_nc_u32_e32 v18, 0, v5
	v_rcp_iflag_f32_e32 v19, v19
	s_waitcnt vmcnt(0)
	v_mov_b32_e32 v14, v11
	v_cvt_f32_u32_e32 v23, v6
	v_cvt_f32_u32_e32 v25, v7
	v_max_i32_e32 v5, v5, v18
	v_xor_b32_e32 v18, s24, v21
	v_sub_nc_u32_e32 v26, 0, v7
	v_rcp_iflag_f32_e32 v23, v23
	v_rcp_iflag_f32_e32 v25, v25
	v_cvt_f32_u32_e32 v21, v5
	v_mul_f32_e32 v19, 0x4f7ffffe, v19
	v_sub_nc_u32_e32 v22, 0, v5
	v_sub_nc_u32_e32 v24, 0, v6
	v_xor_b32_e32 v15, s24, v15
	v_rcp_iflag_f32_e32 v21, v21
	v_cvt_u32_f32_e32 v19, v19
	s_delay_alu instid0(VALU_DEP_1) | instskip(NEXT) | instid1(VALU_DEP_1)
	v_mul_lo_u32 v20, v20, v19
	v_mul_hi_u32 v20, v19, v20
	s_delay_alu instid0(VALU_DEP_1) | instskip(NEXT) | instid1(VALU_DEP_1)
	v_add_nc_u32_e32 v19, v19, v20
	v_mul_hi_u32 v19, s25, v19
	v_mul_f32_e32 v25, 0x4f7ffffe, v25
	s_delay_alu instid0(VALU_DEP_1) | instskip(NEXT) | instid1(VALU_DEP_1)
	v_cvt_u32_f32_e32 v25, v25
	v_mul_lo_u32 v26, v26, v25
	s_delay_alu instid0(VALU_DEP_1) | instskip(SKIP_1) | instid1(VALU_DEP_1)
	v_mul_hi_u32 v26, v25, v26
	v_mul_f32_e32 v21, 0x4f7ffffe, v21
	v_cvt_u32_f32_e32 v21, v21
	s_delay_alu instid0(VALU_DEP_1) | instskip(NEXT) | instid1(VALU_DEP_1)
	v_mul_lo_u32 v22, v22, v21
	v_mul_hi_u32 v22, v21, v22
	s_delay_alu instid0(VALU_DEP_1) | instskip(NEXT) | instid1(VALU_DEP_1)
	v_dual_mul_f32 v23, 0x4f7ffffe, v23 :: v_dual_add_nc_u32 v20, v21, v22
	v_cvt_u32_f32_e32 v23, v23
	v_add_nc_u32_e32 v22, v25, v26
	s_delay_alu instid0(VALU_DEP_3) | instskip(NEXT) | instid1(VALU_DEP_3)
	v_mul_hi_u32 v20, s25, v20
	v_mul_lo_u32 v24, v24, v23
	s_delay_alu instid0(VALU_DEP_3) | instskip(NEXT) | instid1(VALU_DEP_3)
	v_mul_hi_u32 v22, s25, v22
	v_mul_lo_u32 v25, v20, v5
	;; [unrolled: 3-line block ×3, first 2 shown]
	s_delay_alu instid0(VALU_DEP_3) | instskip(NEXT) | instid1(VALU_DEP_3)
	v_sub_nc_u32_e32 v25, s25, v25
	v_add_nc_u32_e32 v21, v23, v24
	v_mul_lo_u32 v23, v19, v4
	v_add_nc_u32_e32 v24, 1, v19
	v_sub_nc_u32_e32 v27, s25, v27
	v_cmp_ge_u32_e64 s2, v25, v5
	v_mul_hi_u32 v21, s25, v21
	s_delay_alu instid0(VALU_DEP_3) | instskip(SKIP_1) | instid1(VALU_DEP_3)
	v_cmp_ge_u32_e64 s4, v27, v7
	v_sub_nc_u32_e32 v23, s25, v23
	v_mul_lo_u32 v26, v21, v6
	s_delay_alu instid0(VALU_DEP_2) | instskip(SKIP_2) | instid1(VALU_DEP_4)
	v_cmp_ge_u32_e32 vcc_lo, v23, v4
	v_dual_cndmask_b32 v19, v19, v24 :: v_dual_add_nc_u32 v30, 1, v22
	v_sub_nc_u32_e32 v24, v23, v4
	v_sub_nc_u32_e32 v26, s25, v26
	s_delay_alu instid0(VALU_DEP_3) | instskip(SKIP_1) | instid1(VALU_DEP_4)
	v_cndmask_b32_e64 v22, v22, v30, s4
	v_sub_nc_u32_e32 v30, v27, v7
	v_dual_cndmask_b32 v23, v23, v24 :: v_dual_add_nc_u32 v24, 1, v19
	s_delay_alu instid0(VALU_DEP_4) | instskip(NEXT) | instid1(VALU_DEP_3)
	v_cmp_ge_u32_e64 s3, v26, v6
	v_cndmask_b32_e64 v27, v27, v30, s4
	s_delay_alu instid0(VALU_DEP_3) | instskip(NEXT) | instid1(VALU_DEP_4)
	v_cmp_ge_u32_e32 vcc_lo, v23, v4
	v_dual_cndmask_b32 v4, v19, v24 :: v_dual_add_nc_u32 v29, 1, v21
	s_delay_alu instid0(VALU_DEP_1) | instskip(SKIP_2) | instid1(VALU_DEP_4)
	v_cndmask_b32_e64 v21, v21, v29, s3
	v_sub_nc_u32_e32 v29, v26, v6
	v_cmp_ge_u32_e32 vcc_lo, v27, v7
	v_xor_b32_e32 v4, v4, v15
	s_delay_alu instid0(VALU_DEP_3) | instskip(SKIP_1) | instid1(VALU_DEP_1)
	v_cndmask_b32_e64 v26, v26, v29, s3
	v_add_nc_u32_e32 v29, 1, v22
	v_dual_cndmask_b32 v7, v22, v29 :: v_dual_add_nc_u32 v28, 1, v20
	s_delay_alu instid0(VALU_DEP_1) | instskip(SKIP_1) | instid1(VALU_DEP_3)
	v_cndmask_b32_e64 v20, v20, v28, s2
	v_sub_nc_u32_e32 v28, v25, v5
	v_xor_b32_e32 v7, v7, v18
	s_delay_alu instid0(VALU_DEP_2) | instskip(NEXT) | instid1(VALU_DEP_4)
	v_cndmask_b32_e64 v25, v25, v28, s2
	v_add_nc_u32_e32 v28, 1, v20
	s_and_b32 s2, exec_lo, s29
	s_delay_alu instid0(VALU_DEP_3)
	v_sub_nc_u32_e32 v7, v7, v18
	v_sub_nc_u32_e32 v18, v4, v15
	v_cmp_ge_u32_e32 vcc_lo, v25, v5
	v_add_nc_u32_e32 v30, 1, v21
	s_or_b32 s26, s2, s26
	v_cndmask_b32_e32 v5, v20, v28, vcc_lo
	v_cmp_ge_u32_e32 vcc_lo, v26, v6
	s_delay_alu instid0(VALU_DEP_2) | instskip(SKIP_1) | instid1(VALU_DEP_2)
	v_xor_b32_e32 v5, v5, v16
	v_cndmask_b32_e32 v6, v21, v30, vcc_lo
	v_sub_nc_u32_e32 v19, v5, v16
	s_delay_alu instid0(VALU_DEP_2) | instskip(SKIP_2) | instid1(VALU_DEP_3)
	v_xor_b32_e32 v6, v6, v17
	v_mad_u64_u32 v[15:16], null, v7, s16, v[14:15]
	v_mad_u64_u32 v[4:5], null, v18, s16, v[8:9]
	v_sub_nc_u32_e32 v17, v6, v17
	v_mad_u64_u32 v[5:6], null, v19, s16, v[9:10]
	s_delay_alu instid0(VALU_DEP_2)
	v_mad_u64_u32 v[6:7], null, v17, s16, v[10:11]
	v_mov_b32_e32 v7, v15
	global_store_b128 v[12:13], v[4:7], off
	s_and_not1_b32 exec_lo, exec_lo, s26
	s_cbranch_execnz .LBB57_3
.LBB57_4:
	s_or_b32 exec_lo, exec_lo, s23
	s_mov_b32 s2, 0
.LBB57_5:
	s_delay_alu instid0(SALU_CYCLE_1)
	s_and_not1_b32 vcc_lo, exec_lo, s2
	s_cbranch_vccnz .LBB57_25
; %bb.6:
	v_cmp_lt_i64_e64 s2, s[8:9], 1
	s_delay_alu instid0(VALU_DEP_1)
	s_and_b32 vcc_lo, exec_lo, s2
	s_cbranch_vccnz .LBB57_25
; %bb.7:
	s_load_b32 s0, s[0:1], 0xbfc
	v_dual_mov_b32 v1, 0 :: v_dual_lshlrev_b32 v2, 2, v0
	v_cmp_gt_u64_e64 s2, 0x10000, s[8:9]
	s_mov_b32 s3, 0
	s_delay_alu instid0(VALU_DEP_2) | instskip(NEXT) | instid1(VALU_DEP_3)
	v_mov_b32_e32 v3, v1
	v_add_co_u32 v12, s1, s10, v2
	s_delay_alu instid0(VALU_DEP_1) | instskip(SKIP_1) | instid1(VALU_DEP_1)
	v_add_co_ci_u32_e64 v13, null, s11, 0, s1
	v_add_co_u32 v14, s1, s12, v2
	v_add_co_ci_u32_e64 v15, null, s13, 0, s1
	v_add_co_u32 v16, s1, s14, v2
	s_delay_alu instid0(VALU_DEP_1)
	v_add_co_ci_u32_e64 v17, null, s15, 0, s1
	s_waitcnt lgkmcnt(0)
	s_and_b32 s1, s0, 0xffff
	s_and_b32 s0, s2, exec_lo
	v_mad_u64_u32 v[4:5], null, s1, 12, v[2:3]
	s_cselect_b32 s5, s9, 0
	s_cselect_b32 s4, s8, 0x10000
	s_lshl_b32 s0, s1, 3
	s_lshl_b32 s2, s1, 2
	v_add_co_u32 v2, s0, s0, v2
	s_delay_alu instid0(VALU_DEP_2) | instskip(NEXT) | instid1(VALU_DEP_3)
	v_add_co_u32 v18, vcc_lo, s10, v4
	v_add_co_ci_u32_e32 v19, vcc_lo, s11, v5, vcc_lo
	v_add_co_u32 v20, vcc_lo, s12, v4
	v_add_co_ci_u32_e32 v21, vcc_lo, s13, v5, vcc_lo
	v_add_co_ci_u32_e64 v3, null, 0, 0, s0
	v_add_co_u32 v22, vcc_lo, s14, v4
	v_add_lshl_u32 v4, v0, s1, 2
	v_add_co_ci_u32_e32 v23, vcc_lo, s15, v5, vcc_lo
	v_add_co_u32 v24, vcc_lo, s10, v2
	v_add_co_ci_u32_e32 v25, vcc_lo, s11, v3, vcc_lo
	s_delay_alu instid0(VALU_DEP_4)
	v_add_co_u32 v30, s0, s10, v4
	v_add_co_u32 v26, vcc_lo, s12, v2
	v_add_co_ci_u32_e64 v31, null, s11, 0, s0
	v_add_co_u32 v32, s0, s12, v4
	v_add_co_ci_u32_e32 v27, vcc_lo, s13, v3, vcc_lo
	v_add_co_u32 v28, vcc_lo, s14, v2
	v_add_co_ci_u32_e64 v33, null, s13, 0, s0
	v_add_co_u32 v34, s0, s14, v4
	v_add_co_ci_u32_e32 v29, vcc_lo, s15, v3, vcc_lo
	v_add_co_ci_u32_e64 v35, null, s15, 0, s0
	s_lshl_b32 s17, s1, 1
	s_mul_i32 s18, s1, 3
	s_ashr_i32 s19, s20, 31
	s_abs_i32 s12, s20
	s_lshl_b32 s13, s1, 4
	s_mov_b64 s[10:11], s[2:3]
	s_branch .LBB57_9
.LBB57_8:                               ;   in Loop: Header=BB57_9 Depth=1
	s_or_b32 exec_lo, exec_lo, s0
	v_add_co_u32 v12, vcc_lo, v12, s13
	v_add_co_ci_u32_e32 v13, vcc_lo, 0, v13, vcc_lo
	v_add_co_u32 v14, vcc_lo, v14, s13
	v_add_co_ci_u32_e32 v15, vcc_lo, 0, v15, vcc_lo
	;; [unrolled: 2-line block ×11, first 2 shown]
	v_cmp_ge_i64_e64 s0, s[10:11], s[8:9]
	v_cmp_lt_u64_e64 s3, 0xffff, s[10:11]
	v_add_co_u32 v32, vcc_lo, v32, s13
	v_add_co_ci_u32_e32 v33, vcc_lo, 0, v33, vcc_lo
	v_add_co_u32 v34, vcc_lo, v34, s13
	v_add_co_ci_u32_e32 v35, vcc_lo, 0, v35, vcc_lo
	s_or_b32 s0, s0, s3
	s_add_u32 s10, s10, s2
	s_addc_u32 s11, s11, 0
	s_and_b32 vcc_lo, exec_lo, s0
	s_cbranch_vccnz .LBB57_25
.LBB57_9:                               ; =>This Inner Loop Header: Depth=1
	v_cmp_gt_i64_e32 vcc_lo, s[8:9], v[0:1]
	v_cmp_gt_u64_e64 s0, 0x10000, v[0:1]
	s_waitcnt vmcnt(0)
	v_mov_b32_e32 v39, 0
	v_mov_b32_e32 v9, 0
	s_delay_alu instid0(VALU_DEP_3) | instskip(NEXT) | instid1(SALU_CYCLE_1)
	s_and_b32 s3, vcc_lo, s0
	s_and_saveexec_b32 s0, s3
	s_cbranch_execz .LBB57_11
; %bb.10:                               ;   in Loop: Header=BB57_9 Depth=1
	v_add_co_u32 v2, vcc_lo, v12, s6
	v_add_co_ci_u32_e32 v3, vcc_lo, s7, v13, vcc_lo
	v_add_co_u32 v4, vcc_lo, v14, s6
	v_add_co_ci_u32_e32 v5, vcc_lo, s7, v15, vcc_lo
	global_load_b32 v9, v[2:3], off
	global_load_b32 v39, v[4:5], off
.LBB57_11:                              ;   in Loop: Header=BB57_9 Depth=1
	s_or_b32 exec_lo, exec_lo, s0
	v_add_co_u32 v10, vcc_lo, s1, v0
	v_add_co_ci_u32_e32 v11, vcc_lo, 0, v1, vcc_lo
	v_mov_b32_e32 v36, 0
	v_mov_b32_e32 v38, 0
	v_mov_b32_e32 v6, 0
	s_delay_alu instid0(VALU_DEP_4) | instskip(SKIP_1) | instid1(VALU_DEP_1)
	v_cmp_gt_i64_e32 vcc_lo, s[8:9], v[10:11]
	v_cmp_gt_u64_e64 s0, 0x10000, v[10:11]
	s_and_b32 s3, vcc_lo, s0
	s_delay_alu instid0(SALU_CYCLE_1)
	s_and_saveexec_b32 s0, s3
	s_cbranch_execz .LBB57_13
; %bb.12:                               ;   in Loop: Header=BB57_9 Depth=1
	v_add_co_u32 v2, vcc_lo, v30, s6
	v_add_co_ci_u32_e32 v3, vcc_lo, s7, v31, vcc_lo
	v_add_co_u32 v4, vcc_lo, v32, s6
	v_add_co_ci_u32_e32 v5, vcc_lo, s7, v33, vcc_lo
	global_load_b32 v6, v[2:3], off
	global_load_b32 v38, v[4:5], off
.LBB57_13:                              ;   in Loop: Header=BB57_9 Depth=1
	s_or_b32 exec_lo, exec_lo, s0
	v_add_co_u32 v7, vcc_lo, s17, v0
	v_add_co_ci_u32_e32 v8, vcc_lo, 0, v1, vcc_lo
	v_mov_b32_e32 v3, 0
	s_delay_alu instid0(VALU_DEP_2) | instskip(SKIP_1) | instid1(VALU_DEP_1)
	v_cmp_gt_i64_e32 vcc_lo, s[8:9], v[7:8]
	v_cmp_gt_u64_e64 s0, 0x10000, v[7:8]
	s_and_b32 s3, vcc_lo, s0
	s_delay_alu instid0(SALU_CYCLE_1)
	s_and_saveexec_b32 s0, s3
	s_cbranch_execz .LBB57_15
; %bb.14:                               ;   in Loop: Header=BB57_9 Depth=1
	v_add_co_u32 v2, vcc_lo, v24, s6
	v_add_co_ci_u32_e32 v3, vcc_lo, s7, v25, vcc_lo
	v_add_co_u32 v4, vcc_lo, v26, s6
	v_add_co_ci_u32_e32 v5, vcc_lo, s7, v27, vcc_lo
	global_load_b32 v3, v[2:3], off
	global_load_b32 v36, v[4:5], off
.LBB57_15:                              ;   in Loop: Header=BB57_9 Depth=1
	s_or_b32 exec_lo, exec_lo, s0
	v_add_co_u32 v4, vcc_lo, s18, v0
	v_add_co_ci_u32_e32 v5, vcc_lo, 0, v1, vcc_lo
	v_dual_mov_b32 v37, 0 :: v_dual_mov_b32 v2, 0
	s_delay_alu instid0(VALU_DEP_2) | instskip(SKIP_1) | instid1(VALU_DEP_1)
	v_cmp_gt_i64_e32 vcc_lo, s[8:9], v[4:5]
	v_cmp_gt_u64_e64 s0, 0x10000, v[4:5]
	s_and_b32 s3, vcc_lo, s0
	s_delay_alu instid0(SALU_CYCLE_1)
	s_and_saveexec_b32 s0, s3
	s_cbranch_execnz .LBB57_20
; %bb.16:                               ;   in Loop: Header=BB57_9 Depth=1
	s_or_b32 exec_lo, exec_lo, s0
	s_delay_alu instid0(SALU_CYCLE_1)
	s_mov_b32 s0, exec_lo
	v_cmpx_gt_u64_e64 s[4:5], v[0:1]
	s_cbranch_execnz .LBB57_21
.LBB57_17:                              ;   in Loop: Header=BB57_9 Depth=1
	s_or_b32 exec_lo, exec_lo, s0
	s_delay_alu instid0(SALU_CYCLE_1)
	s_mov_b32 s0, exec_lo
	v_cmpx_gt_u64_e64 s[4:5], v[10:11]
	s_cbranch_execnz .LBB57_22
.LBB57_18:                              ;   in Loop: Header=BB57_9 Depth=1
	s_or_b32 exec_lo, exec_lo, s0
	s_delay_alu instid0(SALU_CYCLE_1)
	s_mov_b32 s0, exec_lo
	v_cmpx_gt_u64_e64 s[4:5], v[7:8]
	s_cbranch_execnz .LBB57_23
.LBB57_19:                              ;   in Loop: Header=BB57_9 Depth=1
	s_or_b32 exec_lo, exec_lo, s0
	s_delay_alu instid0(SALU_CYCLE_1)
	s_mov_b32 s0, exec_lo
	v_cmpx_gt_u64_e64 s[4:5], v[4:5]
	s_cbranch_execz .LBB57_8
	s_branch .LBB57_24
.LBB57_20:                              ;   in Loop: Header=BB57_9 Depth=1
	v_add_co_u32 v40, vcc_lo, v18, s6
	v_add_co_ci_u32_e32 v41, vcc_lo, s7, v19, vcc_lo
	v_add_co_u32 v42, vcc_lo, v20, s6
	v_add_co_ci_u32_e32 v43, vcc_lo, s7, v21, vcc_lo
	global_load_b32 v2, v[40:41], off
	global_load_b32 v37, v[42:43], off
	s_or_b32 exec_lo, exec_lo, s0
	s_delay_alu instid0(SALU_CYCLE_1)
	s_mov_b32 s0, exec_lo
	v_cmpx_gt_u64_e64 s[4:5], v[0:1]
	s_cbranch_execz .LBB57_17
.LBB57_21:                              ;   in Loop: Header=BB57_9 Depth=1
	s_waitcnt vmcnt(0)
	v_sub_nc_u32_e32 v40, 0, v39
	s_delay_alu instid0(VALU_DEP_1) | instskip(SKIP_1) | instid1(VALU_DEP_2)
	v_max_i32_e32 v40, v39, v40
	v_ashrrev_i32_e32 v39, 31, v39
	v_cvt_f32_u32_e32 v41, v40
	v_sub_nc_u32_e32 v42, 0, v40
	s_delay_alu instid0(VALU_DEP_3) | instskip(NEXT) | instid1(VALU_DEP_3)
	v_xor_b32_e32 v39, s19, v39
	v_rcp_iflag_f32_e32 v41, v41
	s_waitcnt_depctr 0xfff
	v_mul_f32_e32 v41, 0x4f7ffffe, v41
	s_delay_alu instid0(VALU_DEP_1) | instskip(NEXT) | instid1(VALU_DEP_1)
	v_cvt_u32_f32_e32 v41, v41
	v_mul_lo_u32 v42, v42, v41
	s_delay_alu instid0(VALU_DEP_1) | instskip(NEXT) | instid1(VALU_DEP_1)
	v_mul_hi_u32 v42, v41, v42
	v_add_nc_u32_e32 v41, v41, v42
	s_delay_alu instid0(VALU_DEP_1) | instskip(NEXT) | instid1(VALU_DEP_1)
	v_mul_hi_u32 v41, s12, v41
	v_mul_lo_u32 v42, v41, v40
	v_add_nc_u32_e32 v43, 1, v41
	s_delay_alu instid0(VALU_DEP_2) | instskip(NEXT) | instid1(VALU_DEP_1)
	v_sub_nc_u32_e32 v42, s12, v42
	v_sub_nc_u32_e32 v44, v42, v40
	v_cmp_ge_u32_e32 vcc_lo, v42, v40
	s_delay_alu instid0(VALU_DEP_2) | instskip(NEXT) | instid1(VALU_DEP_1)
	v_dual_cndmask_b32 v42, v42, v44 :: v_dual_cndmask_b32 v41, v41, v43
	v_cmp_ge_u32_e32 vcc_lo, v42, v40
	s_delay_alu instid0(VALU_DEP_2) | instskip(NEXT) | instid1(VALU_DEP_1)
	v_add_nc_u32_e32 v43, 1, v41
	v_cndmask_b32_e32 v40, v41, v43, vcc_lo
	s_delay_alu instid0(VALU_DEP_1) | instskip(NEXT) | instid1(VALU_DEP_1)
	v_xor_b32_e32 v40, v40, v39
	v_sub_nc_u32_e32 v41, v40, v39
	s_delay_alu instid0(VALU_DEP_1) | instskip(SKIP_4) | instid1(SALU_CYCLE_1)
	v_mad_u64_u32 v[39:40], null, v41, s16, v[9:10]
	v_add_co_u32 v40, vcc_lo, v16, s6
	v_add_co_ci_u32_e32 v41, vcc_lo, s7, v17, vcc_lo
	global_store_b32 v[40:41], v39, off
	s_or_b32 exec_lo, exec_lo, s0
	s_mov_b32 s0, exec_lo
	v_cmpx_gt_u64_e64 s[4:5], v[10:11]
	s_cbranch_execz .LBB57_18
.LBB57_22:                              ;   in Loop: Header=BB57_9 Depth=1
	s_waitcnt vmcnt(0)
	v_sub_nc_u32_e32 v9, 0, v38
	s_delay_alu instid0(VALU_DEP_1) | instskip(SKIP_1) | instid1(VALU_DEP_2)
	v_max_i32_e32 v9, v38, v9
	v_ashrrev_i32_e32 v38, 31, v38
	v_cvt_f32_u32_e32 v10, v9
	v_sub_nc_u32_e32 v11, 0, v9
	s_delay_alu instid0(VALU_DEP_3) | instskip(NEXT) | instid1(VALU_DEP_3)
	v_xor_b32_e32 v38, s19, v38
	v_rcp_iflag_f32_e32 v10, v10
	s_waitcnt_depctr 0xfff
	v_mul_f32_e32 v10, 0x4f7ffffe, v10
	s_delay_alu instid0(VALU_DEP_1) | instskip(NEXT) | instid1(VALU_DEP_1)
	v_cvt_u32_f32_e32 v10, v10
	v_mul_lo_u32 v11, v11, v10
	s_delay_alu instid0(VALU_DEP_1) | instskip(NEXT) | instid1(VALU_DEP_1)
	v_mul_hi_u32 v11, v10, v11
	v_add_nc_u32_e32 v10, v10, v11
	s_delay_alu instid0(VALU_DEP_1) | instskip(NEXT) | instid1(VALU_DEP_1)
	v_mul_hi_u32 v10, s12, v10
	v_mul_lo_u32 v11, v10, v9
	v_add_nc_u32_e32 v39, 1, v10
	s_delay_alu instid0(VALU_DEP_2) | instskip(NEXT) | instid1(VALU_DEP_1)
	v_sub_nc_u32_e32 v11, s12, v11
	v_sub_nc_u32_e32 v40, v11, v9
	v_cmp_ge_u32_e32 vcc_lo, v11, v9
	s_delay_alu instid0(VALU_DEP_2) | instskip(NEXT) | instid1(VALU_DEP_1)
	v_dual_cndmask_b32 v11, v11, v40 :: v_dual_cndmask_b32 v10, v10, v39
	v_cmp_ge_u32_e32 vcc_lo, v11, v9
	s_delay_alu instid0(VALU_DEP_2) | instskip(NEXT) | instid1(VALU_DEP_1)
	v_add_nc_u32_e32 v39, 1, v10
	v_cndmask_b32_e32 v9, v10, v39, vcc_lo
	s_delay_alu instid0(VALU_DEP_1) | instskip(NEXT) | instid1(VALU_DEP_1)
	v_xor_b32_e32 v9, v9, v38
	v_sub_nc_u32_e32 v11, v9, v38
	s_delay_alu instid0(VALU_DEP_1) | instskip(SKIP_4) | instid1(SALU_CYCLE_1)
	v_mad_u64_u32 v[9:10], null, v11, s16, v[6:7]
	v_add_co_u32 v10, vcc_lo, v34, s6
	v_add_co_ci_u32_e32 v11, vcc_lo, s7, v35, vcc_lo
	global_store_b32 v[10:11], v9, off
	s_or_b32 exec_lo, exec_lo, s0
	s_mov_b32 s0, exec_lo
	v_cmpx_gt_u64_e64 s[4:5], v[7:8]
	s_cbranch_execz .LBB57_19
.LBB57_23:                              ;   in Loop: Header=BB57_9 Depth=1
	s_waitcnt vmcnt(0)
	v_sub_nc_u32_e32 v6, 0, v36
	s_delay_alu instid0(VALU_DEP_1) | instskip(NEXT) | instid1(VALU_DEP_1)
	v_max_i32_e32 v6, v36, v6
	v_cvt_f32_u32_e32 v7, v6
	v_sub_nc_u32_e32 v8, 0, v6
	s_delay_alu instid0(VALU_DEP_2) | instskip(SKIP_2) | instid1(VALU_DEP_1)
	v_rcp_iflag_f32_e32 v7, v7
	s_waitcnt_depctr 0xfff
	v_mul_f32_e32 v7, 0x4f7ffffe, v7
	v_cvt_u32_f32_e32 v7, v7
	s_delay_alu instid0(VALU_DEP_1) | instskip(NEXT) | instid1(VALU_DEP_1)
	v_mul_lo_u32 v8, v8, v7
	v_mul_hi_u32 v8, v7, v8
	s_delay_alu instid0(VALU_DEP_1) | instskip(NEXT) | instid1(VALU_DEP_1)
	v_add_nc_u32_e32 v7, v7, v8
	v_mul_hi_u32 v7, s12, v7
	s_delay_alu instid0(VALU_DEP_1) | instskip(SKIP_1) | instid1(VALU_DEP_2)
	v_mul_lo_u32 v8, v7, v6
	v_add_nc_u32_e32 v9, 1, v7
	v_sub_nc_u32_e32 v8, s12, v8
	s_delay_alu instid0(VALU_DEP_1) | instskip(SKIP_1) | instid1(VALU_DEP_2)
	v_sub_nc_u32_e32 v10, v8, v6
	v_cmp_ge_u32_e32 vcc_lo, v8, v6
	v_dual_cndmask_b32 v7, v7, v9 :: v_dual_cndmask_b32 v8, v8, v10
	v_ashrrev_i32_e32 v9, 31, v36
	s_delay_alu instid0(VALU_DEP_2) | instskip(NEXT) | instid1(VALU_DEP_3)
	v_add_nc_u32_e32 v10, 1, v7
	v_cmp_ge_u32_e32 vcc_lo, v8, v6
	s_delay_alu instid0(VALU_DEP_3) | instskip(NEXT) | instid1(VALU_DEP_3)
	v_xor_b32_e32 v9, s19, v9
	v_cndmask_b32_e32 v6, v7, v10, vcc_lo
	s_delay_alu instid0(VALU_DEP_1) | instskip(NEXT) | instid1(VALU_DEP_1)
	v_xor_b32_e32 v6, v6, v9
	v_sub_nc_u32_e32 v8, v6, v9
	s_delay_alu instid0(VALU_DEP_1) | instskip(SKIP_4) | instid1(SALU_CYCLE_1)
	v_mad_u64_u32 v[6:7], null, v8, s16, v[3:4]
	v_add_co_u32 v7, vcc_lo, v28, s6
	v_add_co_ci_u32_e32 v8, vcc_lo, s7, v29, vcc_lo
	global_store_b32 v[7:8], v6, off
	s_or_b32 exec_lo, exec_lo, s0
	s_mov_b32 s0, exec_lo
	v_cmpx_gt_u64_e64 s[4:5], v[4:5]
	s_cbranch_execz .LBB57_8
.LBB57_24:                              ;   in Loop: Header=BB57_9 Depth=1
	s_waitcnt vmcnt(0)
	v_sub_nc_u32_e32 v3, 0, v37
	s_delay_alu instid0(VALU_DEP_1) | instskip(NEXT) | instid1(VALU_DEP_1)
	v_max_i32_e32 v3, v37, v3
	v_cvt_f32_u32_e32 v4, v3
	v_sub_nc_u32_e32 v5, 0, v3
	s_delay_alu instid0(VALU_DEP_2) | instskip(SKIP_2) | instid1(VALU_DEP_1)
	v_rcp_iflag_f32_e32 v4, v4
	s_waitcnt_depctr 0xfff
	v_mul_f32_e32 v4, 0x4f7ffffe, v4
	v_cvt_u32_f32_e32 v4, v4
	s_delay_alu instid0(VALU_DEP_1) | instskip(NEXT) | instid1(VALU_DEP_1)
	v_mul_lo_u32 v5, v5, v4
	v_mul_hi_u32 v5, v4, v5
	s_delay_alu instid0(VALU_DEP_1) | instskip(NEXT) | instid1(VALU_DEP_1)
	v_add_nc_u32_e32 v4, v4, v5
	v_mul_hi_u32 v4, s12, v4
	s_delay_alu instid0(VALU_DEP_1) | instskip(SKIP_1) | instid1(VALU_DEP_2)
	v_mul_lo_u32 v5, v4, v3
	v_add_nc_u32_e32 v6, 1, v4
	v_sub_nc_u32_e32 v5, s12, v5
	s_delay_alu instid0(VALU_DEP_1) | instskip(SKIP_1) | instid1(VALU_DEP_2)
	v_sub_nc_u32_e32 v7, v5, v3
	v_cmp_ge_u32_e32 vcc_lo, v5, v3
	v_dual_cndmask_b32 v4, v4, v6 :: v_dual_cndmask_b32 v5, v5, v7
	v_ashrrev_i32_e32 v6, 31, v37
	s_delay_alu instid0(VALU_DEP_2) | instskip(NEXT) | instid1(VALU_DEP_3)
	v_add_nc_u32_e32 v7, 1, v4
	v_cmp_ge_u32_e32 vcc_lo, v5, v3
	s_delay_alu instid0(VALU_DEP_3) | instskip(NEXT) | instid1(VALU_DEP_3)
	v_xor_b32_e32 v6, s19, v6
	v_cndmask_b32_e32 v3, v4, v7, vcc_lo
	s_delay_alu instid0(VALU_DEP_1) | instskip(NEXT) | instid1(VALU_DEP_1)
	v_xor_b32_e32 v3, v3, v6
	v_sub_nc_u32_e32 v5, v3, v6
	s_delay_alu instid0(VALU_DEP_1)
	v_mad_u64_u32 v[3:4], null, v5, s16, v[2:3]
	v_add_co_u32 v4, vcc_lo, v22, s6
	v_add_co_ci_u32_e32 v5, vcc_lo, s7, v23, vcc_lo
	global_store_b32 v[4:5], v3, off
	s_branch .LBB57_8
.LBB57_25:
	s_nop 0
	s_sendmsg sendmsg(MSG_DEALLOC_VGPRS)
	s_endpgm
	.section	.rodata,"a",@progbits
	.p2align	6, 0x0
	.amdhsa_kernel _ZN2at6native12_GLOBAL__N_125multi_tensor_apply_kernelINS1_18TensorListMetadataILi4EEENS1_32PointwiseOpScalar0dTensorFunctorIiLi4ELi2ELi3EEEJSt7dividesIiEiEEEvT_T0_DpT1_
		.amdhsa_group_segment_fixed_size 0
		.amdhsa_private_segment_fixed_size 0
		.amdhsa_kernarg_size 3312
		.amdhsa_user_sgpr_count 15
		.amdhsa_user_sgpr_dispatch_ptr 0
		.amdhsa_user_sgpr_queue_ptr 0
		.amdhsa_user_sgpr_kernarg_segment_ptr 1
		.amdhsa_user_sgpr_dispatch_id 0
		.amdhsa_user_sgpr_private_segment_size 0
		.amdhsa_wavefront_size32 1
		.amdhsa_uses_dynamic_stack 0
		.amdhsa_enable_private_segment 0
		.amdhsa_system_sgpr_workgroup_id_x 1
		.amdhsa_system_sgpr_workgroup_id_y 0
		.amdhsa_system_sgpr_workgroup_id_z 0
		.amdhsa_system_sgpr_workgroup_info 0
		.amdhsa_system_vgpr_workitem_id 0
		.amdhsa_next_free_vgpr 45
		.amdhsa_next_free_sgpr 32
		.amdhsa_reserve_vcc 1
		.amdhsa_float_round_mode_32 0
		.amdhsa_float_round_mode_16_64 0
		.amdhsa_float_denorm_mode_32 3
		.amdhsa_float_denorm_mode_16_64 3
		.amdhsa_dx10_clamp 1
		.amdhsa_ieee_mode 1
		.amdhsa_fp16_overflow 0
		.amdhsa_workgroup_processor_mode 1
		.amdhsa_memory_ordered 1
		.amdhsa_forward_progress 0
		.amdhsa_shared_vgpr_count 0
		.amdhsa_exception_fp_ieee_invalid_op 0
		.amdhsa_exception_fp_denorm_src 0
		.amdhsa_exception_fp_ieee_div_zero 0
		.amdhsa_exception_fp_ieee_overflow 0
		.amdhsa_exception_fp_ieee_underflow 0
		.amdhsa_exception_fp_ieee_inexact 0
		.amdhsa_exception_int_div_zero 0
	.end_amdhsa_kernel
	.section	.text._ZN2at6native12_GLOBAL__N_125multi_tensor_apply_kernelINS1_18TensorListMetadataILi4EEENS1_32PointwiseOpScalar0dTensorFunctorIiLi4ELi2ELi3EEEJSt7dividesIiEiEEEvT_T0_DpT1_,"axG",@progbits,_ZN2at6native12_GLOBAL__N_125multi_tensor_apply_kernelINS1_18TensorListMetadataILi4EEENS1_32PointwiseOpScalar0dTensorFunctorIiLi4ELi2ELi3EEEJSt7dividesIiEiEEEvT_T0_DpT1_,comdat
.Lfunc_end57:
	.size	_ZN2at6native12_GLOBAL__N_125multi_tensor_apply_kernelINS1_18TensorListMetadataILi4EEENS1_32PointwiseOpScalar0dTensorFunctorIiLi4ELi2ELi3EEEJSt7dividesIiEiEEEvT_T0_DpT1_, .Lfunc_end57-_ZN2at6native12_GLOBAL__N_125multi_tensor_apply_kernelINS1_18TensorListMetadataILi4EEENS1_32PointwiseOpScalar0dTensorFunctorIiLi4ELi2ELi3EEEJSt7dividesIiEiEEEvT_T0_DpT1_
                                        ; -- End function
	.section	.AMDGPU.csdata,"",@progbits
; Kernel info:
; codeLenInByte = 3092
; NumSgprs: 34
; NumVgprs: 45
; ScratchSize: 0
; MemoryBound: 0
; FloatMode: 240
; IeeeMode: 1
; LDSByteSize: 0 bytes/workgroup (compile time only)
; SGPRBlocks: 4
; VGPRBlocks: 5
; NumSGPRsForWavesPerEU: 34
; NumVGPRsForWavesPerEU: 45
; Occupancy: 16
; WaveLimiterHint : 0
; COMPUTE_PGM_RSRC2:SCRATCH_EN: 0
; COMPUTE_PGM_RSRC2:USER_SGPR: 15
; COMPUTE_PGM_RSRC2:TRAP_HANDLER: 0
; COMPUTE_PGM_RSRC2:TGID_X_EN: 1
; COMPUTE_PGM_RSRC2:TGID_Y_EN: 0
; COMPUTE_PGM_RSRC2:TGID_Z_EN: 0
; COMPUTE_PGM_RSRC2:TIDIG_COMP_CNT: 0
	.section	.text._ZN2at6native12_GLOBAL__N_125multi_tensor_apply_kernelINS1_18TensorListMetadataILi4EEENS1_32PointwiseOpScalar0dTensorFunctorIlLi4ELi2ELi3EEEJSt7dividesIlElEEEvT_T0_DpT1_,"axG",@progbits,_ZN2at6native12_GLOBAL__N_125multi_tensor_apply_kernelINS1_18TensorListMetadataILi4EEENS1_32PointwiseOpScalar0dTensorFunctorIlLi4ELi2ELi3EEEJSt7dividesIlElEEEvT_T0_DpT1_,comdat
	.globl	_ZN2at6native12_GLOBAL__N_125multi_tensor_apply_kernelINS1_18TensorListMetadataILi4EEENS1_32PointwiseOpScalar0dTensorFunctorIlLi4ELi2ELi3EEEJSt7dividesIlElEEEvT_T0_DpT1_ ; -- Begin function _ZN2at6native12_GLOBAL__N_125multi_tensor_apply_kernelINS1_18TensorListMetadataILi4EEENS1_32PointwiseOpScalar0dTensorFunctorIlLi4ELi2ELi3EEEJSt7dividesIlElEEEvT_T0_DpT1_
	.p2align	8
	.type	_ZN2at6native12_GLOBAL__N_125multi_tensor_apply_kernelINS1_18TensorListMetadataILi4EEENS1_32PointwiseOpScalar0dTensorFunctorIlLi4ELi2ELi3EEEJSt7dividesIlElEEEvT_T0_DpT1_,@function
_ZN2at6native12_GLOBAL__N_125multi_tensor_apply_kernelINS1_18TensorListMetadataILi4EEENS1_32PointwiseOpScalar0dTensorFunctorIlLi4ELi2ELi3EEEJSt7dividesIlElEEEvT_T0_DpT1_: ; @_ZN2at6native12_GLOBAL__N_125multi_tensor_apply_kernelINS1_18TensorListMetadataILi4EEENS1_32PointwiseOpScalar0dTensorFunctorIlLi4ELi2ELi3EEEJSt7dividesIlElEEEvT_T0_DpT1_
; %bb.0:
	v_mov_b32_e32 v1, s15
	s_add_u32 s2, s0, s15
	s_mul_hi_u32 s3, s15, 3
	s_mul_i32 s15, s15, 3
	s_addc_u32 s4, s1, 0
	global_load_u8 v1, v1, s[0:1] offset:1440
	s_add_u32 s2, s2, s15
	s_addc_u32 s3, s4, s3
	s_mov_b32 s13, 0
	s_load_b32 s8, s[2:3], 0x6e0
	s_mov_b32 s7, s13
	s_mov_b32 s29, s13
	s_waitcnt lgkmcnt(0)
	s_ashr_i32 s9, s8, 31
	s_delay_alu instid0(SALU_CYCLE_1) | instskip(SKIP_2) | instid1(VALU_DEP_1)
	s_lshl_b64 s[4:5], s[8:9], 19
	s_waitcnt vmcnt(0)
	v_readfirstlane_b32 s2, v1
	s_lshl_b32 s2, s2, 3
	s_clause 0x4
	s_load_b64 s[14:15], s[0:1], s2 offset:0x0
	s_load_b64 s[10:11], s[0:1], s2 offset:0x120
	;; [unrolled: 1-line block ×5, first 2 shown]
	s_waitcnt lgkmcnt(0)
	s_add_u32 s3, s14, s4
	s_addc_u32 s20, s15, s5
	s_add_u32 s2, s10, s4
	s_and_b32 s12, s3, 31
	s_and_b32 s6, s2, 31
	s_load_b64 s[10:11], s[10:11], 0x0
	s_cmp_lg_u64 s[6:7], 0
	s_cselect_b32 s2, -1, 0
	s_add_u32 s21, s16, s4
	s_addc_u32 s22, s17, s5
	s_add_u32 s23, s18, s4
	s_addc_u32 s24, s19, s5
	s_or_b32 s6, s23, s21
	s_delay_alu instid0(SALU_CYCLE_1)
	s_and_b32 s25, s6, 31
	s_load_b64 s[6:7], s[0:1], 0xbf0
	s_cmp_lg_u32 s25, 0
	s_cselect_b32 s25, -1, 0
	s_lshl_b64 s[8:9], s[8:9], 16
	s_or_b32 s2, s25, s2
	s_sub_u32 s8, s26, s8
	s_subb_u32 s9, s27, s9
	s_and_b32 s28, s26, 3
	s_delay_alu instid0(SALU_CYCLE_1) | instskip(NEXT) | instid1(SALU_CYCLE_1)
	s_or_b64 s[12:13], s[12:13], s[28:29]
	s_cmp_lg_u64 s[12:13], 0
	s_cselect_b32 s12, -1, 0
	s_delay_alu instid0(SALU_CYCLE_1) | instskip(NEXT) | instid1(SALU_CYCLE_1)
	s_or_b32 s2, s2, s12
	s_and_not1_b32 vcc_lo, exec_lo, s2
	s_mov_b32 s2, -1
	s_cbranch_vccz .LBB58_21
; %bb.1:
	v_mov_b32_e32 v17, 0
	v_lshlrev_b32_e32 v1, 2, v0
	s_mov_b32 s25, exec_lo
	s_delay_alu instid0(VALU_DEP_2) | instskip(NEXT) | instid1(VALU_DEP_1)
	v_mov_b32_e32 v2, v17
	v_cmpx_gt_i64_e64 s[8:9], v[1:2]
	s_cbranch_execz .LBB58_20
; %bb.2:
	s_load_b32 s2, s[0:1], 0xc04
	v_dual_mov_b32 v20, v17 :: v_dual_lshlrev_b32 v23, 5, v0
	s_mov_b32 s26, 0
	s_waitcnt lgkmcnt(0)
	s_ashr_i32 s12, s11, 31
	s_and_b32 s2, s2, 0xffff
	s_delay_alu instid0(SALU_CYCLE_1)
	v_add_lshl_u32 v19, v0, s2, 2
	s_lshl_b32 s27, s2, 2
	s_lshl_b32 s28, s2, 5
	s_branch .LBB58_4
.LBB58_3:                               ;   in Loop: Header=BB58_4 Depth=1
	s_or_b32 exec_lo, exec_lo, s2
	s_waitcnt vmcnt(1)
	v_mad_u64_u32 v[11:12], null, v15, s6, v[1:2]
	v_mul_lo_u32 v1, v13, s7
	v_mul_lo_u32 v2, v14, s6
	s_waitcnt vmcnt(0)
	v_mad_u64_u32 v[26:27], null, v13, s6, v[7:8]
	v_cmp_le_i64_e32 vcc_lo, s[8:9], v[19:20]
	v_cmp_lt_u64_e64 s2, 0xffff, v[19:20]
	v_mul_lo_u32 v7, v21, s7
	v_mul_lo_u32 v8, v22, s6
	v_mad_u64_u32 v[24:25], null, v21, s6, v[5:6]
	v_mul_lo_u32 v18, v15, s7
	v_mul_lo_u32 v16, v16, s6
	;; [unrolled: 1-line block ×4, first 2 shown]
	v_mad_u64_u32 v[13:14], null, v9, s6, v[3:4]
	s_or_b32 s2, vcc_lo, s2
	s_add_u32 s3, s3, s28
	v_add3_u32 v27, v2, v27, v1
	v_add_co_u32 v1, s13, s23, v23
	s_addc_u32 s20, s20, 0
	s_add_u32 s23, s23, s28
	v_add_co_ci_u32_e64 v2, null, s24, 0, s13
	v_add_co_u32 v19, vcc_lo, v19, s27
	s_addc_u32 s24, s24, 0
	s_add_u32 s21, s21, s28
	v_add3_u32 v25, v8, v25, v7
	v_add_co_ci_u32_e32 v20, vcc_lo, 0, v20, vcc_lo
	s_addc_u32 s22, s22, 0
	v_add3_u32 v12, v16, v12, v18
	v_add3_u32 v14, v6, v14, v5
	s_and_b32 s2, exec_lo, s2
	s_clause 0x1
	global_store_b128 v[1:2], v[24:27], off
	global_store_b128 v[1:2], v[11:14], off offset:16
	s_or_b32 s26, s2, s26
	s_delay_alu instid0(SALU_CYCLE_1)
	s_and_not1_b32 exec_lo, exec_lo, s26
	s_cbranch_execz .LBB58_20
.LBB58_4:                               ; =>This Inner Loop Header: Depth=1
	v_add_co_u32 v1, s2, s21, v23
	s_delay_alu instid0(VALU_DEP_1) | instskip(SKIP_1) | instid1(VALU_DEP_1)
	v_add_co_ci_u32_e64 v2, null, s22, 0, s2
	v_add_co_u32 v5, s2, s3, v23
	v_add_co_ci_u32_e64 v6, null, s20, 0, s2
	s_clause 0x1
	global_load_b128 v[13:16], v[1:2], off
	global_load_b128 v[9:12], v[1:2], off offset:16
	s_clause 0x1
	global_load_b128 v[1:4], v[5:6], off offset:16
	global_load_b128 v[5:8], v[5:6], off
                                        ; implicit-def: $vgpr21_vgpr22
	s_mov_b32 s2, exec_lo
	s_waitcnt vmcnt(3)
	v_or_b32_e32 v18, s11, v14
	s_delay_alu instid0(VALU_DEP_1)
	v_cmpx_ne_u64_e32 0, v[17:18]
	s_xor_b32 s29, exec_lo, s2
	s_cbranch_execz .LBB58_6
; %bb.5:                                ;   in Loop: Header=BB58_4 Depth=1
	v_ashrrev_i32_e32 v18, 31, v14
	s_add_u32 s30, s10, s12
	s_mov_b32 s13, s12
	s_addc_u32 s31, s11, s12
	s_delay_alu instid0(SALU_CYCLE_1) | instskip(SKIP_2) | instid1(VALU_DEP_2)
	s_xor_b64 s[30:31], s[30:31], s[12:13]
	v_add_co_u32 v13, vcc_lo, v13, v18
	v_add_co_ci_u32_e32 v14, vcc_lo, v14, v18, vcc_lo
	v_xor_b32_e32 v26, v13, v18
	s_delay_alu instid0(VALU_DEP_2) | instskip(NEXT) | instid1(VALU_DEP_2)
	v_xor_b32_e32 v27, v14, v18
	v_cvt_f32_u32_e32 v13, v26
	v_sub_co_u32 v28, vcc_lo, 0, v26
	s_delay_alu instid0(VALU_DEP_3) | instskip(SKIP_1) | instid1(VALU_DEP_2)
	v_cvt_f32_u32_e32 v14, v27
	v_sub_co_ci_u32_e32 v29, vcc_lo, 0, v27, vcc_lo
	v_fmac_f32_e32 v13, 0x4f800000, v14
	s_delay_alu instid0(VALU_DEP_1) | instskip(SKIP_2) | instid1(VALU_DEP_1)
	v_rcp_f32_e32 v13, v13
	s_waitcnt_depctr 0xfff
	v_mul_f32_e32 v13, 0x5f7ffffc, v13
	v_mul_f32_e32 v14, 0x2f800000, v13
	s_delay_alu instid0(VALU_DEP_1) | instskip(NEXT) | instid1(VALU_DEP_1)
	v_trunc_f32_e32 v14, v14
	v_fmac_f32_e32 v13, 0xcf800000, v14
	v_cvt_u32_f32_e32 v30, v14
	s_delay_alu instid0(VALU_DEP_2) | instskip(NEXT) | instid1(VALU_DEP_2)
	v_cvt_u32_f32_e32 v31, v13
	v_mul_lo_u32 v21, v28, v30
	s_delay_alu instid0(VALU_DEP_2) | instskip(SKIP_1) | instid1(VALU_DEP_1)
	v_mul_lo_u32 v22, v29, v31
	v_mad_u64_u32 v[13:14], null, v28, v31, 0
	v_add3_u32 v32, v14, v21, v22
	s_delay_alu instid0(VALU_DEP_2) | instskip(SKIP_1) | instid1(VALU_DEP_3)
	v_mul_hi_u32 v33, v31, v13
	v_mad_u64_u32 v[24:25], null, v30, v13, 0
	v_mad_u64_u32 v[21:22], null, v31, v32, 0
	;; [unrolled: 1-line block ×3, first 2 shown]
	s_delay_alu instid0(VALU_DEP_2) | instskip(NEXT) | instid1(VALU_DEP_3)
	v_add_co_u32 v21, vcc_lo, v33, v21
	v_add_co_ci_u32_e32 v22, vcc_lo, 0, v22, vcc_lo
	s_delay_alu instid0(VALU_DEP_2) | instskip(NEXT) | instid1(VALU_DEP_2)
	v_add_co_u32 v21, vcc_lo, v21, v24
	v_add_co_ci_u32_e32 v21, vcc_lo, v22, v25, vcc_lo
	v_add_co_ci_u32_e32 v14, vcc_lo, 0, v14, vcc_lo
	s_delay_alu instid0(VALU_DEP_2) | instskip(NEXT) | instid1(VALU_DEP_2)
	v_add_co_u32 v13, vcc_lo, v21, v13
	v_add_co_ci_u32_e32 v14, vcc_lo, 0, v14, vcc_lo
	s_delay_alu instid0(VALU_DEP_2) | instskip(NEXT) | instid1(VALU_DEP_2)
	v_add_co_u32 v31, vcc_lo, v31, v13
	v_add_co_ci_u32_e32 v30, vcc_lo, v30, v14, vcc_lo
	s_delay_alu instid0(VALU_DEP_2) | instskip(SKIP_1) | instid1(VALU_DEP_3)
	v_mul_lo_u32 v21, v29, v31
	v_mad_u64_u32 v[13:14], null, v28, v31, 0
	v_mul_lo_u32 v22, v28, v30
	s_delay_alu instid0(VALU_DEP_2) | instskip(SKIP_1) | instid1(VALU_DEP_3)
	v_mul_hi_u32 v29, v31, v13
	v_mad_u64_u32 v[24:25], null, v30, v13, 0
	v_add3_u32 v28, v14, v22, v21
	s_delay_alu instid0(VALU_DEP_1) | instskip(SKIP_1) | instid1(VALU_DEP_2)
	v_mad_u64_u32 v[21:22], null, v31, v28, 0
	v_mad_u64_u32 v[13:14], null, v30, v28, 0
	v_add_co_u32 v21, vcc_lo, v29, v21
	s_delay_alu instid0(VALU_DEP_3) | instskip(NEXT) | instid1(VALU_DEP_2)
	v_add_co_ci_u32_e32 v22, vcc_lo, 0, v22, vcc_lo
	v_add_co_u32 v21, vcc_lo, v21, v24
	s_delay_alu instid0(VALU_DEP_2) | instskip(SKIP_1) | instid1(VALU_DEP_2)
	v_add_co_ci_u32_e32 v21, vcc_lo, v22, v25, vcc_lo
	v_add_co_ci_u32_e32 v14, vcc_lo, 0, v14, vcc_lo
	v_add_co_u32 v13, vcc_lo, v21, v13
	s_delay_alu instid0(VALU_DEP_2) | instskip(NEXT) | instid1(VALU_DEP_2)
	v_add_co_ci_u32_e32 v14, vcc_lo, 0, v14, vcc_lo
	v_add_co_u32 v24, vcc_lo, v31, v13
	s_delay_alu instid0(VALU_DEP_2) | instskip(NEXT) | instid1(VALU_DEP_2)
	v_add_co_ci_u32_e32 v28, vcc_lo, v30, v14, vcc_lo
	v_mul_hi_u32 v29, s30, v24
	v_mad_u64_u32 v[21:22], null, s31, v24, 0
	s_delay_alu instid0(VALU_DEP_3) | instskip(SKIP_1) | instid1(VALU_DEP_2)
	v_mad_u64_u32 v[13:14], null, s30, v28, 0
	v_mad_u64_u32 v[24:25], null, s31, v28, 0
	v_add_co_u32 v13, vcc_lo, v29, v13
	s_delay_alu instid0(VALU_DEP_3) | instskip(NEXT) | instid1(VALU_DEP_2)
	v_add_co_ci_u32_e32 v14, vcc_lo, 0, v14, vcc_lo
	v_add_co_u32 v13, vcc_lo, v13, v21
	s_delay_alu instid0(VALU_DEP_2) | instskip(SKIP_1) | instid1(VALU_DEP_2)
	v_add_co_ci_u32_e32 v13, vcc_lo, v14, v22, vcc_lo
	v_add_co_ci_u32_e32 v14, vcc_lo, 0, v25, vcc_lo
	v_add_co_u32 v21, vcc_lo, v13, v24
	s_delay_alu instid0(VALU_DEP_2) | instskip(NEXT) | instid1(VALU_DEP_2)
	v_add_co_ci_u32_e32 v22, vcc_lo, 0, v14, vcc_lo
	v_mul_lo_u32 v24, v27, v21
	v_mad_u64_u32 v[13:14], null, v26, v21, 0
	s_delay_alu instid0(VALU_DEP_3) | instskip(NEXT) | instid1(VALU_DEP_2)
	v_mul_lo_u32 v25, v26, v22
	v_sub_co_u32 v13, vcc_lo, s30, v13
	s_delay_alu instid0(VALU_DEP_2) | instskip(NEXT) | instid1(VALU_DEP_1)
	v_add3_u32 v14, v14, v25, v24
	v_sub_nc_u32_e32 v24, s31, v14
	s_delay_alu instid0(VALU_DEP_1) | instskip(SKIP_1) | instid1(VALU_DEP_1)
	v_sub_co_ci_u32_e64 v24, s2, v24, v27, vcc_lo
	v_add_co_u32 v25, s2, v21, 2
	v_add_co_ci_u32_e64 v28, s2, 0, v22, s2
	v_sub_co_u32 v29, s2, v13, v26
	v_sub_co_ci_u32_e32 v14, vcc_lo, s31, v14, vcc_lo
	v_subrev_co_ci_u32_e64 v24, s2, 0, v24, s2
	s_delay_alu instid0(VALU_DEP_3) | instskip(NEXT) | instid1(VALU_DEP_3)
	v_cmp_ge_u32_e32 vcc_lo, v29, v26
	v_cmp_eq_u32_e64 s2, v14, v27
	v_cndmask_b32_e64 v29, 0, -1, vcc_lo
	s_delay_alu instid0(VALU_DEP_4)
	v_cmp_ge_u32_e32 vcc_lo, v24, v27
	v_cndmask_b32_e64 v30, 0, -1, vcc_lo
	v_cmp_ge_u32_e32 vcc_lo, v13, v26
	v_cndmask_b32_e64 v13, 0, -1, vcc_lo
	;; [unrolled: 2-line block ×3, first 2 shown]
	v_cmp_eq_u32_e32 vcc_lo, v24, v27
	s_delay_alu instid0(VALU_DEP_2) | instskip(SKIP_3) | instid1(VALU_DEP_3)
	v_cndmask_b32_e64 v13, v26, v13, s2
	v_cndmask_b32_e32 v24, v30, v29, vcc_lo
	v_add_co_u32 v29, vcc_lo, v21, 1
	v_add_co_ci_u32_e32 v30, vcc_lo, 0, v22, vcc_lo
	v_cmp_ne_u32_e32 vcc_lo, 0, v24
	s_delay_alu instid0(VALU_DEP_3) | instskip(NEXT) | instid1(VALU_DEP_3)
	v_cndmask_b32_e32 v24, v29, v25, vcc_lo
	v_cndmask_b32_e32 v14, v30, v28, vcc_lo
	v_cmp_ne_u32_e32 vcc_lo, 0, v13
	v_xor_b32_e32 v13, s12, v18
	s_delay_alu instid0(VALU_DEP_4) | instskip(NEXT) | instid1(VALU_DEP_4)
	v_cndmask_b32_e32 v18, v21, v24, vcc_lo
	v_cndmask_b32_e32 v14, v22, v14, vcc_lo
	s_delay_alu instid0(VALU_DEP_2) | instskip(NEXT) | instid1(VALU_DEP_2)
	v_xor_b32_e32 v18, v18, v13
	v_xor_b32_e32 v14, v14, v13
	s_delay_alu instid0(VALU_DEP_2) | instskip(NEXT) | instid1(VALU_DEP_2)
	v_sub_co_u32 v21, vcc_lo, v18, v13
	v_sub_co_ci_u32_e32 v22, vcc_lo, v14, v13, vcc_lo
.LBB58_6:                               ;   in Loop: Header=BB58_4 Depth=1
	s_and_not1_saveexec_b32 s2, s29
	s_cbranch_execz .LBB58_8
; %bb.7:                                ;   in Loop: Header=BB58_4 Depth=1
	v_cvt_f32_u32_e32 v14, v13
	v_sub_nc_u32_e32 v18, 0, v13
	s_delay_alu instid0(VALU_DEP_2) | instskip(SKIP_2) | instid1(VALU_DEP_1)
	v_rcp_iflag_f32_e32 v14, v14
	s_waitcnt_depctr 0xfff
	v_mul_f32_e32 v14, 0x4f7ffffe, v14
	v_cvt_u32_f32_e32 v14, v14
	s_delay_alu instid0(VALU_DEP_1) | instskip(NEXT) | instid1(VALU_DEP_1)
	v_mul_lo_u32 v18, v18, v14
	v_mul_hi_u32 v18, v14, v18
	s_delay_alu instid0(VALU_DEP_1) | instskip(NEXT) | instid1(VALU_DEP_1)
	v_add_nc_u32_e32 v14, v14, v18
	v_mul_hi_u32 v14, s10, v14
	s_delay_alu instid0(VALU_DEP_1) | instskip(SKIP_1) | instid1(VALU_DEP_2)
	v_mul_lo_u32 v18, v14, v13
	v_add_nc_u32_e32 v21, 1, v14
	v_sub_nc_u32_e32 v18, s10, v18
	s_delay_alu instid0(VALU_DEP_1) | instskip(SKIP_1) | instid1(VALU_DEP_2)
	v_sub_nc_u32_e32 v22, v18, v13
	v_cmp_ge_u32_e32 vcc_lo, v18, v13
	v_cndmask_b32_e32 v18, v18, v22, vcc_lo
	v_mov_b32_e32 v22, v17
	v_cndmask_b32_e32 v14, v14, v21, vcc_lo
	s_delay_alu instid0(VALU_DEP_3) | instskip(NEXT) | instid1(VALU_DEP_2)
	v_cmp_ge_u32_e32 vcc_lo, v18, v13
	v_add_nc_u32_e32 v21, 1, v14
	s_delay_alu instid0(VALU_DEP_1)
	v_cndmask_b32_e32 v21, v14, v21, vcc_lo
.LBB58_8:                               ;   in Loop: Header=BB58_4 Depth=1
	s_or_b32 exec_lo, exec_lo, s2
	v_or_b32_e32 v18, s11, v16
                                        ; implicit-def: $vgpr13_vgpr14
	s_mov_b32 s2, exec_lo
	s_delay_alu instid0(VALU_DEP_1)
	v_cmpx_ne_u64_e32 0, v[17:18]
	s_xor_b32 s29, exec_lo, s2
	s_cbranch_execz .LBB58_10
; %bb.9:                                ;   in Loop: Header=BB58_4 Depth=1
	v_ashrrev_i32_e32 v18, 31, v16
	s_add_u32 s30, s10, s12
	s_mov_b32 s13, s12
	s_addc_u32 s31, s11, s12
	s_delay_alu instid0(SALU_CYCLE_1) | instskip(SKIP_2) | instid1(VALU_DEP_2)
	s_xor_b64 s[30:31], s[30:31], s[12:13]
	v_add_co_u32 v13, vcc_lo, v15, v18
	v_add_co_ci_u32_e32 v14, vcc_lo, v16, v18, vcc_lo
	v_xor_b32_e32 v28, v13, v18
	s_delay_alu instid0(VALU_DEP_2) | instskip(SKIP_1) | instid1(VALU_DEP_3)
	v_xor_b32_e32 v29, v14, v18
	v_xor_b32_e32 v18, s12, v18
	v_cvt_f32_u32_e32 v13, v28
	v_sub_co_u32 v16, vcc_lo, 0, v28
	s_delay_alu instid0(VALU_DEP_4) | instskip(SKIP_1) | instid1(VALU_DEP_2)
	v_cvt_f32_u32_e32 v14, v29
	v_sub_co_ci_u32_e32 v30, vcc_lo, 0, v29, vcc_lo
	v_fmac_f32_e32 v13, 0x4f800000, v14
	s_delay_alu instid0(VALU_DEP_1) | instskip(SKIP_2) | instid1(VALU_DEP_1)
	v_rcp_f32_e32 v13, v13
	s_waitcnt_depctr 0xfff
	v_mul_f32_e32 v13, 0x5f7ffffc, v13
	v_mul_f32_e32 v14, 0x2f800000, v13
	s_delay_alu instid0(VALU_DEP_1) | instskip(NEXT) | instid1(VALU_DEP_1)
	v_trunc_f32_e32 v14, v14
	v_fmac_f32_e32 v13, 0xcf800000, v14
	v_cvt_u32_f32_e32 v31, v14
	s_delay_alu instid0(VALU_DEP_2) | instskip(NEXT) | instid1(VALU_DEP_2)
	v_cvt_u32_f32_e32 v32, v13
	v_mul_lo_u32 v15, v16, v31
	s_delay_alu instid0(VALU_DEP_2) | instskip(SKIP_1) | instid1(VALU_DEP_1)
	v_mul_lo_u32 v24, v30, v32
	v_mad_u64_u32 v[13:14], null, v16, v32, 0
	v_add3_u32 v33, v14, v15, v24
	s_delay_alu instid0(VALU_DEP_2) | instskip(SKIP_1) | instid1(VALU_DEP_3)
	v_mul_hi_u32 v34, v32, v13
	v_mad_u64_u32 v[24:25], null, v31, v13, 0
	v_mad_u64_u32 v[14:15], null, v32, v33, 0
	;; [unrolled: 1-line block ×3, first 2 shown]
	s_delay_alu instid0(VALU_DEP_2) | instskip(NEXT) | instid1(VALU_DEP_3)
	v_add_co_u32 v13, vcc_lo, v34, v14
	v_add_co_ci_u32_e32 v14, vcc_lo, 0, v15, vcc_lo
	s_delay_alu instid0(VALU_DEP_2) | instskip(NEXT) | instid1(VALU_DEP_2)
	v_add_co_u32 v13, vcc_lo, v13, v24
	v_add_co_ci_u32_e32 v13, vcc_lo, v14, v25, vcc_lo
	v_add_co_ci_u32_e32 v14, vcc_lo, 0, v27, vcc_lo
	s_delay_alu instid0(VALU_DEP_2) | instskip(NEXT) | instid1(VALU_DEP_2)
	v_add_co_u32 v13, vcc_lo, v13, v26
	v_add_co_ci_u32_e32 v14, vcc_lo, 0, v14, vcc_lo
	s_delay_alu instid0(VALU_DEP_2) | instskip(NEXT) | instid1(VALU_DEP_2)
	v_add_co_u32 v32, vcc_lo, v32, v13
	v_add_co_ci_u32_e32 v31, vcc_lo, v31, v14, vcc_lo
	s_delay_alu instid0(VALU_DEP_2) | instskip(SKIP_1) | instid1(VALU_DEP_3)
	v_mul_lo_u32 v15, v30, v32
	v_mad_u64_u32 v[13:14], null, v16, v32, 0
	v_mul_lo_u32 v16, v16, v31
	s_delay_alu instid0(VALU_DEP_2) | instskip(SKIP_1) | instid1(VALU_DEP_3)
	v_mul_hi_u32 v30, v32, v13
	v_mad_u64_u32 v[24:25], null, v31, v13, 0
	v_add3_u32 v16, v14, v16, v15
	s_delay_alu instid0(VALU_DEP_1) | instskip(SKIP_1) | instid1(VALU_DEP_2)
	v_mad_u64_u32 v[14:15], null, v32, v16, 0
	v_mad_u64_u32 v[26:27], null, v31, v16, 0
	v_add_co_u32 v13, vcc_lo, v30, v14
	s_delay_alu instid0(VALU_DEP_3) | instskip(NEXT) | instid1(VALU_DEP_2)
	v_add_co_ci_u32_e32 v14, vcc_lo, 0, v15, vcc_lo
	v_add_co_u32 v13, vcc_lo, v13, v24
	s_delay_alu instid0(VALU_DEP_2) | instskip(SKIP_1) | instid1(VALU_DEP_2)
	v_add_co_ci_u32_e32 v13, vcc_lo, v14, v25, vcc_lo
	v_add_co_ci_u32_e32 v14, vcc_lo, 0, v27, vcc_lo
	v_add_co_u32 v13, vcc_lo, v13, v26
	s_delay_alu instid0(VALU_DEP_2) | instskip(NEXT) | instid1(VALU_DEP_2)
	v_add_co_ci_u32_e32 v14, vcc_lo, 0, v14, vcc_lo
	v_add_co_u32 v24, vcc_lo, v32, v13
	s_delay_alu instid0(VALU_DEP_2) | instskip(NEXT) | instid1(VALU_DEP_2)
	v_add_co_ci_u32_e32 v26, vcc_lo, v31, v14, vcc_lo
	v_mul_hi_u32 v27, s30, v24
	v_mad_u64_u32 v[15:16], null, s31, v24, 0
	s_delay_alu instid0(VALU_DEP_3) | instskip(SKIP_1) | instid1(VALU_DEP_2)
	v_mad_u64_u32 v[13:14], null, s30, v26, 0
	v_mad_u64_u32 v[24:25], null, s31, v26, 0
	v_add_co_u32 v13, vcc_lo, v27, v13
	s_delay_alu instid0(VALU_DEP_3) | instskip(NEXT) | instid1(VALU_DEP_2)
	v_add_co_ci_u32_e32 v14, vcc_lo, 0, v14, vcc_lo
	v_add_co_u32 v13, vcc_lo, v13, v15
	s_delay_alu instid0(VALU_DEP_2) | instskip(SKIP_1) | instid1(VALU_DEP_2)
	v_add_co_ci_u32_e32 v13, vcc_lo, v14, v16, vcc_lo
	v_add_co_ci_u32_e32 v14, vcc_lo, 0, v25, vcc_lo
	v_add_co_u32 v15, vcc_lo, v13, v24
	s_delay_alu instid0(VALU_DEP_2) | instskip(NEXT) | instid1(VALU_DEP_2)
	v_add_co_ci_u32_e32 v16, vcc_lo, 0, v14, vcc_lo
	v_mul_lo_u32 v24, v29, v15
	v_mad_u64_u32 v[13:14], null, v28, v15, 0
	s_delay_alu instid0(VALU_DEP_3) | instskip(NEXT) | instid1(VALU_DEP_2)
	v_mul_lo_u32 v25, v28, v16
	v_sub_co_u32 v13, vcc_lo, s30, v13
	s_delay_alu instid0(VALU_DEP_2) | instskip(NEXT) | instid1(VALU_DEP_1)
	v_add3_u32 v14, v14, v25, v24
	v_sub_nc_u32_e32 v24, s31, v14
	s_delay_alu instid0(VALU_DEP_1) | instskip(SKIP_1) | instid1(VALU_DEP_1)
	v_sub_co_ci_u32_e64 v24, s2, v24, v29, vcc_lo
	v_add_co_u32 v25, s2, v15, 2
	v_add_co_ci_u32_e64 v26, s2, 0, v16, s2
	v_sub_co_u32 v27, s2, v13, v28
	v_sub_co_ci_u32_e32 v14, vcc_lo, s31, v14, vcc_lo
	v_subrev_co_ci_u32_e64 v24, s2, 0, v24, s2
	s_delay_alu instid0(VALU_DEP_3) | instskip(NEXT) | instid1(VALU_DEP_3)
	v_cmp_ge_u32_e32 vcc_lo, v27, v28
	v_cmp_eq_u32_e64 s2, v14, v29
	v_cndmask_b32_e64 v27, 0, -1, vcc_lo
	s_delay_alu instid0(VALU_DEP_4)
	v_cmp_ge_u32_e32 vcc_lo, v24, v29
	v_cndmask_b32_e64 v30, 0, -1, vcc_lo
	v_cmp_ge_u32_e32 vcc_lo, v13, v28
	v_cndmask_b32_e64 v13, 0, -1, vcc_lo
	;; [unrolled: 2-line block ×3, first 2 shown]
	v_cmp_eq_u32_e32 vcc_lo, v24, v29
	s_delay_alu instid0(VALU_DEP_2) | instskip(SKIP_3) | instid1(VALU_DEP_3)
	v_cndmask_b32_e64 v13, v28, v13, s2
	v_cndmask_b32_e32 v24, v30, v27, vcc_lo
	v_add_co_u32 v27, vcc_lo, v15, 1
	v_add_co_ci_u32_e32 v30, vcc_lo, 0, v16, vcc_lo
	v_cmp_ne_u32_e32 vcc_lo, 0, v24
	s_delay_alu instid0(VALU_DEP_3) | instskip(NEXT) | instid1(VALU_DEP_3)
	v_cndmask_b32_e32 v24, v27, v25, vcc_lo
	v_cndmask_b32_e32 v14, v30, v26, vcc_lo
	v_cmp_ne_u32_e32 vcc_lo, 0, v13
	s_delay_alu instid0(VALU_DEP_2) | instskip(NEXT) | instid1(VALU_DEP_1)
	v_dual_cndmask_b32 v13, v16, v14 :: v_dual_cndmask_b32 v14, v15, v24
	v_xor_b32_e32 v15, v13, v18
	s_delay_alu instid0(VALU_DEP_2) | instskip(NEXT) | instid1(VALU_DEP_1)
	v_xor_b32_e32 v14, v14, v18
	v_sub_co_u32 v13, vcc_lo, v14, v18
	s_delay_alu instid0(VALU_DEP_3)
	v_sub_co_ci_u32_e32 v14, vcc_lo, v15, v18, vcc_lo
                                        ; implicit-def: $vgpr15_vgpr16
.LBB58_10:                              ;   in Loop: Header=BB58_4 Depth=1
	s_and_not1_saveexec_b32 s2, s29
	s_cbranch_execz .LBB58_12
; %bb.11:                               ;   in Loop: Header=BB58_4 Depth=1
	v_cvt_f32_u32_e32 v13, v15
	v_sub_nc_u32_e32 v14, 0, v15
	s_delay_alu instid0(VALU_DEP_2) | instskip(SKIP_2) | instid1(VALU_DEP_1)
	v_rcp_iflag_f32_e32 v13, v13
	s_waitcnt_depctr 0xfff
	v_mul_f32_e32 v13, 0x4f7ffffe, v13
	v_cvt_u32_f32_e32 v13, v13
	s_delay_alu instid0(VALU_DEP_1) | instskip(NEXT) | instid1(VALU_DEP_1)
	v_mul_lo_u32 v14, v14, v13
	v_mul_hi_u32 v14, v13, v14
	s_delay_alu instid0(VALU_DEP_1) | instskip(NEXT) | instid1(VALU_DEP_1)
	v_add_nc_u32_e32 v13, v13, v14
	v_mul_hi_u32 v13, s10, v13
	s_delay_alu instid0(VALU_DEP_1) | instskip(SKIP_1) | instid1(VALU_DEP_2)
	v_mul_lo_u32 v14, v13, v15
	v_add_nc_u32_e32 v16, 1, v13
	v_sub_nc_u32_e32 v14, s10, v14
	s_delay_alu instid0(VALU_DEP_1) | instskip(SKIP_1) | instid1(VALU_DEP_2)
	v_sub_nc_u32_e32 v18, v14, v15
	v_cmp_ge_u32_e32 vcc_lo, v14, v15
	v_dual_cndmask_b32 v14, v14, v18 :: v_dual_cndmask_b32 v13, v13, v16
	s_delay_alu instid0(VALU_DEP_1) | instskip(NEXT) | instid1(VALU_DEP_2)
	v_cmp_ge_u32_e32 vcc_lo, v14, v15
	v_add_nc_u32_e32 v16, 1, v13
	v_mov_b32_e32 v14, v17
	s_delay_alu instid0(VALU_DEP_2)
	v_cndmask_b32_e32 v13, v13, v16, vcc_lo
.LBB58_12:                              ;   in Loop: Header=BB58_4 Depth=1
	s_or_b32 exec_lo, exec_lo, s2
	s_waitcnt vmcnt(2)
	v_or_b32_e32 v18, s11, v10
                                        ; implicit-def: $vgpr15_vgpr16
	s_mov_b32 s2, exec_lo
	s_delay_alu instid0(VALU_DEP_1)
	v_cmpx_ne_u64_e32 0, v[17:18]
	s_xor_b32 s29, exec_lo, s2
	s_cbranch_execz .LBB58_14
; %bb.13:                               ;   in Loop: Header=BB58_4 Depth=1
	v_ashrrev_i32_e32 v18, 31, v10
	s_add_u32 s30, s10, s12
	s_mov_b32 s13, s12
	s_addc_u32 s31, s11, s12
	s_delay_alu instid0(SALU_CYCLE_1) | instskip(SKIP_2) | instid1(VALU_DEP_2)
	s_xor_b64 s[30:31], s[30:31], s[12:13]
	v_add_co_u32 v9, vcc_lo, v9, v18
	v_add_co_ci_u32_e32 v10, vcc_lo, v10, v18, vcc_lo
	v_xor_b32_e32 v26, v9, v18
	s_delay_alu instid0(VALU_DEP_2) | instskip(NEXT) | instid1(VALU_DEP_2)
	v_xor_b32_e32 v27, v10, v18
	v_cvt_f32_u32_e32 v9, v26
	v_sub_co_u32 v28, vcc_lo, 0, v26
	s_delay_alu instid0(VALU_DEP_3) | instskip(SKIP_1) | instid1(VALU_DEP_2)
	v_cvt_f32_u32_e32 v10, v27
	v_sub_co_ci_u32_e32 v29, vcc_lo, 0, v27, vcc_lo
	v_fmac_f32_e32 v9, 0x4f800000, v10
	s_delay_alu instid0(VALU_DEP_1) | instskip(SKIP_2) | instid1(VALU_DEP_1)
	v_rcp_f32_e32 v9, v9
	s_waitcnt_depctr 0xfff
	v_mul_f32_e32 v9, 0x5f7ffffc, v9
	v_mul_f32_e32 v10, 0x2f800000, v9
	s_delay_alu instid0(VALU_DEP_1) | instskip(NEXT) | instid1(VALU_DEP_1)
	v_trunc_f32_e32 v10, v10
	v_fmac_f32_e32 v9, 0xcf800000, v10
	v_cvt_u32_f32_e32 v30, v10
	s_delay_alu instid0(VALU_DEP_2) | instskip(NEXT) | instid1(VALU_DEP_2)
	v_cvt_u32_f32_e32 v31, v9
	v_mul_lo_u32 v15, v28, v30
	s_delay_alu instid0(VALU_DEP_2) | instskip(SKIP_1) | instid1(VALU_DEP_1)
	v_mul_lo_u32 v16, v29, v31
	v_mad_u64_u32 v[9:10], null, v28, v31, 0
	v_add3_u32 v32, v10, v15, v16
	s_delay_alu instid0(VALU_DEP_2) | instskip(SKIP_1) | instid1(VALU_DEP_3)
	v_mul_hi_u32 v33, v31, v9
	v_mad_u64_u32 v[24:25], null, v30, v9, 0
	v_mad_u64_u32 v[15:16], null, v31, v32, 0
	;; [unrolled: 1-line block ×3, first 2 shown]
	s_delay_alu instid0(VALU_DEP_2) | instskip(NEXT) | instid1(VALU_DEP_3)
	v_add_co_u32 v15, vcc_lo, v33, v15
	v_add_co_ci_u32_e32 v16, vcc_lo, 0, v16, vcc_lo
	s_delay_alu instid0(VALU_DEP_2) | instskip(NEXT) | instid1(VALU_DEP_2)
	v_add_co_u32 v15, vcc_lo, v15, v24
	v_add_co_ci_u32_e32 v15, vcc_lo, v16, v25, vcc_lo
	v_add_co_ci_u32_e32 v10, vcc_lo, 0, v10, vcc_lo
	s_delay_alu instid0(VALU_DEP_2) | instskip(NEXT) | instid1(VALU_DEP_2)
	v_add_co_u32 v9, vcc_lo, v15, v9
	v_add_co_ci_u32_e32 v10, vcc_lo, 0, v10, vcc_lo
	s_delay_alu instid0(VALU_DEP_2) | instskip(NEXT) | instid1(VALU_DEP_2)
	v_add_co_u32 v31, vcc_lo, v31, v9
	v_add_co_ci_u32_e32 v30, vcc_lo, v30, v10, vcc_lo
	s_delay_alu instid0(VALU_DEP_2) | instskip(SKIP_1) | instid1(VALU_DEP_3)
	v_mul_lo_u32 v15, v29, v31
	v_mad_u64_u32 v[9:10], null, v28, v31, 0
	v_mul_lo_u32 v16, v28, v30
	s_delay_alu instid0(VALU_DEP_2) | instskip(SKIP_1) | instid1(VALU_DEP_3)
	v_mul_hi_u32 v29, v31, v9
	v_mad_u64_u32 v[24:25], null, v30, v9, 0
	v_add3_u32 v28, v10, v16, v15
	s_delay_alu instid0(VALU_DEP_1) | instskip(SKIP_1) | instid1(VALU_DEP_2)
	v_mad_u64_u32 v[15:16], null, v31, v28, 0
	v_mad_u64_u32 v[9:10], null, v30, v28, 0
	v_add_co_u32 v15, vcc_lo, v29, v15
	s_delay_alu instid0(VALU_DEP_3) | instskip(NEXT) | instid1(VALU_DEP_2)
	v_add_co_ci_u32_e32 v16, vcc_lo, 0, v16, vcc_lo
	v_add_co_u32 v15, vcc_lo, v15, v24
	s_delay_alu instid0(VALU_DEP_2) | instskip(SKIP_1) | instid1(VALU_DEP_2)
	v_add_co_ci_u32_e32 v15, vcc_lo, v16, v25, vcc_lo
	v_add_co_ci_u32_e32 v10, vcc_lo, 0, v10, vcc_lo
	v_add_co_u32 v9, vcc_lo, v15, v9
	s_delay_alu instid0(VALU_DEP_2) | instskip(NEXT) | instid1(VALU_DEP_2)
	v_add_co_ci_u32_e32 v10, vcc_lo, 0, v10, vcc_lo
	v_add_co_u32 v24, vcc_lo, v31, v9
	s_delay_alu instid0(VALU_DEP_2) | instskip(NEXT) | instid1(VALU_DEP_2)
	v_add_co_ci_u32_e32 v28, vcc_lo, v30, v10, vcc_lo
	v_mul_hi_u32 v29, s30, v24
	v_mad_u64_u32 v[15:16], null, s31, v24, 0
	s_delay_alu instid0(VALU_DEP_3) | instskip(SKIP_1) | instid1(VALU_DEP_2)
	v_mad_u64_u32 v[9:10], null, s30, v28, 0
	v_mad_u64_u32 v[24:25], null, s31, v28, 0
	v_add_co_u32 v9, vcc_lo, v29, v9
	s_delay_alu instid0(VALU_DEP_3) | instskip(NEXT) | instid1(VALU_DEP_2)
	v_add_co_ci_u32_e32 v10, vcc_lo, 0, v10, vcc_lo
	v_add_co_u32 v9, vcc_lo, v9, v15
	s_delay_alu instid0(VALU_DEP_2) | instskip(SKIP_1) | instid1(VALU_DEP_2)
	v_add_co_ci_u32_e32 v9, vcc_lo, v10, v16, vcc_lo
	v_add_co_ci_u32_e32 v10, vcc_lo, 0, v25, vcc_lo
	v_add_co_u32 v15, vcc_lo, v9, v24
	s_delay_alu instid0(VALU_DEP_2) | instskip(NEXT) | instid1(VALU_DEP_2)
	v_add_co_ci_u32_e32 v16, vcc_lo, 0, v10, vcc_lo
	v_mul_lo_u32 v24, v27, v15
	v_mad_u64_u32 v[9:10], null, v26, v15, 0
	s_delay_alu instid0(VALU_DEP_3) | instskip(NEXT) | instid1(VALU_DEP_2)
	v_mul_lo_u32 v25, v26, v16
	v_sub_co_u32 v9, vcc_lo, s30, v9
	s_delay_alu instid0(VALU_DEP_2) | instskip(NEXT) | instid1(VALU_DEP_1)
	v_add3_u32 v10, v10, v25, v24
	v_sub_nc_u32_e32 v24, s31, v10
	s_delay_alu instid0(VALU_DEP_1) | instskip(SKIP_1) | instid1(VALU_DEP_1)
	v_sub_co_ci_u32_e64 v24, s2, v24, v27, vcc_lo
	v_add_co_u32 v25, s2, v15, 2
	v_add_co_ci_u32_e64 v28, s2, 0, v16, s2
	v_sub_co_u32 v29, s2, v9, v26
	v_sub_co_ci_u32_e32 v10, vcc_lo, s31, v10, vcc_lo
	v_subrev_co_ci_u32_e64 v24, s2, 0, v24, s2
	s_delay_alu instid0(VALU_DEP_3) | instskip(NEXT) | instid1(VALU_DEP_3)
	v_cmp_ge_u32_e32 vcc_lo, v29, v26
	v_cmp_eq_u32_e64 s2, v10, v27
	v_cndmask_b32_e64 v29, 0, -1, vcc_lo
	s_delay_alu instid0(VALU_DEP_4)
	v_cmp_ge_u32_e32 vcc_lo, v24, v27
	v_cndmask_b32_e64 v30, 0, -1, vcc_lo
	v_cmp_ge_u32_e32 vcc_lo, v9, v26
	v_cndmask_b32_e64 v9, 0, -1, vcc_lo
	;; [unrolled: 2-line block ×3, first 2 shown]
	v_cmp_eq_u32_e32 vcc_lo, v24, v27
	s_delay_alu instid0(VALU_DEP_2) | instskip(SKIP_3) | instid1(VALU_DEP_3)
	v_cndmask_b32_e64 v9, v26, v9, s2
	v_cndmask_b32_e32 v24, v30, v29, vcc_lo
	v_add_co_u32 v29, vcc_lo, v15, 1
	v_add_co_ci_u32_e32 v30, vcc_lo, 0, v16, vcc_lo
	v_cmp_ne_u32_e32 vcc_lo, 0, v24
	s_delay_alu instid0(VALU_DEP_3) | instskip(NEXT) | instid1(VALU_DEP_3)
	v_cndmask_b32_e32 v24, v29, v25, vcc_lo
	v_cndmask_b32_e32 v10, v30, v28, vcc_lo
	v_cmp_ne_u32_e32 vcc_lo, 0, v9
	v_xor_b32_e32 v9, s12, v18
	s_delay_alu instid0(VALU_DEP_3) | instskip(NEXT) | instid1(VALU_DEP_1)
	v_dual_cndmask_b32 v15, v15, v24 :: v_dual_cndmask_b32 v10, v16, v10
	v_xor_b32_e32 v15, v15, v9
	s_delay_alu instid0(VALU_DEP_2) | instskip(NEXT) | instid1(VALU_DEP_2)
	v_xor_b32_e32 v10, v10, v9
	v_sub_co_u32 v15, vcc_lo, v15, v9
	s_delay_alu instid0(VALU_DEP_2)
	v_sub_co_ci_u32_e32 v16, vcc_lo, v10, v9, vcc_lo
.LBB58_14:                              ;   in Loop: Header=BB58_4 Depth=1
	s_and_not1_saveexec_b32 s2, s29
	s_cbranch_execz .LBB58_16
; %bb.15:                               ;   in Loop: Header=BB58_4 Depth=1
	v_cvt_f32_u32_e32 v10, v9
	v_sub_nc_u32_e32 v15, 0, v9
	s_delay_alu instid0(VALU_DEP_2) | instskip(SKIP_2) | instid1(VALU_DEP_1)
	v_rcp_iflag_f32_e32 v10, v10
	s_waitcnt_depctr 0xfff
	v_mul_f32_e32 v10, 0x4f7ffffe, v10
	v_cvt_u32_f32_e32 v10, v10
	s_delay_alu instid0(VALU_DEP_1) | instskip(NEXT) | instid1(VALU_DEP_1)
	v_mul_lo_u32 v15, v15, v10
	v_mul_hi_u32 v15, v10, v15
	s_delay_alu instid0(VALU_DEP_1) | instskip(NEXT) | instid1(VALU_DEP_1)
	v_add_nc_u32_e32 v10, v10, v15
	v_mul_hi_u32 v10, s10, v10
	s_delay_alu instid0(VALU_DEP_1) | instskip(SKIP_1) | instid1(VALU_DEP_2)
	v_mul_lo_u32 v15, v10, v9
	v_add_nc_u32_e32 v16, 1, v10
	v_sub_nc_u32_e32 v15, s10, v15
	s_delay_alu instid0(VALU_DEP_1) | instskip(SKIP_1) | instid1(VALU_DEP_2)
	v_sub_nc_u32_e32 v18, v15, v9
	v_cmp_ge_u32_e32 vcc_lo, v15, v9
	v_dual_cndmask_b32 v15, v15, v18 :: v_dual_cndmask_b32 v10, v10, v16
	s_delay_alu instid0(VALU_DEP_1) | instskip(NEXT) | instid1(VALU_DEP_2)
	v_cmp_ge_u32_e32 vcc_lo, v15, v9
	v_add_nc_u32_e32 v16, 1, v10
	s_delay_alu instid0(VALU_DEP_1)
	v_dual_cndmask_b32 v15, v10, v16 :: v_dual_mov_b32 v16, v17
.LBB58_16:                              ;   in Loop: Header=BB58_4 Depth=1
	s_or_b32 exec_lo, exec_lo, s2
	v_or_b32_e32 v18, s11, v12
                                        ; implicit-def: $vgpr9_vgpr10
	s_mov_b32 s2, exec_lo
	s_delay_alu instid0(VALU_DEP_1)
	v_cmpx_ne_u64_e32 0, v[17:18]
	s_xor_b32 s29, exec_lo, s2
	s_cbranch_execz .LBB58_18
; %bb.17:                               ;   in Loop: Header=BB58_4 Depth=1
	v_ashrrev_i32_e32 v18, 31, v12
	s_add_u32 s30, s10, s12
	s_mov_b32 s13, s12
	s_addc_u32 s31, s11, s12
	s_delay_alu instid0(SALU_CYCLE_1) | instskip(SKIP_2) | instid1(VALU_DEP_2)
	s_xor_b64 s[30:31], s[30:31], s[12:13]
	v_add_co_u32 v9, vcc_lo, v11, v18
	v_add_co_ci_u32_e32 v10, vcc_lo, v12, v18, vcc_lo
	v_xor_b32_e32 v28, v9, v18
	s_delay_alu instid0(VALU_DEP_2) | instskip(SKIP_1) | instid1(VALU_DEP_3)
	v_xor_b32_e32 v29, v10, v18
	v_xor_b32_e32 v18, s12, v18
	v_cvt_f32_u32_e32 v9, v28
	v_sub_co_u32 v12, vcc_lo, 0, v28
	s_delay_alu instid0(VALU_DEP_4) | instskip(SKIP_1) | instid1(VALU_DEP_2)
	v_cvt_f32_u32_e32 v10, v29
	v_sub_co_ci_u32_e32 v30, vcc_lo, 0, v29, vcc_lo
	v_fmac_f32_e32 v9, 0x4f800000, v10
	s_delay_alu instid0(VALU_DEP_1) | instskip(SKIP_2) | instid1(VALU_DEP_1)
	v_rcp_f32_e32 v9, v9
	s_waitcnt_depctr 0xfff
	v_mul_f32_e32 v9, 0x5f7ffffc, v9
	v_mul_f32_e32 v10, 0x2f800000, v9
	s_delay_alu instid0(VALU_DEP_1) | instskip(NEXT) | instid1(VALU_DEP_1)
	v_trunc_f32_e32 v10, v10
	v_fmac_f32_e32 v9, 0xcf800000, v10
	v_cvt_u32_f32_e32 v31, v10
	s_delay_alu instid0(VALU_DEP_2) | instskip(NEXT) | instid1(VALU_DEP_2)
	v_cvt_u32_f32_e32 v32, v9
	v_mul_lo_u32 v11, v12, v31
	s_delay_alu instid0(VALU_DEP_2) | instskip(SKIP_1) | instid1(VALU_DEP_1)
	v_mul_lo_u32 v24, v30, v32
	v_mad_u64_u32 v[9:10], null, v12, v32, 0
	v_add3_u32 v33, v10, v11, v24
	s_delay_alu instid0(VALU_DEP_2) | instskip(SKIP_1) | instid1(VALU_DEP_3)
	v_mul_hi_u32 v34, v32, v9
	v_mad_u64_u32 v[24:25], null, v31, v9, 0
	v_mad_u64_u32 v[10:11], null, v32, v33, 0
	;; [unrolled: 1-line block ×3, first 2 shown]
	s_delay_alu instid0(VALU_DEP_2) | instskip(NEXT) | instid1(VALU_DEP_3)
	v_add_co_u32 v9, vcc_lo, v34, v10
	v_add_co_ci_u32_e32 v10, vcc_lo, 0, v11, vcc_lo
	s_delay_alu instid0(VALU_DEP_2) | instskip(NEXT) | instid1(VALU_DEP_2)
	v_add_co_u32 v9, vcc_lo, v9, v24
	v_add_co_ci_u32_e32 v9, vcc_lo, v10, v25, vcc_lo
	v_add_co_ci_u32_e32 v10, vcc_lo, 0, v27, vcc_lo
	s_delay_alu instid0(VALU_DEP_2) | instskip(NEXT) | instid1(VALU_DEP_2)
	v_add_co_u32 v9, vcc_lo, v9, v26
	v_add_co_ci_u32_e32 v10, vcc_lo, 0, v10, vcc_lo
	s_delay_alu instid0(VALU_DEP_2) | instskip(NEXT) | instid1(VALU_DEP_2)
	v_add_co_u32 v32, vcc_lo, v32, v9
	v_add_co_ci_u32_e32 v31, vcc_lo, v31, v10, vcc_lo
	s_delay_alu instid0(VALU_DEP_2) | instskip(SKIP_1) | instid1(VALU_DEP_3)
	v_mul_lo_u32 v11, v30, v32
	v_mad_u64_u32 v[9:10], null, v12, v32, 0
	v_mul_lo_u32 v12, v12, v31
	s_delay_alu instid0(VALU_DEP_2) | instskip(SKIP_1) | instid1(VALU_DEP_3)
	v_mul_hi_u32 v30, v32, v9
	v_mad_u64_u32 v[24:25], null, v31, v9, 0
	v_add3_u32 v12, v10, v12, v11
	s_delay_alu instid0(VALU_DEP_1) | instskip(SKIP_1) | instid1(VALU_DEP_2)
	v_mad_u64_u32 v[10:11], null, v32, v12, 0
	v_mad_u64_u32 v[26:27], null, v31, v12, 0
	v_add_co_u32 v9, vcc_lo, v30, v10
	s_delay_alu instid0(VALU_DEP_3) | instskip(NEXT) | instid1(VALU_DEP_2)
	v_add_co_ci_u32_e32 v10, vcc_lo, 0, v11, vcc_lo
	v_add_co_u32 v9, vcc_lo, v9, v24
	s_delay_alu instid0(VALU_DEP_2) | instskip(SKIP_1) | instid1(VALU_DEP_2)
	v_add_co_ci_u32_e32 v9, vcc_lo, v10, v25, vcc_lo
	v_add_co_ci_u32_e32 v10, vcc_lo, 0, v27, vcc_lo
	v_add_co_u32 v9, vcc_lo, v9, v26
	s_delay_alu instid0(VALU_DEP_2) | instskip(NEXT) | instid1(VALU_DEP_2)
	v_add_co_ci_u32_e32 v10, vcc_lo, 0, v10, vcc_lo
	v_add_co_u32 v24, vcc_lo, v32, v9
	s_delay_alu instid0(VALU_DEP_2) | instskip(NEXT) | instid1(VALU_DEP_2)
	v_add_co_ci_u32_e32 v26, vcc_lo, v31, v10, vcc_lo
	v_mul_hi_u32 v27, s30, v24
	v_mad_u64_u32 v[11:12], null, s31, v24, 0
	s_delay_alu instid0(VALU_DEP_3) | instskip(SKIP_1) | instid1(VALU_DEP_2)
	v_mad_u64_u32 v[9:10], null, s30, v26, 0
	v_mad_u64_u32 v[24:25], null, s31, v26, 0
	v_add_co_u32 v9, vcc_lo, v27, v9
	s_delay_alu instid0(VALU_DEP_3) | instskip(NEXT) | instid1(VALU_DEP_2)
	v_add_co_ci_u32_e32 v10, vcc_lo, 0, v10, vcc_lo
	v_add_co_u32 v9, vcc_lo, v9, v11
	s_delay_alu instid0(VALU_DEP_2) | instskip(SKIP_1) | instid1(VALU_DEP_2)
	v_add_co_ci_u32_e32 v9, vcc_lo, v10, v12, vcc_lo
	v_add_co_ci_u32_e32 v10, vcc_lo, 0, v25, vcc_lo
	v_add_co_u32 v11, vcc_lo, v9, v24
	s_delay_alu instid0(VALU_DEP_2) | instskip(NEXT) | instid1(VALU_DEP_2)
	v_add_co_ci_u32_e32 v12, vcc_lo, 0, v10, vcc_lo
	v_mul_lo_u32 v24, v29, v11
	v_mad_u64_u32 v[9:10], null, v28, v11, 0
	s_delay_alu instid0(VALU_DEP_3) | instskip(NEXT) | instid1(VALU_DEP_2)
	v_mul_lo_u32 v25, v28, v12
	v_sub_co_u32 v9, vcc_lo, s30, v9
	s_delay_alu instid0(VALU_DEP_2) | instskip(NEXT) | instid1(VALU_DEP_1)
	v_add3_u32 v10, v10, v25, v24
	v_sub_nc_u32_e32 v24, s31, v10
	s_delay_alu instid0(VALU_DEP_1) | instskip(SKIP_1) | instid1(VALU_DEP_1)
	v_sub_co_ci_u32_e64 v24, s2, v24, v29, vcc_lo
	v_add_co_u32 v25, s2, v11, 2
	v_add_co_ci_u32_e64 v26, s2, 0, v12, s2
	v_sub_co_u32 v27, s2, v9, v28
	v_sub_co_ci_u32_e32 v10, vcc_lo, s31, v10, vcc_lo
	v_subrev_co_ci_u32_e64 v24, s2, 0, v24, s2
	s_delay_alu instid0(VALU_DEP_3) | instskip(NEXT) | instid1(VALU_DEP_3)
	v_cmp_ge_u32_e32 vcc_lo, v27, v28
	v_cmp_eq_u32_e64 s2, v10, v29
	v_cndmask_b32_e64 v27, 0, -1, vcc_lo
	s_delay_alu instid0(VALU_DEP_4)
	v_cmp_ge_u32_e32 vcc_lo, v24, v29
	v_cndmask_b32_e64 v30, 0, -1, vcc_lo
	v_cmp_ge_u32_e32 vcc_lo, v9, v28
	v_cndmask_b32_e64 v9, 0, -1, vcc_lo
	;; [unrolled: 2-line block ×3, first 2 shown]
	v_cmp_eq_u32_e32 vcc_lo, v24, v29
	s_delay_alu instid0(VALU_DEP_2) | instskip(SKIP_3) | instid1(VALU_DEP_3)
	v_cndmask_b32_e64 v9, v28, v9, s2
	v_cndmask_b32_e32 v24, v30, v27, vcc_lo
	v_add_co_u32 v27, vcc_lo, v11, 1
	v_add_co_ci_u32_e32 v30, vcc_lo, 0, v12, vcc_lo
	v_cmp_ne_u32_e32 vcc_lo, 0, v24
	s_delay_alu instid0(VALU_DEP_3) | instskip(NEXT) | instid1(VALU_DEP_3)
	v_cndmask_b32_e32 v24, v27, v25, vcc_lo
	v_cndmask_b32_e32 v10, v30, v26, vcc_lo
	v_cmp_ne_u32_e32 vcc_lo, 0, v9
	s_delay_alu instid0(VALU_DEP_2) | instskip(NEXT) | instid1(VALU_DEP_1)
	v_dual_cndmask_b32 v9, v12, v10 :: v_dual_cndmask_b32 v10, v11, v24
	v_xor_b32_e32 v11, v9, v18
	s_delay_alu instid0(VALU_DEP_2) | instskip(NEXT) | instid1(VALU_DEP_1)
	v_xor_b32_e32 v10, v10, v18
	v_sub_co_u32 v9, vcc_lo, v10, v18
	s_delay_alu instid0(VALU_DEP_3)
	v_sub_co_ci_u32_e32 v10, vcc_lo, v11, v18, vcc_lo
                                        ; implicit-def: $vgpr11_vgpr12
.LBB58_18:                              ;   in Loop: Header=BB58_4 Depth=1
	s_and_not1_saveexec_b32 s2, s29
	s_cbranch_execz .LBB58_3
; %bb.19:                               ;   in Loop: Header=BB58_4 Depth=1
	v_cvt_f32_u32_e32 v9, v11
	v_sub_nc_u32_e32 v10, 0, v11
	s_delay_alu instid0(VALU_DEP_2) | instskip(SKIP_2) | instid1(VALU_DEP_1)
	v_rcp_iflag_f32_e32 v9, v9
	s_waitcnt_depctr 0xfff
	v_mul_f32_e32 v9, 0x4f7ffffe, v9
	v_cvt_u32_f32_e32 v9, v9
	s_delay_alu instid0(VALU_DEP_1) | instskip(NEXT) | instid1(VALU_DEP_1)
	v_mul_lo_u32 v10, v10, v9
	v_mul_hi_u32 v10, v9, v10
	s_delay_alu instid0(VALU_DEP_1) | instskip(NEXT) | instid1(VALU_DEP_1)
	v_add_nc_u32_e32 v9, v9, v10
	v_mul_hi_u32 v9, s10, v9
	s_delay_alu instid0(VALU_DEP_1) | instskip(SKIP_1) | instid1(VALU_DEP_2)
	v_mul_lo_u32 v10, v9, v11
	v_add_nc_u32_e32 v12, 1, v9
	v_sub_nc_u32_e32 v10, s10, v10
	s_delay_alu instid0(VALU_DEP_1) | instskip(SKIP_1) | instid1(VALU_DEP_2)
	v_sub_nc_u32_e32 v18, v10, v11
	v_cmp_ge_u32_e32 vcc_lo, v10, v11
	v_dual_cndmask_b32 v10, v10, v18 :: v_dual_cndmask_b32 v9, v9, v12
	s_delay_alu instid0(VALU_DEP_1) | instskip(NEXT) | instid1(VALU_DEP_2)
	v_cmp_ge_u32_e32 vcc_lo, v10, v11
	v_add_nc_u32_e32 v12, 1, v9
	v_mov_b32_e32 v10, v17
	s_delay_alu instid0(VALU_DEP_2)
	v_cndmask_b32_e32 v9, v9, v12, vcc_lo
	s_branch .LBB58_3
.LBB58_20:
	s_or_b32 exec_lo, exec_lo, s25
	s_mov_b32 s2, 0
.LBB58_21:
	s_delay_alu instid0(SALU_CYCLE_1)
	s_and_not1_b32 vcc_lo, exec_lo, s2
	s_cbranch_vccnz .LBB58_57
; %bb.22:
	v_cmp_lt_i64_e64 s2, s[8:9], 1
	s_delay_alu instid0(VALU_DEP_1)
	s_and_b32 vcc_lo, exec_lo, s2
	s_cbranch_vccnz .LBB58_57
; %bb.23:
	s_load_b32 s0, s[0:1], 0xc04
	v_dual_mov_b32 v2, 0 :: v_dual_lshlrev_b32 v3, 3, v0
	v_cmp_gt_u64_e64 s2, 0x10000, s[8:9]
	s_mov_b32 s3, 0
	s_delay_alu instid0(VALU_DEP_2) | instskip(NEXT) | instid1(VALU_DEP_3)
	v_mov_b32_e32 v4, v2
	v_add_co_u32 v28, s1, s14, v3
	s_delay_alu instid0(VALU_DEP_1) | instskip(SKIP_1) | instid1(VALU_DEP_1)
	v_add_co_ci_u32_e64 v29, null, s15, 0, s1
	v_add_co_u32 v30, s1, s16, v3
	v_add_co_ci_u32_e64 v31, null, s17, 0, s1
	v_add_co_u32 v32, s1, s18, v3
	s_delay_alu instid0(VALU_DEP_1)
	v_add_co_ci_u32_e64 v33, null, s19, 0, s1
	v_mov_b32_e32 v1, v2
	s_waitcnt lgkmcnt(0)
	s_and_b32 s1, s0, 0xffff
	s_and_b32 s0, s2, exec_lo
	v_mad_u64_u32 v[5:6], null, s1, 24, v[3:4]
	s_cselect_b32 s13, s9, 0
	s_cselect_b32 s12, s8, 0x10000
	s_lshl_b32 s0, s1, 4
	s_lshl_b32 s2, s1, 2
	v_add_co_u32 v3, s0, s0, v3
	s_delay_alu instid0(VALU_DEP_2) | instskip(NEXT) | instid1(VALU_DEP_3)
	v_add_co_u32 v34, vcc_lo, s14, v5
	v_add_co_ci_u32_e32 v35, vcc_lo, s15, v6, vcc_lo
	v_add_co_u32 v36, vcc_lo, s16, v5
	v_add_co_ci_u32_e32 v37, vcc_lo, s17, v6, vcc_lo
	v_add_co_ci_u32_e64 v4, null, 0, 0, s0
	v_add_co_u32 v38, vcc_lo, s18, v5
	v_add_lshl_u32 v5, v0, s1, 3
	v_add_co_ci_u32_e32 v39, vcc_lo, s19, v6, vcc_lo
	v_add_co_u32 v40, vcc_lo, s14, v3
	v_add_co_ci_u32_e32 v41, vcc_lo, s15, v4, vcc_lo
	s_delay_alu instid0(VALU_DEP_4)
	v_add_co_u32 v46, s0, s14, v5
	v_add_co_u32 v42, vcc_lo, s16, v3
	v_add_co_ci_u32_e64 v47, null, s15, 0, s0
	v_add_co_u32 v48, s0, s16, v5
	v_add_co_ci_u32_e32 v43, vcc_lo, s17, v4, vcc_lo
	v_add_co_u32 v44, vcc_lo, s18, v3
	v_add_co_ci_u32_e64 v49, null, s17, 0, s0
	v_add_co_u32 v50, s0, s18, v5
	v_add_co_ci_u32_e32 v45, vcc_lo, s19, v4, vcc_lo
	v_add_co_ci_u32_e64 v51, null, s19, 0, s0
	s_lshl_b32 s20, s1, 1
	s_mul_i32 s21, s1, 3
	s_lshl_b32 s18, s1, 5
	s_ashr_i32 s14, s11, 31
	s_mov_b64 s[16:17], s[2:3]
	s_branch .LBB58_25
.LBB58_24:                              ;   in Loop: Header=BB58_25 Depth=1
	s_or_b32 exec_lo, exec_lo, s0
	v_add_co_u32 v28, vcc_lo, v28, s18
	v_add_co_ci_u32_e32 v29, vcc_lo, 0, v29, vcc_lo
	v_add_co_u32 v30, vcc_lo, v30, s18
	v_add_co_ci_u32_e32 v31, vcc_lo, 0, v31, vcc_lo
	;; [unrolled: 2-line block ×11, first 2 shown]
	v_cmp_ge_i64_e64 s0, s[16:17], s[8:9]
	v_cmp_lt_u64_e64 s3, 0xffff, s[16:17]
	v_add_co_u32 v48, vcc_lo, v48, s18
	v_add_co_ci_u32_e32 v49, vcc_lo, 0, v49, vcc_lo
	v_add_co_u32 v50, vcc_lo, v50, s18
	v_add_co_ci_u32_e32 v51, vcc_lo, 0, v51, vcc_lo
	s_or_b32 s0, s0, s3
	s_add_u32 s16, s16, s2
	s_addc_u32 s17, s17, 0
	s_and_b32 vcc_lo, exec_lo, s0
	s_cbranch_vccnz .LBB58_57
.LBB58_25:                              ; =>This Inner Loop Header: Depth=1
	v_mov_b32_e32 v24, 0
	v_mov_b32_e32 v25, 0
	v_cmp_gt_i64_e32 vcc_lo, s[8:9], v[0:1]
	v_cmp_gt_u64_e64 s0, 0x10000, v[0:1]
	s_delay_alu instid0(VALU_DEP_4) | instskip(NEXT) | instid1(VALU_DEP_4)
	v_mov_b32_e32 v18, v24
	v_dual_mov_b32 v4, v24 :: v_dual_mov_b32 v5, v25
	v_mov_b32_e32 v19, v25
	s_delay_alu instid0(VALU_DEP_4) | instskip(NEXT) | instid1(SALU_CYCLE_1)
	s_and_b32 s3, vcc_lo, s0
	s_and_saveexec_b32 s0, s3
	s_cbranch_execz .LBB58_27
; %bb.26:                               ;   in Loop: Header=BB58_25 Depth=1
	v_add_co_u32 v3, vcc_lo, v28, s4
	v_add_co_ci_u32_e32 v4, vcc_lo, s5, v29, vcc_lo
	v_add_co_u32 v6, vcc_lo, v30, s4
	v_add_co_ci_u32_e32 v7, vcc_lo, s5, v31, vcc_lo
	global_load_b64 v[4:5], v[3:4], off
	global_load_b64 v[18:19], v[6:7], off
.LBB58_27:                              ;   in Loop: Header=BB58_25 Depth=1
	s_or_b32 exec_lo, exec_lo, s0
	v_add_co_u32 v6, vcc_lo, s1, v0
	v_add_co_ci_u32_e32 v7, vcc_lo, 0, v1, vcc_lo
	v_dual_mov_b32 v8, v24 :: v_dual_mov_b32 v9, v25
	s_delay_alu instid0(VALU_DEP_2) | instskip(SKIP_1) | instid1(VALU_DEP_1)
	v_cmp_gt_i64_e32 vcc_lo, s[8:9], v[6:7]
	v_cmp_gt_u64_e64 s0, 0x10000, v[6:7]
	s_and_b32 s3, vcc_lo, s0
	s_delay_alu instid0(SALU_CYCLE_1)
	s_and_saveexec_b32 s0, s3
	s_cbranch_execz .LBB58_29
; %bb.28:                               ;   in Loop: Header=BB58_25 Depth=1
	v_add_co_u32 v8, vcc_lo, v46, s4
	v_add_co_ci_u32_e32 v9, vcc_lo, s5, v47, vcc_lo
	v_add_co_u32 v10, vcc_lo, v48, s4
	v_add_co_ci_u32_e32 v11, vcc_lo, s5, v49, vcc_lo
	global_load_b64 v[8:9], v[8:9], off
	global_load_b64 v[24:25], v[10:11], off
.LBB58_29:                              ;   in Loop: Header=BB58_25 Depth=1
	s_or_b32 exec_lo, exec_lo, s0
	v_add_co_u32 v10, vcc_lo, s20, v0
	v_add_co_ci_u32_e32 v11, vcc_lo, 0, v1, vcc_lo
	v_mov_b32_e32 v22, 0
	v_mov_b32_e32 v23, 0
	s_delay_alu instid0(VALU_DEP_2) | instskip(NEXT) | instid1(VALU_DEP_4)
	v_mov_b32_e32 v12, v22
	v_cmp_gt_i64_e32 vcc_lo, s[8:9], v[10:11]
	v_cmp_gt_u64_e64 s0, 0x10000, v[10:11]
	s_delay_alu instid0(VALU_DEP_4) | instskip(SKIP_1) | instid1(VALU_DEP_3)
	v_mov_b32_e32 v13, v23
	v_dual_mov_b32 v27, v23 :: v_dual_mov_b32 v26, v22
	s_and_b32 s3, vcc_lo, s0
	s_delay_alu instid0(SALU_CYCLE_1)
	s_and_saveexec_b32 s0, s3
	s_cbranch_execz .LBB58_31
; %bb.30:                               ;   in Loop: Header=BB58_25 Depth=1
	v_add_co_u32 v12, vcc_lo, v40, s4
	v_add_co_ci_u32_e32 v13, vcc_lo, s5, v41, vcc_lo
	v_add_co_u32 v14, vcc_lo, v42, s4
	v_add_co_ci_u32_e32 v15, vcc_lo, s5, v43, vcc_lo
	global_load_b64 v[12:13], v[12:13], off
	global_load_b64 v[26:27], v[14:15], off
.LBB58_31:                              ;   in Loop: Header=BB58_25 Depth=1
	s_or_b32 exec_lo, exec_lo, s0
	v_add_co_u32 v14, vcc_lo, s21, v0
	v_add_co_ci_u32_e32 v15, vcc_lo, 0, v1, vcc_lo
	v_dual_mov_b32 v16, v22 :: v_dual_mov_b32 v17, v23
	s_delay_alu instid0(VALU_DEP_2) | instskip(SKIP_1) | instid1(VALU_DEP_1)
	v_cmp_gt_i64_e32 vcc_lo, s[8:9], v[14:15]
	v_cmp_gt_u64_e64 s0, 0x10000, v[14:15]
	s_and_b32 s3, vcc_lo, s0
	s_delay_alu instid0(SALU_CYCLE_1)
	s_and_saveexec_b32 s0, s3
	s_cbranch_execz .LBB58_33
; %bb.32:                               ;   in Loop: Header=BB58_25 Depth=1
	v_add_co_u32 v16, vcc_lo, v34, s4
	v_add_co_ci_u32_e32 v17, vcc_lo, s5, v35, vcc_lo
	v_add_co_u32 v20, vcc_lo, v36, s4
	v_add_co_ci_u32_e32 v21, vcc_lo, s5, v37, vcc_lo
	global_load_b64 v[16:17], v[16:17], off
	global_load_b64 v[22:23], v[20:21], off
.LBB58_33:                              ;   in Loop: Header=BB58_25 Depth=1
	s_or_b32 exec_lo, exec_lo, s0
	s_waitcnt vmcnt(0)
	v_or_b32_e32 v3, s11, v25
                                        ; implicit-def: $vgpr20_vgpr21
	s_mov_b32 s0, exec_lo
	s_delay_alu instid0(VALU_DEP_1)
	v_cmpx_ne_u64_e32 0, v[2:3]
	s_xor_b32 s3, exec_lo, s0
	s_cbranch_execz .LBB58_35
; %bb.34:                               ;   in Loop: Header=BB58_25 Depth=1
	v_ashrrev_i32_e32 v3, 31, v25
	s_add_u32 s22, s10, s14
	s_mov_b32 s15, s14
	s_addc_u32 s23, s11, s14
	s_delay_alu instid0(SALU_CYCLE_1) | instskip(SKIP_2) | instid1(VALU_DEP_2)
	s_xor_b64 s[22:23], s[22:23], s[14:15]
	v_add_co_u32 v20, vcc_lo, v24, v3
	v_add_co_ci_u32_e32 v21, vcc_lo, v25, v3, vcc_lo
	v_xor_b32_e32 v54, v20, v3
	s_delay_alu instid0(VALU_DEP_2) | instskip(SKIP_1) | instid1(VALU_DEP_3)
	v_xor_b32_e32 v55, v21, v3
	v_xor_b32_e32 v3, s14, v3
	v_cvt_f32_u32_e32 v20, v54
	v_sub_co_u32 v56, vcc_lo, 0, v54
	s_delay_alu instid0(VALU_DEP_4) | instskip(SKIP_1) | instid1(VALU_DEP_2)
	v_cvt_f32_u32_e32 v21, v55
	v_sub_co_ci_u32_e32 v57, vcc_lo, 0, v55, vcc_lo
	v_fmac_f32_e32 v20, 0x4f800000, v21
	s_delay_alu instid0(VALU_DEP_1) | instskip(SKIP_2) | instid1(VALU_DEP_1)
	v_rcp_f32_e32 v20, v20
	s_waitcnt_depctr 0xfff
	v_mul_f32_e32 v20, 0x5f7ffffc, v20
	v_mul_f32_e32 v21, 0x2f800000, v20
	s_delay_alu instid0(VALU_DEP_1) | instskip(NEXT) | instid1(VALU_DEP_1)
	v_trunc_f32_e32 v21, v21
	v_fmac_f32_e32 v20, 0xcf800000, v21
	v_cvt_u32_f32_e32 v58, v21
	s_delay_alu instid0(VALU_DEP_2) | instskip(NEXT) | instid1(VALU_DEP_2)
	v_cvt_u32_f32_e32 v59, v20
	v_mul_lo_u32 v24, v56, v58
	s_delay_alu instid0(VALU_DEP_2) | instskip(SKIP_1) | instid1(VALU_DEP_1)
	v_mul_lo_u32 v25, v57, v59
	v_mad_u64_u32 v[20:21], null, v56, v59, 0
	v_add3_u32 v60, v21, v24, v25
	s_delay_alu instid0(VALU_DEP_2) | instskip(SKIP_1) | instid1(VALU_DEP_3)
	v_mul_hi_u32 v61, v59, v20
	v_mad_u64_u32 v[52:53], null, v58, v20, 0
	v_mad_u64_u32 v[24:25], null, v59, v60, 0
	;; [unrolled: 1-line block ×3, first 2 shown]
	s_delay_alu instid0(VALU_DEP_2) | instskip(NEXT) | instid1(VALU_DEP_3)
	v_add_co_u32 v24, vcc_lo, v61, v24
	v_add_co_ci_u32_e32 v25, vcc_lo, 0, v25, vcc_lo
	s_delay_alu instid0(VALU_DEP_2) | instskip(NEXT) | instid1(VALU_DEP_2)
	v_add_co_u32 v24, vcc_lo, v24, v52
	v_add_co_ci_u32_e32 v24, vcc_lo, v25, v53, vcc_lo
	v_add_co_ci_u32_e32 v21, vcc_lo, 0, v21, vcc_lo
	s_delay_alu instid0(VALU_DEP_2) | instskip(NEXT) | instid1(VALU_DEP_2)
	v_add_co_u32 v20, vcc_lo, v24, v20
	v_add_co_ci_u32_e32 v21, vcc_lo, 0, v21, vcc_lo
	s_delay_alu instid0(VALU_DEP_2) | instskip(NEXT) | instid1(VALU_DEP_2)
	v_add_co_u32 v59, vcc_lo, v59, v20
	v_add_co_ci_u32_e32 v58, vcc_lo, v58, v21, vcc_lo
	s_delay_alu instid0(VALU_DEP_2) | instskip(SKIP_1) | instid1(VALU_DEP_3)
	v_mul_lo_u32 v24, v57, v59
	v_mad_u64_u32 v[20:21], null, v56, v59, 0
	v_mul_lo_u32 v25, v56, v58
	s_delay_alu instid0(VALU_DEP_2) | instskip(SKIP_1) | instid1(VALU_DEP_3)
	v_mul_hi_u32 v57, v59, v20
	v_mad_u64_u32 v[52:53], null, v58, v20, 0
	v_add3_u32 v56, v21, v25, v24
	s_delay_alu instid0(VALU_DEP_1) | instskip(SKIP_1) | instid1(VALU_DEP_2)
	v_mad_u64_u32 v[24:25], null, v59, v56, 0
	v_mad_u64_u32 v[20:21], null, v58, v56, 0
	v_add_co_u32 v24, vcc_lo, v57, v24
	s_delay_alu instid0(VALU_DEP_3) | instskip(NEXT) | instid1(VALU_DEP_2)
	v_add_co_ci_u32_e32 v25, vcc_lo, 0, v25, vcc_lo
	v_add_co_u32 v24, vcc_lo, v24, v52
	s_delay_alu instid0(VALU_DEP_2) | instskip(SKIP_1) | instid1(VALU_DEP_2)
	v_add_co_ci_u32_e32 v24, vcc_lo, v25, v53, vcc_lo
	v_add_co_ci_u32_e32 v21, vcc_lo, 0, v21, vcc_lo
	v_add_co_u32 v20, vcc_lo, v24, v20
	s_delay_alu instid0(VALU_DEP_2) | instskip(NEXT) | instid1(VALU_DEP_2)
	v_add_co_ci_u32_e32 v21, vcc_lo, 0, v21, vcc_lo
	v_add_co_u32 v52, vcc_lo, v59, v20
	s_delay_alu instid0(VALU_DEP_2) | instskip(NEXT) | instid1(VALU_DEP_2)
	v_add_co_ci_u32_e32 v56, vcc_lo, v58, v21, vcc_lo
	v_mul_hi_u32 v57, s22, v52
	v_mad_u64_u32 v[24:25], null, s23, v52, 0
	s_delay_alu instid0(VALU_DEP_3) | instskip(SKIP_1) | instid1(VALU_DEP_2)
	v_mad_u64_u32 v[20:21], null, s22, v56, 0
	v_mad_u64_u32 v[52:53], null, s23, v56, 0
	v_add_co_u32 v20, vcc_lo, v57, v20
	s_delay_alu instid0(VALU_DEP_3) | instskip(NEXT) | instid1(VALU_DEP_2)
	v_add_co_ci_u32_e32 v21, vcc_lo, 0, v21, vcc_lo
	v_add_co_u32 v20, vcc_lo, v20, v24
	s_delay_alu instid0(VALU_DEP_2) | instskip(SKIP_1) | instid1(VALU_DEP_2)
	v_add_co_ci_u32_e32 v20, vcc_lo, v21, v25, vcc_lo
	v_add_co_ci_u32_e32 v21, vcc_lo, 0, v53, vcc_lo
	v_add_co_u32 v24, vcc_lo, v20, v52
	s_delay_alu instid0(VALU_DEP_2) | instskip(NEXT) | instid1(VALU_DEP_2)
	v_add_co_ci_u32_e32 v25, vcc_lo, 0, v21, vcc_lo
	v_mul_lo_u32 v52, v55, v24
	v_mad_u64_u32 v[20:21], null, v54, v24, 0
	s_delay_alu instid0(VALU_DEP_3) | instskip(NEXT) | instid1(VALU_DEP_2)
	v_mul_lo_u32 v53, v54, v25
	v_sub_co_u32 v20, vcc_lo, s22, v20
	s_delay_alu instid0(VALU_DEP_2) | instskip(NEXT) | instid1(VALU_DEP_1)
	v_add3_u32 v21, v21, v53, v52
	v_sub_nc_u32_e32 v52, s23, v21
	s_delay_alu instid0(VALU_DEP_1) | instskip(SKIP_1) | instid1(VALU_DEP_1)
	v_sub_co_ci_u32_e64 v52, s0, v52, v55, vcc_lo
	v_add_co_u32 v53, s0, v24, 2
	v_add_co_ci_u32_e64 v56, s0, 0, v25, s0
	v_sub_co_u32 v57, s0, v20, v54
	v_sub_co_ci_u32_e32 v21, vcc_lo, s23, v21, vcc_lo
	v_subrev_co_ci_u32_e64 v52, s0, 0, v52, s0
	s_delay_alu instid0(VALU_DEP_3) | instskip(NEXT) | instid1(VALU_DEP_3)
	v_cmp_ge_u32_e32 vcc_lo, v57, v54
	v_cmp_eq_u32_e64 s0, v21, v55
	v_cndmask_b32_e64 v57, 0, -1, vcc_lo
	s_delay_alu instid0(VALU_DEP_4)
	v_cmp_ge_u32_e32 vcc_lo, v52, v55
	v_cndmask_b32_e64 v58, 0, -1, vcc_lo
	v_cmp_ge_u32_e32 vcc_lo, v20, v54
	v_cndmask_b32_e64 v20, 0, -1, vcc_lo
	;; [unrolled: 2-line block ×3, first 2 shown]
	v_cmp_eq_u32_e32 vcc_lo, v52, v55
	s_delay_alu instid0(VALU_DEP_2) | instskip(SKIP_3) | instid1(VALU_DEP_3)
	v_cndmask_b32_e64 v20, v54, v20, s0
	v_cndmask_b32_e32 v52, v58, v57, vcc_lo
	v_add_co_u32 v57, vcc_lo, v24, 1
	v_add_co_ci_u32_e32 v58, vcc_lo, 0, v25, vcc_lo
	v_cmp_ne_u32_e32 vcc_lo, 0, v52
	s_delay_alu instid0(VALU_DEP_2) | instskip(SKIP_1) | instid1(VALU_DEP_2)
	v_dual_cndmask_b32 v21, v58, v56 :: v_dual_cndmask_b32 v52, v57, v53
	v_cmp_ne_u32_e32 vcc_lo, 0, v20
	v_dual_cndmask_b32 v20, v25, v21 :: v_dual_cndmask_b32 v21, v24, v52
	s_delay_alu instid0(VALU_DEP_1) | instskip(NEXT) | instid1(VALU_DEP_2)
	v_xor_b32_e32 v24, v20, v3
	v_xor_b32_e32 v21, v21, v3
	s_delay_alu instid0(VALU_DEP_1) | instskip(NEXT) | instid1(VALU_DEP_3)
	v_sub_co_u32 v20, vcc_lo, v21, v3
	v_sub_co_ci_u32_e32 v21, vcc_lo, v24, v3, vcc_lo
                                        ; implicit-def: $vgpr24_vgpr25
.LBB58_35:                              ;   in Loop: Header=BB58_25 Depth=1
	s_and_not1_saveexec_b32 s0, s3
	s_cbranch_execz .LBB58_37
; %bb.36:                               ;   in Loop: Header=BB58_25 Depth=1
	v_cvt_f32_u32_e32 v3, v24
	v_sub_nc_u32_e32 v20, 0, v24
	s_delay_alu instid0(VALU_DEP_2) | instskip(SKIP_2) | instid1(VALU_DEP_1)
	v_rcp_iflag_f32_e32 v3, v3
	s_waitcnt_depctr 0xfff
	v_mul_f32_e32 v3, 0x4f7ffffe, v3
	v_cvt_u32_f32_e32 v3, v3
	s_delay_alu instid0(VALU_DEP_1) | instskip(NEXT) | instid1(VALU_DEP_1)
	v_mul_lo_u32 v20, v20, v3
	v_mul_hi_u32 v20, v3, v20
	s_delay_alu instid0(VALU_DEP_1) | instskip(NEXT) | instid1(VALU_DEP_1)
	v_add_nc_u32_e32 v3, v3, v20
	v_mul_hi_u32 v3, s10, v3
	s_delay_alu instid0(VALU_DEP_1) | instskip(SKIP_1) | instid1(VALU_DEP_2)
	v_mul_lo_u32 v20, v3, v24
	v_add_nc_u32_e32 v21, 1, v3
	v_sub_nc_u32_e32 v20, s10, v20
	s_delay_alu instid0(VALU_DEP_1) | instskip(SKIP_1) | instid1(VALU_DEP_2)
	v_sub_nc_u32_e32 v25, v20, v24
	v_cmp_ge_u32_e32 vcc_lo, v20, v24
	v_cndmask_b32_e32 v20, v20, v25, vcc_lo
	v_cndmask_b32_e32 v3, v3, v21, vcc_lo
	s_delay_alu instid0(VALU_DEP_2) | instskip(NEXT) | instid1(VALU_DEP_2)
	v_cmp_ge_u32_e32 vcc_lo, v20, v24
	v_add_nc_u32_e32 v21, 1, v3
	s_delay_alu instid0(VALU_DEP_1)
	v_dual_cndmask_b32 v20, v3, v21 :: v_dual_mov_b32 v21, v2
.LBB58_37:                              ;   in Loop: Header=BB58_25 Depth=1
	s_or_b32 exec_lo, exec_lo, s0
	v_or_b32_e32 v3, s11, v27
                                        ; implicit-def: $vgpr24_vgpr25
	s_mov_b32 s0, exec_lo
	s_delay_alu instid0(VALU_DEP_1)
	v_cmpx_ne_u64_e32 0, v[2:3]
	s_xor_b32 s3, exec_lo, s0
	s_cbranch_execz .LBB58_39
; %bb.38:                               ;   in Loop: Header=BB58_25 Depth=1
	v_ashrrev_i32_e32 v3, 31, v27
	s_add_u32 s22, s10, s14
	s_mov_b32 s15, s14
	s_addc_u32 s23, s11, s14
	s_delay_alu instid0(SALU_CYCLE_1) | instskip(SKIP_2) | instid1(VALU_DEP_2)
	s_xor_b64 s[22:23], s[22:23], s[14:15]
	v_add_co_u32 v24, vcc_lo, v26, v3
	v_add_co_ci_u32_e32 v25, vcc_lo, v27, v3, vcc_lo
	v_xor_b32_e32 v56, v24, v3
	s_delay_alu instid0(VALU_DEP_2) | instskip(SKIP_1) | instid1(VALU_DEP_3)
	v_xor_b32_e32 v57, v25, v3
	v_xor_b32_e32 v3, s14, v3
	v_cvt_f32_u32_e32 v24, v56
	v_sub_co_u32 v27, vcc_lo, 0, v56
	s_delay_alu instid0(VALU_DEP_4) | instskip(SKIP_1) | instid1(VALU_DEP_2)
	v_cvt_f32_u32_e32 v25, v57
	v_sub_co_ci_u32_e32 v58, vcc_lo, 0, v57, vcc_lo
	v_fmac_f32_e32 v24, 0x4f800000, v25
	s_delay_alu instid0(VALU_DEP_1) | instskip(SKIP_2) | instid1(VALU_DEP_1)
	v_rcp_f32_e32 v24, v24
	s_waitcnt_depctr 0xfff
	v_mul_f32_e32 v24, 0x5f7ffffc, v24
	v_mul_f32_e32 v25, 0x2f800000, v24
	s_delay_alu instid0(VALU_DEP_1) | instskip(NEXT) | instid1(VALU_DEP_1)
	v_trunc_f32_e32 v25, v25
	v_fmac_f32_e32 v24, 0xcf800000, v25
	v_cvt_u32_f32_e32 v59, v25
	s_delay_alu instid0(VALU_DEP_2) | instskip(NEXT) | instid1(VALU_DEP_2)
	v_cvt_u32_f32_e32 v60, v24
	v_mul_lo_u32 v26, v27, v59
	s_delay_alu instid0(VALU_DEP_2) | instskip(SKIP_1) | instid1(VALU_DEP_1)
	v_mul_lo_u32 v52, v58, v60
	v_mad_u64_u32 v[24:25], null, v27, v60, 0
	v_add3_u32 v61, v25, v26, v52
	s_delay_alu instid0(VALU_DEP_2) | instskip(SKIP_1) | instid1(VALU_DEP_3)
	v_mul_hi_u32 v62, v60, v24
	v_mad_u64_u32 v[52:53], null, v59, v24, 0
	v_mad_u64_u32 v[25:26], null, v60, v61, 0
	;; [unrolled: 1-line block ×3, first 2 shown]
	s_delay_alu instid0(VALU_DEP_2) | instskip(NEXT) | instid1(VALU_DEP_3)
	v_add_co_u32 v24, vcc_lo, v62, v25
	v_add_co_ci_u32_e32 v25, vcc_lo, 0, v26, vcc_lo
	s_delay_alu instid0(VALU_DEP_2) | instskip(NEXT) | instid1(VALU_DEP_2)
	v_add_co_u32 v24, vcc_lo, v24, v52
	v_add_co_ci_u32_e32 v24, vcc_lo, v25, v53, vcc_lo
	v_add_co_ci_u32_e32 v25, vcc_lo, 0, v55, vcc_lo
	s_delay_alu instid0(VALU_DEP_2) | instskip(NEXT) | instid1(VALU_DEP_2)
	v_add_co_u32 v24, vcc_lo, v24, v54
	v_add_co_ci_u32_e32 v25, vcc_lo, 0, v25, vcc_lo
	s_delay_alu instid0(VALU_DEP_2) | instskip(NEXT) | instid1(VALU_DEP_2)
	v_add_co_u32 v60, vcc_lo, v60, v24
	v_add_co_ci_u32_e32 v59, vcc_lo, v59, v25, vcc_lo
	s_delay_alu instid0(VALU_DEP_2) | instskip(SKIP_1) | instid1(VALU_DEP_3)
	v_mul_lo_u32 v26, v58, v60
	v_mad_u64_u32 v[24:25], null, v27, v60, 0
	v_mul_lo_u32 v27, v27, v59
	s_delay_alu instid0(VALU_DEP_2) | instskip(SKIP_1) | instid1(VALU_DEP_3)
	v_mul_hi_u32 v58, v60, v24
	v_mad_u64_u32 v[52:53], null, v59, v24, 0
	v_add3_u32 v27, v25, v27, v26
	s_delay_alu instid0(VALU_DEP_1) | instskip(SKIP_1) | instid1(VALU_DEP_2)
	v_mad_u64_u32 v[25:26], null, v60, v27, 0
	v_mad_u64_u32 v[54:55], null, v59, v27, 0
	v_add_co_u32 v24, vcc_lo, v58, v25
	s_delay_alu instid0(VALU_DEP_3) | instskip(NEXT) | instid1(VALU_DEP_2)
	v_add_co_ci_u32_e32 v25, vcc_lo, 0, v26, vcc_lo
	v_add_co_u32 v24, vcc_lo, v24, v52
	s_delay_alu instid0(VALU_DEP_2) | instskip(SKIP_1) | instid1(VALU_DEP_2)
	v_add_co_ci_u32_e32 v24, vcc_lo, v25, v53, vcc_lo
	v_add_co_ci_u32_e32 v25, vcc_lo, 0, v55, vcc_lo
	v_add_co_u32 v24, vcc_lo, v24, v54
	s_delay_alu instid0(VALU_DEP_2) | instskip(NEXT) | instid1(VALU_DEP_2)
	v_add_co_ci_u32_e32 v25, vcc_lo, 0, v25, vcc_lo
	v_add_co_u32 v52, vcc_lo, v60, v24
	s_delay_alu instid0(VALU_DEP_2) | instskip(NEXT) | instid1(VALU_DEP_2)
	v_add_co_ci_u32_e32 v54, vcc_lo, v59, v25, vcc_lo
	v_mul_hi_u32 v55, s22, v52
	v_mad_u64_u32 v[26:27], null, s23, v52, 0
	s_delay_alu instid0(VALU_DEP_3) | instskip(SKIP_1) | instid1(VALU_DEP_2)
	v_mad_u64_u32 v[24:25], null, s22, v54, 0
	v_mad_u64_u32 v[52:53], null, s23, v54, 0
	v_add_co_u32 v24, vcc_lo, v55, v24
	s_delay_alu instid0(VALU_DEP_3) | instskip(NEXT) | instid1(VALU_DEP_2)
	v_add_co_ci_u32_e32 v25, vcc_lo, 0, v25, vcc_lo
	v_add_co_u32 v24, vcc_lo, v24, v26
	s_delay_alu instid0(VALU_DEP_2) | instskip(SKIP_1) | instid1(VALU_DEP_2)
	v_add_co_ci_u32_e32 v24, vcc_lo, v25, v27, vcc_lo
	v_add_co_ci_u32_e32 v25, vcc_lo, 0, v53, vcc_lo
	v_add_co_u32 v26, vcc_lo, v24, v52
	s_delay_alu instid0(VALU_DEP_2) | instskip(NEXT) | instid1(VALU_DEP_2)
	v_add_co_ci_u32_e32 v27, vcc_lo, 0, v25, vcc_lo
	v_mul_lo_u32 v52, v57, v26
	v_mad_u64_u32 v[24:25], null, v56, v26, 0
	s_delay_alu instid0(VALU_DEP_3) | instskip(NEXT) | instid1(VALU_DEP_2)
	v_mul_lo_u32 v53, v56, v27
	v_sub_co_u32 v24, vcc_lo, s22, v24
	s_delay_alu instid0(VALU_DEP_2) | instskip(NEXT) | instid1(VALU_DEP_1)
	v_add3_u32 v25, v25, v53, v52
	v_sub_nc_u32_e32 v52, s23, v25
	s_delay_alu instid0(VALU_DEP_1) | instskip(SKIP_1) | instid1(VALU_DEP_1)
	v_sub_co_ci_u32_e64 v52, s0, v52, v57, vcc_lo
	v_add_co_u32 v53, s0, v26, 2
	v_add_co_ci_u32_e64 v54, s0, 0, v27, s0
	v_sub_co_u32 v55, s0, v24, v56
	v_sub_co_ci_u32_e32 v25, vcc_lo, s23, v25, vcc_lo
	v_subrev_co_ci_u32_e64 v52, s0, 0, v52, s0
	s_delay_alu instid0(VALU_DEP_3) | instskip(NEXT) | instid1(VALU_DEP_3)
	v_cmp_ge_u32_e32 vcc_lo, v55, v56
	v_cmp_eq_u32_e64 s0, v25, v57
	v_cndmask_b32_e64 v55, 0, -1, vcc_lo
	s_delay_alu instid0(VALU_DEP_4)
	v_cmp_ge_u32_e32 vcc_lo, v52, v57
	v_cndmask_b32_e64 v58, 0, -1, vcc_lo
	v_cmp_ge_u32_e32 vcc_lo, v24, v56
	v_cndmask_b32_e64 v24, 0, -1, vcc_lo
	;; [unrolled: 2-line block ×3, first 2 shown]
	v_cmp_eq_u32_e32 vcc_lo, v52, v57
	s_delay_alu instid0(VALU_DEP_2) | instskip(SKIP_3) | instid1(VALU_DEP_3)
	v_cndmask_b32_e64 v24, v56, v24, s0
	v_cndmask_b32_e32 v52, v58, v55, vcc_lo
	v_add_co_u32 v55, vcc_lo, v26, 1
	v_add_co_ci_u32_e32 v58, vcc_lo, 0, v27, vcc_lo
	v_cmp_ne_u32_e32 vcc_lo, 0, v52
	s_delay_alu instid0(VALU_DEP_2) | instskip(SKIP_1) | instid1(VALU_DEP_2)
	v_dual_cndmask_b32 v25, v58, v54 :: v_dual_cndmask_b32 v52, v55, v53
	v_cmp_ne_u32_e32 vcc_lo, 0, v24
	v_dual_cndmask_b32 v24, v27, v25 :: v_dual_cndmask_b32 v25, v26, v52
	s_delay_alu instid0(VALU_DEP_1) | instskip(NEXT) | instid1(VALU_DEP_2)
	v_xor_b32_e32 v26, v24, v3
	v_xor_b32_e32 v25, v25, v3
	s_delay_alu instid0(VALU_DEP_1) | instskip(NEXT) | instid1(VALU_DEP_3)
	v_sub_co_u32 v24, vcc_lo, v25, v3
	v_sub_co_ci_u32_e32 v25, vcc_lo, v26, v3, vcc_lo
                                        ; implicit-def: $vgpr26_vgpr27
.LBB58_39:                              ;   in Loop: Header=BB58_25 Depth=1
	s_and_not1_saveexec_b32 s0, s3
	s_cbranch_execz .LBB58_41
; %bb.40:                               ;   in Loop: Header=BB58_25 Depth=1
	v_cvt_f32_u32_e32 v3, v26
	v_sub_nc_u32_e32 v24, 0, v26
	s_delay_alu instid0(VALU_DEP_2) | instskip(SKIP_2) | instid1(VALU_DEP_1)
	v_rcp_iflag_f32_e32 v3, v3
	s_waitcnt_depctr 0xfff
	v_mul_f32_e32 v3, 0x4f7ffffe, v3
	v_cvt_u32_f32_e32 v3, v3
	s_delay_alu instid0(VALU_DEP_1) | instskip(NEXT) | instid1(VALU_DEP_1)
	v_mul_lo_u32 v24, v24, v3
	v_mul_hi_u32 v24, v3, v24
	s_delay_alu instid0(VALU_DEP_1) | instskip(NEXT) | instid1(VALU_DEP_1)
	v_add_nc_u32_e32 v3, v3, v24
	v_mul_hi_u32 v3, s10, v3
	s_delay_alu instid0(VALU_DEP_1) | instskip(SKIP_1) | instid1(VALU_DEP_2)
	v_mul_lo_u32 v24, v3, v26
	v_add_nc_u32_e32 v25, 1, v3
	v_sub_nc_u32_e32 v24, s10, v24
	s_delay_alu instid0(VALU_DEP_1) | instskip(SKIP_1) | instid1(VALU_DEP_2)
	v_sub_nc_u32_e32 v27, v24, v26
	v_cmp_ge_u32_e32 vcc_lo, v24, v26
	v_dual_cndmask_b32 v24, v24, v27 :: v_dual_cndmask_b32 v3, v3, v25
	s_delay_alu instid0(VALU_DEP_1) | instskip(NEXT) | instid1(VALU_DEP_2)
	v_cmp_ge_u32_e32 vcc_lo, v24, v26
	v_add_nc_u32_e32 v25, 1, v3
	s_delay_alu instid0(VALU_DEP_1)
	v_dual_cndmask_b32 v24, v3, v25 :: v_dual_mov_b32 v25, v2
.LBB58_41:                              ;   in Loop: Header=BB58_25 Depth=1
	s_or_b32 exec_lo, exec_lo, s0
	v_or_b32_e32 v3, s11, v23
                                        ; implicit-def: $vgpr26_vgpr27
	s_mov_b32 s0, exec_lo
	s_delay_alu instid0(VALU_DEP_1)
	v_cmpx_ne_u64_e32 0, v[2:3]
	s_xor_b32 s3, exec_lo, s0
	s_cbranch_execnz .LBB58_47
; %bb.42:                               ;   in Loop: Header=BB58_25 Depth=1
	s_and_not1_saveexec_b32 s0, s3
	s_cbranch_execnz .LBB58_48
.LBB58_43:                              ;   in Loop: Header=BB58_25 Depth=1
	s_or_b32 exec_lo, exec_lo, s0
	s_delay_alu instid0(SALU_CYCLE_1)
	s_mov_b32 s3, exec_lo
	v_cmpx_gt_u64_e64 s[12:13], v[0:1]
	s_cbranch_execnz .LBB58_49
.LBB58_44:                              ;   in Loop: Header=BB58_25 Depth=1
	s_or_b32 exec_lo, exec_lo, s3
	s_delay_alu instid0(SALU_CYCLE_1)
	s_mov_b32 s0, exec_lo
	v_cmpx_gt_u64_e64 s[12:13], v[6:7]
	s_cbranch_execnz .LBB58_54
.LBB58_45:                              ;   in Loop: Header=BB58_25 Depth=1
	s_or_b32 exec_lo, exec_lo, s0
	s_delay_alu instid0(SALU_CYCLE_1)
	s_mov_b32 s0, exec_lo
	v_cmpx_gt_u64_e64 s[12:13], v[10:11]
	s_cbranch_execnz .LBB58_55
.LBB58_46:                              ;   in Loop: Header=BB58_25 Depth=1
	s_or_b32 exec_lo, exec_lo, s0
	s_delay_alu instid0(SALU_CYCLE_1)
	s_mov_b32 s0, exec_lo
	v_cmpx_gt_u64_e64 s[12:13], v[14:15]
	s_cbranch_execz .LBB58_24
	s_branch .LBB58_56
.LBB58_47:                              ;   in Loop: Header=BB58_25 Depth=1
	v_ashrrev_i32_e32 v3, 31, v23
	s_add_u32 s22, s10, s14
	s_mov_b32 s15, s14
	s_addc_u32 s23, s11, s14
	s_delay_alu instid0(SALU_CYCLE_1) | instskip(SKIP_2) | instid1(VALU_DEP_2)
	s_xor_b64 s[22:23], s[22:23], s[14:15]
	v_add_co_u32 v22, vcc_lo, v22, v3
	v_add_co_ci_u32_e32 v23, vcc_lo, v23, v3, vcc_lo
	v_xor_b32_e32 v54, v22, v3
	s_delay_alu instid0(VALU_DEP_2) | instskip(SKIP_1) | instid1(VALU_DEP_3)
	v_xor_b32_e32 v55, v23, v3
	v_xor_b32_e32 v3, s14, v3
	v_cvt_f32_u32_e32 v22, v54
	v_sub_co_u32 v56, vcc_lo, 0, v54
	s_delay_alu instid0(VALU_DEP_4) | instskip(SKIP_1) | instid1(VALU_DEP_2)
	v_cvt_f32_u32_e32 v23, v55
	v_sub_co_ci_u32_e32 v57, vcc_lo, 0, v55, vcc_lo
	v_fmac_f32_e32 v22, 0x4f800000, v23
	s_delay_alu instid0(VALU_DEP_1) | instskip(SKIP_2) | instid1(VALU_DEP_1)
	v_rcp_f32_e32 v22, v22
	s_waitcnt_depctr 0xfff
	v_mul_f32_e32 v22, 0x5f7ffffc, v22
	v_mul_f32_e32 v23, 0x2f800000, v22
	s_delay_alu instid0(VALU_DEP_1) | instskip(NEXT) | instid1(VALU_DEP_1)
	v_trunc_f32_e32 v23, v23
	v_fmac_f32_e32 v22, 0xcf800000, v23
	v_cvt_u32_f32_e32 v58, v23
	s_delay_alu instid0(VALU_DEP_2) | instskip(NEXT) | instid1(VALU_DEP_2)
	v_cvt_u32_f32_e32 v59, v22
	v_mul_lo_u32 v26, v56, v58
	s_delay_alu instid0(VALU_DEP_2) | instskip(SKIP_1) | instid1(VALU_DEP_1)
	v_mul_lo_u32 v27, v57, v59
	v_mad_u64_u32 v[22:23], null, v56, v59, 0
	v_add3_u32 v60, v23, v26, v27
	s_delay_alu instid0(VALU_DEP_2) | instskip(SKIP_1) | instid1(VALU_DEP_3)
	v_mul_hi_u32 v61, v59, v22
	v_mad_u64_u32 v[52:53], null, v58, v22, 0
	v_mad_u64_u32 v[26:27], null, v59, v60, 0
	;; [unrolled: 1-line block ×3, first 2 shown]
	s_delay_alu instid0(VALU_DEP_2) | instskip(NEXT) | instid1(VALU_DEP_3)
	v_add_co_u32 v26, vcc_lo, v61, v26
	v_add_co_ci_u32_e32 v27, vcc_lo, 0, v27, vcc_lo
	s_delay_alu instid0(VALU_DEP_2) | instskip(NEXT) | instid1(VALU_DEP_2)
	v_add_co_u32 v26, vcc_lo, v26, v52
	v_add_co_ci_u32_e32 v26, vcc_lo, v27, v53, vcc_lo
	v_add_co_ci_u32_e32 v23, vcc_lo, 0, v23, vcc_lo
	s_delay_alu instid0(VALU_DEP_2) | instskip(NEXT) | instid1(VALU_DEP_2)
	v_add_co_u32 v22, vcc_lo, v26, v22
	v_add_co_ci_u32_e32 v23, vcc_lo, 0, v23, vcc_lo
	s_delay_alu instid0(VALU_DEP_2) | instskip(NEXT) | instid1(VALU_DEP_2)
	v_add_co_u32 v59, vcc_lo, v59, v22
	v_add_co_ci_u32_e32 v58, vcc_lo, v58, v23, vcc_lo
	s_delay_alu instid0(VALU_DEP_2) | instskip(SKIP_1) | instid1(VALU_DEP_3)
	v_mul_lo_u32 v26, v57, v59
	v_mad_u64_u32 v[22:23], null, v56, v59, 0
	v_mul_lo_u32 v27, v56, v58
	s_delay_alu instid0(VALU_DEP_2) | instskip(SKIP_1) | instid1(VALU_DEP_3)
	v_mul_hi_u32 v57, v59, v22
	v_mad_u64_u32 v[52:53], null, v58, v22, 0
	v_add3_u32 v56, v23, v27, v26
	s_delay_alu instid0(VALU_DEP_1) | instskip(SKIP_1) | instid1(VALU_DEP_2)
	v_mad_u64_u32 v[26:27], null, v59, v56, 0
	v_mad_u64_u32 v[22:23], null, v58, v56, 0
	v_add_co_u32 v26, vcc_lo, v57, v26
	s_delay_alu instid0(VALU_DEP_3) | instskip(NEXT) | instid1(VALU_DEP_2)
	v_add_co_ci_u32_e32 v27, vcc_lo, 0, v27, vcc_lo
	v_add_co_u32 v26, vcc_lo, v26, v52
	s_delay_alu instid0(VALU_DEP_2) | instskip(SKIP_1) | instid1(VALU_DEP_2)
	v_add_co_ci_u32_e32 v26, vcc_lo, v27, v53, vcc_lo
	v_add_co_ci_u32_e32 v23, vcc_lo, 0, v23, vcc_lo
	v_add_co_u32 v22, vcc_lo, v26, v22
	s_delay_alu instid0(VALU_DEP_2) | instskip(NEXT) | instid1(VALU_DEP_2)
	v_add_co_ci_u32_e32 v23, vcc_lo, 0, v23, vcc_lo
	v_add_co_u32 v52, vcc_lo, v59, v22
	s_delay_alu instid0(VALU_DEP_2) | instskip(NEXT) | instid1(VALU_DEP_2)
	v_add_co_ci_u32_e32 v56, vcc_lo, v58, v23, vcc_lo
	v_mul_hi_u32 v57, s22, v52
	v_mad_u64_u32 v[26:27], null, s23, v52, 0
	s_delay_alu instid0(VALU_DEP_3) | instskip(SKIP_1) | instid1(VALU_DEP_2)
	v_mad_u64_u32 v[22:23], null, s22, v56, 0
	v_mad_u64_u32 v[52:53], null, s23, v56, 0
	v_add_co_u32 v22, vcc_lo, v57, v22
	s_delay_alu instid0(VALU_DEP_3) | instskip(NEXT) | instid1(VALU_DEP_2)
	v_add_co_ci_u32_e32 v23, vcc_lo, 0, v23, vcc_lo
	v_add_co_u32 v22, vcc_lo, v22, v26
	s_delay_alu instid0(VALU_DEP_2) | instskip(SKIP_1) | instid1(VALU_DEP_2)
	v_add_co_ci_u32_e32 v22, vcc_lo, v23, v27, vcc_lo
	v_add_co_ci_u32_e32 v23, vcc_lo, 0, v53, vcc_lo
	v_add_co_u32 v26, vcc_lo, v22, v52
	s_delay_alu instid0(VALU_DEP_2) | instskip(NEXT) | instid1(VALU_DEP_2)
	v_add_co_ci_u32_e32 v27, vcc_lo, 0, v23, vcc_lo
	v_mul_lo_u32 v52, v55, v26
	v_mad_u64_u32 v[22:23], null, v54, v26, 0
	s_delay_alu instid0(VALU_DEP_3) | instskip(NEXT) | instid1(VALU_DEP_2)
	v_mul_lo_u32 v53, v54, v27
	v_sub_co_u32 v22, vcc_lo, s22, v22
	s_delay_alu instid0(VALU_DEP_2) | instskip(NEXT) | instid1(VALU_DEP_1)
	v_add3_u32 v23, v23, v53, v52
	v_sub_nc_u32_e32 v52, s23, v23
	s_delay_alu instid0(VALU_DEP_1) | instskip(SKIP_1) | instid1(VALU_DEP_1)
	v_sub_co_ci_u32_e64 v52, s0, v52, v55, vcc_lo
	v_add_co_u32 v53, s0, v26, 2
	v_add_co_ci_u32_e64 v56, s0, 0, v27, s0
	v_sub_co_u32 v57, s0, v22, v54
	v_sub_co_ci_u32_e32 v23, vcc_lo, s23, v23, vcc_lo
	v_subrev_co_ci_u32_e64 v52, s0, 0, v52, s0
	s_delay_alu instid0(VALU_DEP_3) | instskip(NEXT) | instid1(VALU_DEP_3)
	v_cmp_ge_u32_e32 vcc_lo, v57, v54
	v_cmp_eq_u32_e64 s0, v23, v55
	v_cndmask_b32_e64 v57, 0, -1, vcc_lo
	s_delay_alu instid0(VALU_DEP_4)
	v_cmp_ge_u32_e32 vcc_lo, v52, v55
	v_cndmask_b32_e64 v58, 0, -1, vcc_lo
	v_cmp_ge_u32_e32 vcc_lo, v22, v54
	v_cndmask_b32_e64 v22, 0, -1, vcc_lo
	v_cmp_ge_u32_e32 vcc_lo, v23, v55
	v_cndmask_b32_e64 v54, 0, -1, vcc_lo
	v_cmp_eq_u32_e32 vcc_lo, v52, v55
	s_delay_alu instid0(VALU_DEP_2) | instskip(SKIP_3) | instid1(VALU_DEP_3)
	v_cndmask_b32_e64 v22, v54, v22, s0
	v_cndmask_b32_e32 v52, v58, v57, vcc_lo
	v_add_co_u32 v57, vcc_lo, v26, 1
	v_add_co_ci_u32_e32 v58, vcc_lo, 0, v27, vcc_lo
	v_cmp_ne_u32_e32 vcc_lo, 0, v52
	s_delay_alu instid0(VALU_DEP_2) | instskip(SKIP_1) | instid1(VALU_DEP_2)
	v_dual_cndmask_b32 v23, v58, v56 :: v_dual_cndmask_b32 v52, v57, v53
	v_cmp_ne_u32_e32 vcc_lo, 0, v22
	v_dual_cndmask_b32 v22, v27, v23 :: v_dual_cndmask_b32 v23, v26, v52
	s_delay_alu instid0(VALU_DEP_1) | instskip(NEXT) | instid1(VALU_DEP_2)
	v_xor_b32_e32 v22, v22, v3
	v_xor_b32_e32 v23, v23, v3
	s_delay_alu instid0(VALU_DEP_1) | instskip(NEXT) | instid1(VALU_DEP_3)
	v_sub_co_u32 v26, vcc_lo, v23, v3
	v_sub_co_ci_u32_e32 v27, vcc_lo, v22, v3, vcc_lo
                                        ; implicit-def: $vgpr22_vgpr23
	s_and_not1_saveexec_b32 s0, s3
	s_cbranch_execz .LBB58_43
.LBB58_48:                              ;   in Loop: Header=BB58_25 Depth=1
	v_cvt_f32_u32_e32 v3, v22
	v_sub_nc_u32_e32 v23, 0, v22
	s_delay_alu instid0(VALU_DEP_2) | instskip(SKIP_2) | instid1(VALU_DEP_1)
	v_rcp_iflag_f32_e32 v3, v3
	s_waitcnt_depctr 0xfff
	v_mul_f32_e32 v3, 0x4f7ffffe, v3
	v_cvt_u32_f32_e32 v3, v3
	s_delay_alu instid0(VALU_DEP_1) | instskip(NEXT) | instid1(VALU_DEP_1)
	v_mul_lo_u32 v23, v23, v3
	v_mul_hi_u32 v23, v3, v23
	s_delay_alu instid0(VALU_DEP_1) | instskip(NEXT) | instid1(VALU_DEP_1)
	v_add_nc_u32_e32 v3, v3, v23
	v_mul_hi_u32 v3, s10, v3
	s_delay_alu instid0(VALU_DEP_1) | instskip(SKIP_1) | instid1(VALU_DEP_2)
	v_mul_lo_u32 v23, v3, v22
	v_add_nc_u32_e32 v26, 1, v3
	v_sub_nc_u32_e32 v23, s10, v23
	s_delay_alu instid0(VALU_DEP_1) | instskip(SKIP_1) | instid1(VALU_DEP_2)
	v_sub_nc_u32_e32 v27, v23, v22
	v_cmp_ge_u32_e32 vcc_lo, v23, v22
	v_cndmask_b32_e32 v23, v23, v27, vcc_lo
	v_mov_b32_e32 v27, v2
	v_cndmask_b32_e32 v3, v3, v26, vcc_lo
	s_delay_alu instid0(VALU_DEP_3) | instskip(NEXT) | instid1(VALU_DEP_2)
	v_cmp_ge_u32_e32 vcc_lo, v23, v22
	v_add_nc_u32_e32 v26, 1, v3
	s_delay_alu instid0(VALU_DEP_1) | instskip(SKIP_1) | instid1(SALU_CYCLE_1)
	v_cndmask_b32_e32 v26, v3, v26, vcc_lo
	s_or_b32 exec_lo, exec_lo, s0
	s_mov_b32 s3, exec_lo
	v_cmpx_gt_u64_e64 s[12:13], v[0:1]
	s_cbranch_execz .LBB58_44
.LBB58_49:                              ;   in Loop: Header=BB58_25 Depth=1
	v_or_b32_e32 v3, s11, v19
                                        ; implicit-def: $vgpr22_vgpr23
	s_mov_b32 s0, exec_lo
	s_delay_alu instid0(VALU_DEP_1)
	v_cmpx_ne_u64_e32 0, v[2:3]
	s_xor_b32 s19, exec_lo, s0
	s_cbranch_execz .LBB58_51
; %bb.50:                               ;   in Loop: Header=BB58_25 Depth=1
	v_ashrrev_i32_e32 v3, 31, v19
	s_add_u32 s22, s10, s14
	s_mov_b32 s15, s14
	s_addc_u32 s23, s11, s14
	s_delay_alu instid0(SALU_CYCLE_1) | instskip(SKIP_2) | instid1(VALU_DEP_2)
	s_xor_b64 s[22:23], s[22:23], s[14:15]
	v_add_co_u32 v18, vcc_lo, v18, v3
	v_add_co_ci_u32_e32 v19, vcc_lo, v19, v3, vcc_lo
	v_xor_b32_e32 v54, v18, v3
	s_delay_alu instid0(VALU_DEP_2) | instskip(SKIP_1) | instid1(VALU_DEP_3)
	v_xor_b32_e32 v55, v19, v3
	v_xor_b32_e32 v3, s14, v3
	v_cvt_f32_u32_e32 v18, v54
	v_sub_co_u32 v56, vcc_lo, 0, v54
	s_delay_alu instid0(VALU_DEP_4) | instskip(SKIP_1) | instid1(VALU_DEP_2)
	v_cvt_f32_u32_e32 v19, v55
	v_sub_co_ci_u32_e32 v57, vcc_lo, 0, v55, vcc_lo
	v_fmac_f32_e32 v18, 0x4f800000, v19
	s_delay_alu instid0(VALU_DEP_1) | instskip(SKIP_2) | instid1(VALU_DEP_1)
	v_rcp_f32_e32 v18, v18
	s_waitcnt_depctr 0xfff
	v_mul_f32_e32 v18, 0x5f7ffffc, v18
	v_mul_f32_e32 v19, 0x2f800000, v18
	s_delay_alu instid0(VALU_DEP_1) | instskip(NEXT) | instid1(VALU_DEP_1)
	v_trunc_f32_e32 v19, v19
	v_fmac_f32_e32 v18, 0xcf800000, v19
	v_cvt_u32_f32_e32 v58, v19
	s_delay_alu instid0(VALU_DEP_2) | instskip(NEXT) | instid1(VALU_DEP_2)
	v_cvt_u32_f32_e32 v59, v18
	v_mul_lo_u32 v22, v56, v58
	s_delay_alu instid0(VALU_DEP_2) | instskip(SKIP_1) | instid1(VALU_DEP_1)
	v_mul_lo_u32 v23, v57, v59
	v_mad_u64_u32 v[18:19], null, v56, v59, 0
	v_add3_u32 v60, v19, v22, v23
	s_delay_alu instid0(VALU_DEP_2) | instskip(SKIP_1) | instid1(VALU_DEP_3)
	v_mul_hi_u32 v61, v59, v18
	v_mad_u64_u32 v[52:53], null, v58, v18, 0
	v_mad_u64_u32 v[22:23], null, v59, v60, 0
	;; [unrolled: 1-line block ×3, first 2 shown]
	s_delay_alu instid0(VALU_DEP_2) | instskip(NEXT) | instid1(VALU_DEP_3)
	v_add_co_u32 v22, vcc_lo, v61, v22
	v_add_co_ci_u32_e32 v23, vcc_lo, 0, v23, vcc_lo
	s_delay_alu instid0(VALU_DEP_2) | instskip(NEXT) | instid1(VALU_DEP_2)
	v_add_co_u32 v22, vcc_lo, v22, v52
	v_add_co_ci_u32_e32 v22, vcc_lo, v23, v53, vcc_lo
	v_add_co_ci_u32_e32 v19, vcc_lo, 0, v19, vcc_lo
	s_delay_alu instid0(VALU_DEP_2) | instskip(NEXT) | instid1(VALU_DEP_2)
	v_add_co_u32 v18, vcc_lo, v22, v18
	v_add_co_ci_u32_e32 v19, vcc_lo, 0, v19, vcc_lo
	s_delay_alu instid0(VALU_DEP_2) | instskip(NEXT) | instid1(VALU_DEP_2)
	v_add_co_u32 v59, vcc_lo, v59, v18
	v_add_co_ci_u32_e32 v58, vcc_lo, v58, v19, vcc_lo
	s_delay_alu instid0(VALU_DEP_2) | instskip(SKIP_1) | instid1(VALU_DEP_3)
	v_mul_lo_u32 v22, v57, v59
	v_mad_u64_u32 v[18:19], null, v56, v59, 0
	v_mul_lo_u32 v23, v56, v58
	s_delay_alu instid0(VALU_DEP_2) | instskip(SKIP_1) | instid1(VALU_DEP_3)
	v_mul_hi_u32 v57, v59, v18
	v_mad_u64_u32 v[52:53], null, v58, v18, 0
	v_add3_u32 v56, v19, v23, v22
	s_delay_alu instid0(VALU_DEP_1) | instskip(SKIP_1) | instid1(VALU_DEP_2)
	v_mad_u64_u32 v[22:23], null, v59, v56, 0
	v_mad_u64_u32 v[18:19], null, v58, v56, 0
	v_add_co_u32 v22, vcc_lo, v57, v22
	s_delay_alu instid0(VALU_DEP_3) | instskip(NEXT) | instid1(VALU_DEP_2)
	v_add_co_ci_u32_e32 v23, vcc_lo, 0, v23, vcc_lo
	v_add_co_u32 v22, vcc_lo, v22, v52
	s_delay_alu instid0(VALU_DEP_2) | instskip(SKIP_1) | instid1(VALU_DEP_2)
	v_add_co_ci_u32_e32 v22, vcc_lo, v23, v53, vcc_lo
	v_add_co_ci_u32_e32 v19, vcc_lo, 0, v19, vcc_lo
	v_add_co_u32 v18, vcc_lo, v22, v18
	s_delay_alu instid0(VALU_DEP_2) | instskip(NEXT) | instid1(VALU_DEP_2)
	v_add_co_ci_u32_e32 v19, vcc_lo, 0, v19, vcc_lo
	v_add_co_u32 v52, vcc_lo, v59, v18
	s_delay_alu instid0(VALU_DEP_2) | instskip(NEXT) | instid1(VALU_DEP_2)
	v_add_co_ci_u32_e32 v56, vcc_lo, v58, v19, vcc_lo
	v_mul_hi_u32 v57, s22, v52
	v_mad_u64_u32 v[22:23], null, s23, v52, 0
	s_delay_alu instid0(VALU_DEP_3) | instskip(SKIP_1) | instid1(VALU_DEP_2)
	v_mad_u64_u32 v[18:19], null, s22, v56, 0
	v_mad_u64_u32 v[52:53], null, s23, v56, 0
	v_add_co_u32 v18, vcc_lo, v57, v18
	s_delay_alu instid0(VALU_DEP_3) | instskip(NEXT) | instid1(VALU_DEP_2)
	v_add_co_ci_u32_e32 v19, vcc_lo, 0, v19, vcc_lo
	v_add_co_u32 v18, vcc_lo, v18, v22
	s_delay_alu instid0(VALU_DEP_2) | instskip(SKIP_1) | instid1(VALU_DEP_2)
	v_add_co_ci_u32_e32 v18, vcc_lo, v19, v23, vcc_lo
	v_add_co_ci_u32_e32 v19, vcc_lo, 0, v53, vcc_lo
	v_add_co_u32 v22, vcc_lo, v18, v52
	s_delay_alu instid0(VALU_DEP_2) | instskip(NEXT) | instid1(VALU_DEP_2)
	v_add_co_ci_u32_e32 v23, vcc_lo, 0, v19, vcc_lo
	v_mul_lo_u32 v52, v55, v22
	v_mad_u64_u32 v[18:19], null, v54, v22, 0
	s_delay_alu instid0(VALU_DEP_3) | instskip(NEXT) | instid1(VALU_DEP_2)
	v_mul_lo_u32 v53, v54, v23
	v_sub_co_u32 v18, vcc_lo, s22, v18
	s_delay_alu instid0(VALU_DEP_2) | instskip(NEXT) | instid1(VALU_DEP_1)
	v_add3_u32 v19, v19, v53, v52
	v_sub_nc_u32_e32 v52, s23, v19
	s_delay_alu instid0(VALU_DEP_1) | instskip(SKIP_1) | instid1(VALU_DEP_1)
	v_sub_co_ci_u32_e64 v52, s0, v52, v55, vcc_lo
	v_add_co_u32 v53, s0, v22, 2
	v_add_co_ci_u32_e64 v56, s0, 0, v23, s0
	v_sub_co_u32 v57, s0, v18, v54
	v_sub_co_ci_u32_e32 v19, vcc_lo, s23, v19, vcc_lo
	v_subrev_co_ci_u32_e64 v52, s0, 0, v52, s0
	s_delay_alu instid0(VALU_DEP_3) | instskip(NEXT) | instid1(VALU_DEP_3)
	v_cmp_ge_u32_e32 vcc_lo, v57, v54
	v_cmp_eq_u32_e64 s0, v19, v55
	v_cndmask_b32_e64 v57, 0, -1, vcc_lo
	s_delay_alu instid0(VALU_DEP_4)
	v_cmp_ge_u32_e32 vcc_lo, v52, v55
	v_cndmask_b32_e64 v58, 0, -1, vcc_lo
	v_cmp_ge_u32_e32 vcc_lo, v18, v54
	v_cndmask_b32_e64 v18, 0, -1, vcc_lo
	;; [unrolled: 2-line block ×3, first 2 shown]
	v_cmp_eq_u32_e32 vcc_lo, v52, v55
	s_delay_alu instid0(VALU_DEP_2) | instskip(SKIP_3) | instid1(VALU_DEP_3)
	v_cndmask_b32_e64 v18, v54, v18, s0
	v_cndmask_b32_e32 v52, v58, v57, vcc_lo
	v_add_co_u32 v57, vcc_lo, v22, 1
	v_add_co_ci_u32_e32 v58, vcc_lo, 0, v23, vcc_lo
	v_cmp_ne_u32_e32 vcc_lo, 0, v52
	s_delay_alu instid0(VALU_DEP_2) | instskip(SKIP_1) | instid1(VALU_DEP_2)
	v_dual_cndmask_b32 v19, v58, v56 :: v_dual_cndmask_b32 v52, v57, v53
	v_cmp_ne_u32_e32 vcc_lo, 0, v18
	v_dual_cndmask_b32 v18, v23, v19 :: v_dual_cndmask_b32 v19, v22, v52
	s_delay_alu instid0(VALU_DEP_1) | instskip(NEXT) | instid1(VALU_DEP_2)
	v_xor_b32_e32 v18, v18, v3
	v_xor_b32_e32 v19, v19, v3
	s_delay_alu instid0(VALU_DEP_1) | instskip(NEXT) | instid1(VALU_DEP_3)
	v_sub_co_u32 v22, vcc_lo, v19, v3
	v_sub_co_ci_u32_e32 v23, vcc_lo, v18, v3, vcc_lo
                                        ; implicit-def: $vgpr18_vgpr19
.LBB58_51:                              ;   in Loop: Header=BB58_25 Depth=1
	s_and_not1_saveexec_b32 s0, s19
	s_cbranch_execz .LBB58_53
; %bb.52:                               ;   in Loop: Header=BB58_25 Depth=1
	v_cvt_f32_u32_e32 v3, v18
	v_sub_nc_u32_e32 v19, 0, v18
	s_delay_alu instid0(VALU_DEP_2) | instskip(SKIP_2) | instid1(VALU_DEP_1)
	v_rcp_iflag_f32_e32 v3, v3
	s_waitcnt_depctr 0xfff
	v_mul_f32_e32 v3, 0x4f7ffffe, v3
	v_cvt_u32_f32_e32 v3, v3
	s_delay_alu instid0(VALU_DEP_1) | instskip(NEXT) | instid1(VALU_DEP_1)
	v_mul_lo_u32 v19, v19, v3
	v_mul_hi_u32 v19, v3, v19
	s_delay_alu instid0(VALU_DEP_1) | instskip(NEXT) | instid1(VALU_DEP_1)
	v_add_nc_u32_e32 v3, v3, v19
	v_mul_hi_u32 v3, s10, v3
	s_delay_alu instid0(VALU_DEP_1) | instskip(SKIP_1) | instid1(VALU_DEP_2)
	v_mul_lo_u32 v19, v3, v18
	v_add_nc_u32_e32 v22, 1, v3
	v_sub_nc_u32_e32 v19, s10, v19
	s_delay_alu instid0(VALU_DEP_1) | instskip(SKIP_1) | instid1(VALU_DEP_2)
	v_sub_nc_u32_e32 v23, v19, v18
	v_cmp_ge_u32_e32 vcc_lo, v19, v18
	v_cndmask_b32_e32 v19, v19, v23, vcc_lo
	v_mov_b32_e32 v23, v2
	v_cndmask_b32_e32 v3, v3, v22, vcc_lo
	s_delay_alu instid0(VALU_DEP_3) | instskip(NEXT) | instid1(VALU_DEP_2)
	v_cmp_ge_u32_e32 vcc_lo, v19, v18
	v_add_nc_u32_e32 v22, 1, v3
	s_delay_alu instid0(VALU_DEP_1)
	v_cndmask_b32_e32 v22, v3, v22, vcc_lo
.LBB58_53:                              ;   in Loop: Header=BB58_25 Depth=1
	s_or_b32 exec_lo, exec_lo, s0
	s_delay_alu instid0(VALU_DEP_1) | instskip(SKIP_4) | instid1(VALU_DEP_3)
	v_mad_u64_u32 v[18:19], null, v22, s6, v[4:5]
	v_mul_lo_u32 v5, v22, s7
	v_mul_lo_u32 v22, v23, s6
	v_add_co_u32 v3, vcc_lo, v32, s4
	v_add_co_ci_u32_e32 v4, vcc_lo, s5, v33, vcc_lo
	v_add3_u32 v19, v22, v19, v5
	global_store_b64 v[3:4], v[18:19], off
	s_or_b32 exec_lo, exec_lo, s3
	s_delay_alu instid0(SALU_CYCLE_1)
	s_mov_b32 s0, exec_lo
	v_cmpx_gt_u64_e64 s[12:13], v[6:7]
	s_cbranch_execz .LBB58_45
.LBB58_54:                              ;   in Loop: Header=BB58_25 Depth=1
	v_mad_u64_u32 v[3:4], null, v20, s6, v[8:9]
	v_mul_lo_u32 v5, v20, s7
	v_mul_lo_u32 v6, v21, s6
	s_delay_alu instid0(VALU_DEP_1) | instskip(SKIP_4) | instid1(SALU_CYCLE_1)
	v_add3_u32 v4, v6, v4, v5
	v_add_co_u32 v5, vcc_lo, v50, s4
	v_add_co_ci_u32_e32 v6, vcc_lo, s5, v51, vcc_lo
	global_store_b64 v[5:6], v[3:4], off
	s_or_b32 exec_lo, exec_lo, s0
	s_mov_b32 s0, exec_lo
	v_cmpx_gt_u64_e64 s[12:13], v[10:11]
	s_cbranch_execz .LBB58_46
.LBB58_55:                              ;   in Loop: Header=BB58_25 Depth=1
	v_mad_u64_u32 v[3:4], null, v24, s6, v[12:13]
	v_mul_lo_u32 v5, v24, s7
	v_mul_lo_u32 v6, v25, s6
	s_delay_alu instid0(VALU_DEP_1) | instskip(SKIP_4) | instid1(SALU_CYCLE_1)
	v_add3_u32 v4, v6, v4, v5
	v_add_co_u32 v5, vcc_lo, v44, s4
	v_add_co_ci_u32_e32 v6, vcc_lo, s5, v45, vcc_lo
	global_store_b64 v[5:6], v[3:4], off
	s_or_b32 exec_lo, exec_lo, s0
	s_mov_b32 s0, exec_lo
	v_cmpx_gt_u64_e64 s[12:13], v[14:15]
	s_cbranch_execz .LBB58_24
.LBB58_56:                              ;   in Loop: Header=BB58_25 Depth=1
	v_mad_u64_u32 v[3:4], null, v26, s6, v[16:17]
	v_mul_lo_u32 v5, v26, s7
	v_mul_lo_u32 v6, v27, s6
	s_delay_alu instid0(VALU_DEP_1)
	v_add3_u32 v4, v6, v4, v5
	v_add_co_u32 v5, vcc_lo, v38, s4
	v_add_co_ci_u32_e32 v6, vcc_lo, s5, v39, vcc_lo
	global_store_b64 v[5:6], v[3:4], off
	s_branch .LBB58_24
.LBB58_57:
	s_nop 0
	s_sendmsg sendmsg(MSG_DEALLOC_VGPRS)
	s_endpgm
	.section	.rodata,"a",@progbits
	.p2align	6, 0x0
	.amdhsa_kernel _ZN2at6native12_GLOBAL__N_125multi_tensor_apply_kernelINS1_18TensorListMetadataILi4EEENS1_32PointwiseOpScalar0dTensorFunctorIlLi4ELi2ELi3EEEJSt7dividesIlElEEEvT_T0_DpT1_
		.amdhsa_group_segment_fixed_size 0
		.amdhsa_private_segment_fixed_size 0
		.amdhsa_kernarg_size 3320
		.amdhsa_user_sgpr_count 15
		.amdhsa_user_sgpr_dispatch_ptr 0
		.amdhsa_user_sgpr_queue_ptr 0
		.amdhsa_user_sgpr_kernarg_segment_ptr 1
		.amdhsa_user_sgpr_dispatch_id 0
		.amdhsa_user_sgpr_private_segment_size 0
		.amdhsa_wavefront_size32 1
		.amdhsa_uses_dynamic_stack 0
		.amdhsa_enable_private_segment 0
		.amdhsa_system_sgpr_workgroup_id_x 1
		.amdhsa_system_sgpr_workgroup_id_y 0
		.amdhsa_system_sgpr_workgroup_id_z 0
		.amdhsa_system_sgpr_workgroup_info 0
		.amdhsa_system_vgpr_workitem_id 0
		.amdhsa_next_free_vgpr 63
		.amdhsa_next_free_sgpr 32
		.amdhsa_reserve_vcc 1
		.amdhsa_float_round_mode_32 0
		.amdhsa_float_round_mode_16_64 0
		.amdhsa_float_denorm_mode_32 3
		.amdhsa_float_denorm_mode_16_64 3
		.amdhsa_dx10_clamp 1
		.amdhsa_ieee_mode 1
		.amdhsa_fp16_overflow 0
		.amdhsa_workgroup_processor_mode 1
		.amdhsa_memory_ordered 1
		.amdhsa_forward_progress 0
		.amdhsa_shared_vgpr_count 0
		.amdhsa_exception_fp_ieee_invalid_op 0
		.amdhsa_exception_fp_denorm_src 0
		.amdhsa_exception_fp_ieee_div_zero 0
		.amdhsa_exception_fp_ieee_overflow 0
		.amdhsa_exception_fp_ieee_underflow 0
		.amdhsa_exception_fp_ieee_inexact 0
		.amdhsa_exception_int_div_zero 0
	.end_amdhsa_kernel
	.section	.text._ZN2at6native12_GLOBAL__N_125multi_tensor_apply_kernelINS1_18TensorListMetadataILi4EEENS1_32PointwiseOpScalar0dTensorFunctorIlLi4ELi2ELi3EEEJSt7dividesIlElEEEvT_T0_DpT1_,"axG",@progbits,_ZN2at6native12_GLOBAL__N_125multi_tensor_apply_kernelINS1_18TensorListMetadataILi4EEENS1_32PointwiseOpScalar0dTensorFunctorIlLi4ELi2ELi3EEEJSt7dividesIlElEEEvT_T0_DpT1_,comdat
.Lfunc_end58:
	.size	_ZN2at6native12_GLOBAL__N_125multi_tensor_apply_kernelINS1_18TensorListMetadataILi4EEENS1_32PointwiseOpScalar0dTensorFunctorIlLi4ELi2ELi3EEEJSt7dividesIlElEEEvT_T0_DpT1_, .Lfunc_end58-_ZN2at6native12_GLOBAL__N_125multi_tensor_apply_kernelINS1_18TensorListMetadataILi4EEENS1_32PointwiseOpScalar0dTensorFunctorIlLi4ELi2ELi3EEEJSt7dividesIlElEEEvT_T0_DpT1_
                                        ; -- End function
	.section	.AMDGPU.csdata,"",@progbits
; Kernel info:
; codeLenInByte = 9584
; NumSgprs: 34
; NumVgprs: 63
; ScratchSize: 0
; MemoryBound: 0
; FloatMode: 240
; IeeeMode: 1
; LDSByteSize: 0 bytes/workgroup (compile time only)
; SGPRBlocks: 4
; VGPRBlocks: 7
; NumSGPRsForWavesPerEU: 34
; NumVGPRsForWavesPerEU: 63
; Occupancy: 16
; WaveLimiterHint : 0
; COMPUTE_PGM_RSRC2:SCRATCH_EN: 0
; COMPUTE_PGM_RSRC2:USER_SGPR: 15
; COMPUTE_PGM_RSRC2:TRAP_HANDLER: 0
; COMPUTE_PGM_RSRC2:TGID_X_EN: 1
; COMPUTE_PGM_RSRC2:TGID_Y_EN: 0
; COMPUTE_PGM_RSRC2:TGID_Z_EN: 0
; COMPUTE_PGM_RSRC2:TIDIG_COMP_CNT: 0
	.section	.text._ZN2at6native12_GLOBAL__N_125multi_tensor_apply_kernelINS1_18TensorListMetadataILi4EEENS1_32PointwiseOpScalar0dTensorFunctorIsLi4ELi2ELi3EEEJSt7dividesIsEsEEEvT_T0_DpT1_,"axG",@progbits,_ZN2at6native12_GLOBAL__N_125multi_tensor_apply_kernelINS1_18TensorListMetadataILi4EEENS1_32PointwiseOpScalar0dTensorFunctorIsLi4ELi2ELi3EEEJSt7dividesIsEsEEEvT_T0_DpT1_,comdat
	.globl	_ZN2at6native12_GLOBAL__N_125multi_tensor_apply_kernelINS1_18TensorListMetadataILi4EEENS1_32PointwiseOpScalar0dTensorFunctorIsLi4ELi2ELi3EEEJSt7dividesIsEsEEEvT_T0_DpT1_ ; -- Begin function _ZN2at6native12_GLOBAL__N_125multi_tensor_apply_kernelINS1_18TensorListMetadataILi4EEENS1_32PointwiseOpScalar0dTensorFunctorIsLi4ELi2ELi3EEEJSt7dividesIsEsEEEvT_T0_DpT1_
	.p2align	8
	.type	_ZN2at6native12_GLOBAL__N_125multi_tensor_apply_kernelINS1_18TensorListMetadataILi4EEENS1_32PointwiseOpScalar0dTensorFunctorIsLi4ELi2ELi3EEEJSt7dividesIsEsEEEvT_T0_DpT1_,@function
_ZN2at6native12_GLOBAL__N_125multi_tensor_apply_kernelINS1_18TensorListMetadataILi4EEENS1_32PointwiseOpScalar0dTensorFunctorIsLi4ELi2ELi3EEEJSt7dividesIsEsEEEvT_T0_DpT1_: ; @_ZN2at6native12_GLOBAL__N_125multi_tensor_apply_kernelINS1_18TensorListMetadataILi4EEENS1_32PointwiseOpScalar0dTensorFunctorIsLi4ELi2ELi3EEEJSt7dividesIsEsEEEvT_T0_DpT1_
; %bb.0:
	v_dual_mov_b32 v1, s15 :: v_dual_mov_b32 v2, 0
	s_mul_i32 s5, s15, 3
	s_mul_hi_u32 s6, s15, 3
	s_load_b32 s2, s[0:1], 0xbe8
	global_load_u8 v1, v1, s[0:1] offset:1440
	s_waitcnt lgkmcnt(0)
	s_lshr_b32 s16, s2, 16
	s_add_u32 s2, s0, s15
	s_addc_u32 s3, s1, 0
	s_add_u32 s2, s2, s5
	s_addc_u32 s3, s3, s6
	s_waitcnt vmcnt(0)
	v_readfirstlane_b32 s4, v1
	s_delay_alu instid0(VALU_DEP_1)
	s_lshl_b32 s6, s4, 3
	s_clause 0x2
	s_load_b64 s[4:5], s[0:1], s6 offset:0x120
	s_load_b64 s[12:13], s[0:1], s6 offset:0x240
	;; [unrolled: 1-line block ×3, first 2 shown]
	s_waitcnt lgkmcnt(0)
	global_load_i16 v12, v2, s[4:5]
	s_clause 0x2
	s_load_b32 s2, s[2:3], 0x6e0
	s_load_b64 s[14:15], s[0:1], s6 offset:0x0
	s_load_b64 s[18:19], s[0:1], s6 offset:0x480
	s_mov_b32 s5, 0
	s_delay_alu instid0(SALU_CYCLE_1) | instskip(SKIP_2) | instid1(SALU_CYCLE_1)
	s_mov_b32 s9, s5
	s_waitcnt lgkmcnt(0)
	s_ashr_i32 s3, s2, 31
	s_lshl_b64 s[6:7], s[2:3], 17
	s_delay_alu instid0(SALU_CYCLE_1) | instskip(NEXT) | instid1(SALU_CYCLE_1)
	s_add_u32 s4, s4, s6
	s_and_b32 s8, s4, 7
	s_and_b32 s4, s14, 7
	s_cmp_lg_u64 s[8:9], 0
	s_cselect_b32 s8, -1, 0
	s_add_u32 s9, s12, s6
	s_delay_alu instid0(SALU_CYCLE_1) | instskip(NEXT) | instid1(SALU_CYCLE_1)
	s_or_b32 s9, s10, s9
	s_and_b32 s9, s9, 7
	s_delay_alu instid0(SALU_CYCLE_1)
	s_cmp_lg_u32 s9, 0
	s_cselect_b32 s9, -1, 0
	s_lshl_b64 s[2:3], s[2:3], 16
	s_or_b32 s17, s9, s8
	s_sub_u32 s8, s18, s2
	s_subb_u32 s9, s19, s3
	s_and_b32 s2, s18, 3
	s_mov_b32 s3, s5
	s_delay_alu instid0(SALU_CYCLE_1) | instskip(NEXT) | instid1(SALU_CYCLE_1)
	s_or_b64 s[2:3], s[4:5], s[2:3]
	s_cmp_lg_u64 s[2:3], 0
	s_cselect_b32 s2, -1, 0
	s_delay_alu instid0(SALU_CYCLE_1) | instskip(NEXT) | instid1(SALU_CYCLE_1)
	s_or_b32 s2, s17, s2
	s_and_not1_b32 vcc_lo, exec_lo, s2
	s_mov_b32 s2, -1
	s_cbranch_vccz .LBB59_5
; %bb.1:
	v_lshlrev_b32_e32 v1, 2, v0
	s_mov_b32 s5, exec_lo
	s_delay_alu instid0(VALU_DEP_1)
	v_cmpx_gt_i64_e64 s[8:9], v[1:2]
	s_cbranch_execz .LBB59_4
; %bb.2:
	s_load_b32 s2, s[0:1], 0xbfc
	v_dual_mov_b32 v2, 0 :: v_dual_lshlrev_b32 v1, 3, v0
	s_waitcnt vmcnt(0)
	v_cvt_f32_i32_e32 v3, v12
	s_mov_b32 s17, 0
	s_delay_alu instid0(VALU_DEP_2) | instskip(NEXT) | instid1(VALU_DEP_1)
	v_add_co_u32 v4, s3, s6, v1
	v_add_co_ci_u32_e64 v5, null, s7, 0, s3
	s_waitcnt lgkmcnt(0)
	s_and_b32 s2, s2, 0xffff
	s_delay_alu instid0(SALU_CYCLE_1)
	v_add_lshl_u32 v1, v0, s2, 2
	s_lshl_b32 s18, s2, 3
	s_lshl_b32 s19, s2, 2
.LBB59_3:                               ; =>This Inner Loop Header: Depth=1
	v_add_co_u32 v6, vcc_lo, s12, v4
	v_add_co_ci_u32_e32 v7, vcc_lo, s13, v5, vcc_lo
	v_add_co_u32 v8, vcc_lo, s14, v4
	v_add_co_ci_u32_e32 v9, vcc_lo, s15, v5, vcc_lo
	v_add_co_u32 v10, vcc_lo, s10, v4
	global_load_b64 v[6:7], v[6:7], off
	global_load_b64 v[8:9], v[8:9], off
	v_add_co_ci_u32_e32 v11, vcc_lo, s11, v5, vcc_lo
	v_cmp_le_i64_e32 vcc_lo, s[8:9], v[1:2]
	v_cmp_lt_u64_e64 s2, 0xffff, v[1:2]
	v_add_co_u32 v4, s3, v4, s18
	s_delay_alu instid0(VALU_DEP_1) | instskip(SKIP_1) | instid1(VALU_DEP_4)
	v_add_co_ci_u32_e64 v5, s3, 0, v5, s3
	v_add_co_u32 v1, s3, v1, s19
	s_or_b32 s2, vcc_lo, s2
	v_add_co_ci_u32_e64 v2, s3, 0, v2, s3
	s_and_b32 s2, exec_lo, s2
	s_delay_alu instid0(SALU_CYCLE_1)
	s_or_b32 s17, s2, s17
	s_waitcnt vmcnt(1)
	v_ashrrev_i32_e32 v15, 16, v6
	v_bfe_i32 v13, v6, 0, 16
	v_alignbit_b32 v6, v7, v6, 16
	v_ashrrev_i32_e32 v7, 16, v7
	s_waitcnt vmcnt(0)
	v_lshrrev_b32_e32 v14, 16, v8
	v_xor_b32_e32 v18, v12, v15
	v_cvt_f32_i32_e32 v15, v15
	v_xor_b32_e32 v17, v12, v13
	v_cvt_f32_i32_e32 v13, v13
	v_ashrrev_i32_e32 v6, 16, v6
	v_xor_b32_e32 v19, v12, v7
	v_rcp_iflag_f32_e32 v21, v15
	v_ashrrev_i32_e32 v17, 30, v17
	v_rcp_iflag_f32_e32 v20, v13
	v_xor_b32_e32 v22, v12, v6
	v_cvt_f32_i32_e32 v6, v6
	v_cvt_f32_i32_e32 v7, v7
	v_or_b32_e32 v17, 1, v17
	v_ashrrev_i32_e32 v18, 30, v18
	v_ashrrev_i32_e32 v19, 30, v19
	v_rcp_iflag_f32_e32 v24, v6
	v_mul_f32_e32 v21, v3, v21
	v_rcp_iflag_f32_e32 v23, v7
	v_or_b32_e32 v18, 1, v18
	v_ashrrev_i32_e32 v22, 30, v22
	v_or_b32_e32 v19, 1, v19
	v_trunc_f32_e32 v21, v21
	v_lshrrev_b32_e32 v16, 16, v9
	s_delay_alu instid0(VALU_DEP_4) | instskip(NEXT) | instid1(VALU_DEP_3)
	v_or_b32_e32 v22, 1, v22
	v_fma_f32 v26, -v21, v15, v3
	v_cvt_i32_f32_e32 v21, v21
	v_mul_f32_e32 v20, v3, v20
	s_delay_alu instid0(VALU_DEP_1) | instskip(NEXT) | instid1(VALU_DEP_1)
	v_trunc_f32_e32 v20, v20
	v_fma_f32 v25, -v20, v13, v3
	v_cvt_i32_f32_e32 v20, v20
	s_delay_alu instid0(VALU_DEP_2) | instskip(NEXT) | instid1(VALU_DEP_1)
	v_cmp_ge_f32_e64 s4, |v25|, |v13|
	v_cndmask_b32_e64 v13, 0, v17, s4
	v_mul_f32_e32 v24, v3, v24
	v_cmp_ge_f32_e64 s4, |v26|, |v15|
	s_delay_alu instid0(VALU_DEP_3) | instskip(NEXT) | instid1(VALU_DEP_3)
	v_add_nc_u32_e32 v13, v20, v13
	v_trunc_f32_e32 v24, v24
	s_delay_alu instid0(VALU_DEP_3) | instskip(NEXT) | instid1(VALU_DEP_3)
	v_cndmask_b32_e64 v15, 0, v18, s4
	v_mad_u16 v8, v13, s16, v8
	v_mul_f32_e32 v23, v3, v23
	s_delay_alu instid0(VALU_DEP_4) | instskip(SKIP_4) | instid1(VALU_DEP_3)
	v_fma_f32 v17, -v24, v6, v3
	v_cvt_i32_f32_e32 v18, v24
	v_add_nc_u32_e32 v15, v21, v15
	v_and_b32_e32 v8, 0xffff, v8
	v_trunc_f32_e32 v23, v23
	v_mad_u16 v13, v15, s16, v14
	s_delay_alu instid0(VALU_DEP_2) | instskip(SKIP_1) | instid1(VALU_DEP_2)
	v_fma_f32 v27, -v23, v7, v3
	v_cvt_i32_f32_e32 v23, v23
	v_cmp_ge_f32_e64 s4, |v27|, |v7|
	s_delay_alu instid0(VALU_DEP_1) | instskip(SKIP_1) | instid1(VALU_DEP_2)
	v_cndmask_b32_e64 v7, 0, v19, s4
	v_cmp_ge_f32_e64 s4, |v17|, |v6|
	v_add_nc_u32_e32 v7, v23, v7
	s_delay_alu instid0(VALU_DEP_2) | instskip(NEXT) | instid1(VALU_DEP_2)
	v_cndmask_b32_e64 v6, 0, v22, s4
	v_mad_u16 v7, v7, s16, v16
	s_delay_alu instid0(VALU_DEP_2) | instskip(NEXT) | instid1(VALU_DEP_2)
	v_add_nc_u32_e32 v6, v18, v6
	v_lshlrev_b32_e32 v7, 16, v7
	s_delay_alu instid0(VALU_DEP_2) | instskip(SKIP_1) | instid1(VALU_DEP_2)
	v_mad_u16 v6, v6, s16, v9
	v_lshlrev_b32_e32 v9, 16, v13
	v_and_b32_e32 v6, 0xffff, v6
	s_delay_alu instid0(VALU_DEP_2) | instskip(NEXT) | instid1(VALU_DEP_2)
	v_or_b32_e32 v8, v9, v8
	v_or3_b32 v7, 0, v6, v7
	s_delay_alu instid0(VALU_DEP_2)
	v_or3_b32 v6, v8, 0, 0
	global_store_b64 v[10:11], v[6:7], off
	s_and_not1_b32 exec_lo, exec_lo, s17
	s_cbranch_execnz .LBB59_3
.LBB59_4:
	s_or_b32 exec_lo, exec_lo, s5
	s_mov_b32 s2, 0
.LBB59_5:
	s_delay_alu instid0(SALU_CYCLE_1)
	s_and_not1_b32 vcc_lo, exec_lo, s2
	s_cbranch_vccnz .LBB59_25
; %bb.6:
	v_cmp_lt_i64_e64 s2, s[8:9], 1
	s_delay_alu instid0(VALU_DEP_1)
	s_and_b32 vcc_lo, exec_lo, s2
	s_cbranch_vccnz .LBB59_25
; %bb.7:
	s_load_b32 s0, s[0:1], 0xbfc
	v_dual_mov_b32 v1, 0 :: v_dual_lshlrev_b32 v2, 1, v0
	v_cmp_gt_u64_e64 s2, 0x10000, s[8:9]
	s_waitcnt vmcnt(0)
	v_cvt_f32_i32_e32 v13, v12
	s_mov_b32 s3, 0
	v_mov_b32_e32 v3, v1
	v_add_co_u32 v14, s1, s14, v2
	s_delay_alu instid0(VALU_DEP_1) | instskip(SKIP_1) | instid1(VALU_DEP_1)
	v_add_co_ci_u32_e64 v15, null, s15, 0, s1
	v_add_co_u32 v16, s1, s12, v2
	v_add_co_ci_u32_e64 v17, null, s13, 0, s1
	s_waitcnt lgkmcnt(0)
	s_and_b32 s1, s0, 0xffff
	v_add_co_u32 v18, s0, s10, v2
	v_mad_u64_u32 v[4:5], null, s1, 6, v[2:3]
	v_add_co_ci_u32_e64 v19, null, s11, 0, s0
	s_and_b32 s0, s2, exec_lo
	s_cselect_b32 s5, s9, 0
	s_cselect_b32 s4, s8, 0x10000
	s_lshl_b32 s2, s1, 2
	s_delay_alu instid0(VALU_DEP_2) | instskip(NEXT) | instid1(VALU_DEP_3)
	v_add_co_u32 v20, vcc_lo, s14, v4
	v_add_co_ci_u32_e32 v21, vcc_lo, s15, v5, vcc_lo
	v_add_co_u32 v22, vcc_lo, s12, v4
	v_add_co_u32 v2, s0, s2, v2
	v_add_co_ci_u32_e32 v23, vcc_lo, s13, v5, vcc_lo
	v_add_co_ci_u32_e64 v3, null, 0, 0, s0
	v_add_co_u32 v24, vcc_lo, s10, v4
	v_add_lshl_u32 v4, v0, s1, 1
	v_add_co_ci_u32_e32 v25, vcc_lo, s11, v5, vcc_lo
	v_add_co_u32 v26, vcc_lo, s14, v2
	v_add_co_ci_u32_e32 v27, vcc_lo, s15, v3, vcc_lo
	s_delay_alu instid0(VALU_DEP_4)
	v_add_co_u32 v32, s0, s14, v4
	v_add_co_u32 v28, vcc_lo, s12, v2
	v_add_co_ci_u32_e64 v33, null, s15, 0, s0
	v_add_co_u32 v34, s0, s12, v4
	v_add_co_ci_u32_e32 v29, vcc_lo, s13, v3, vcc_lo
	v_add_co_u32 v30, vcc_lo, s10, v2
	v_add_co_ci_u32_e64 v35, null, s13, 0, s0
	v_add_co_u32 v36, s0, s10, v4
	v_add_co_ci_u32_e32 v31, vcc_lo, s11, v3, vcc_lo
	v_add_co_ci_u32_e64 v37, null, s11, 0, s0
	s_lshl_b32 s17, s1, 1
	s_mul_i32 s12, s1, 3
	s_lshl_b32 s13, s1, 3
	s_mov_b64 s[10:11], s[2:3]
	s_branch .LBB59_9
.LBB59_8:                               ;   in Loop: Header=BB59_9 Depth=1
	s_or_b32 exec_lo, exec_lo, s0
	v_add_co_u32 v14, vcc_lo, v14, s13
	v_add_co_ci_u32_e32 v15, vcc_lo, 0, v15, vcc_lo
	v_add_co_u32 v16, vcc_lo, v16, s13
	v_add_co_ci_u32_e32 v17, vcc_lo, 0, v17, vcc_lo
	;; [unrolled: 2-line block ×11, first 2 shown]
	v_cmp_ge_i64_e64 s0, s[10:11], s[8:9]
	v_cmp_lt_u64_e64 s14, 0xffff, s[10:11]
	v_add_co_u32 v34, vcc_lo, v34, s13
	v_add_co_ci_u32_e32 v35, vcc_lo, 0, v35, vcc_lo
	v_add_co_u32 v36, vcc_lo, v36, s13
	v_add_co_ci_u32_e32 v37, vcc_lo, 0, v37, vcc_lo
	s_or_b32 s0, s0, s14
	s_add_u32 s10, s10, s2
	s_addc_u32 s11, s11, 0
	s_and_b32 vcc_lo, exec_lo, s0
	s_cbranch_vccnz .LBB59_25
.LBB59_9:                               ; =>This Inner Loop Header: Depth=1
	v_mov_b32_e32 v4, 0
	v_mov_b32_e32 v5, 0
	v_cmp_gt_i64_e32 vcc_lo, s[8:9], v[0:1]
	v_cmp_gt_u64_e64 s0, 0x10000, v[0:1]
	s_delay_alu instid0(VALU_DEP_3) | instskip(NEXT) | instid1(VALU_DEP_2)
	v_dual_mov_b32 v2, v4 :: v_dual_mov_b32 v3, v5
	s_and_b32 s14, vcc_lo, s0
	s_delay_alu instid0(SALU_CYCLE_1)
	s_and_saveexec_b32 s0, s14
	s_cbranch_execz .LBB59_11
; %bb.10:                               ;   in Loop: Header=BB59_9 Depth=1
	v_add_co_u32 v2, vcc_lo, v14, s6
	v_add_co_ci_u32_e32 v3, vcc_lo, s7, v15, vcc_lo
	v_add_co_u32 v4, vcc_lo, v16, s6
	v_add_co_ci_u32_e32 v5, vcc_lo, s7, v17, vcc_lo
	global_load_u16 v2, v[2:3], off
	global_load_u16 v4, v[4:5], off
	v_mov_b32_e32 v3, s3
	s_waitcnt vmcnt(1)
	v_dual_mov_b32 v5, s3 :: v_dual_and_b32 v2, 0xffff, v2
	s_waitcnt vmcnt(0)
	v_and_b32_e32 v4, 0xffff, v4
.LBB59_11:                              ;   in Loop: Header=BB59_9 Depth=1
	s_or_b32 exec_lo, exec_lo, s0
	v_add_co_u32 v6, vcc_lo, s1, v0
	v_add_co_ci_u32_e32 v7, vcc_lo, 0, v1, vcc_lo
	s_delay_alu instid0(VALU_DEP_1) | instskip(SKIP_1) | instid1(VALU_DEP_1)
	v_cmp_gt_i64_e32 vcc_lo, s[8:9], v[6:7]
	v_cmp_gt_u64_e64 s0, 0x10000, v[6:7]
	s_and_b32 s14, vcc_lo, s0
	s_delay_alu instid0(SALU_CYCLE_1)
	s_and_saveexec_b32 s0, s14
	s_cbranch_execz .LBB59_13
; %bb.12:                               ;   in Loop: Header=BB59_9 Depth=1
	v_add_co_u32 v8, vcc_lo, v32, s6
	v_add_co_ci_u32_e32 v9, vcc_lo, s7, v33, vcc_lo
	v_add_co_u32 v10, vcc_lo, v34, s6
	v_add_co_ci_u32_e32 v11, vcc_lo, s7, v35, vcc_lo
	global_load_u16 v8, v[8:9], off
	global_load_u16 v9, v[10:11], off
	s_waitcnt vmcnt(1)
	v_lshl_or_b32 v2, v8, 16, v2
	s_waitcnt vmcnt(0)
	v_lshl_or_b32 v4, v9, 16, v4
.LBB59_13:                              ;   in Loop: Header=BB59_9 Depth=1
	s_or_b32 exec_lo, exec_lo, s0
	v_add_co_u32 v8, vcc_lo, s17, v0
	v_add_co_ci_u32_e32 v9, vcc_lo, 0, v1, vcc_lo
	s_delay_alu instid0(VALU_DEP_1) | instskip(SKIP_1) | instid1(VALU_DEP_1)
	v_cmp_gt_i64_e32 vcc_lo, s[8:9], v[8:9]
	v_cmp_gt_u64_e64 s0, 0x10000, v[8:9]
	s_and_b32 s14, vcc_lo, s0
	s_delay_alu instid0(SALU_CYCLE_1)
	s_and_saveexec_b32 s0, s14
	s_cbranch_execz .LBB59_15
; %bb.14:                               ;   in Loop: Header=BB59_9 Depth=1
	v_add_co_u32 v10, vcc_lo, v26, s6
	v_add_co_ci_u32_e32 v11, vcc_lo, s7, v27, vcc_lo
	v_add_co_u32 v38, vcc_lo, v28, s6
	v_add_co_ci_u32_e32 v39, vcc_lo, s7, v29, vcc_lo
	global_load_u16 v10, v[10:11], off
	global_load_u16 v11, v[38:39], off
	s_waitcnt vmcnt(1)
	v_or_b32_e32 v3, v10, v3
	s_waitcnt vmcnt(0)
	v_or_b32_e32 v5, v11, v5
.LBB59_15:                              ;   in Loop: Header=BB59_9 Depth=1
	s_or_b32 exec_lo, exec_lo, s0
	v_add_co_u32 v10, vcc_lo, s12, v0
	v_add_co_ci_u32_e32 v11, vcc_lo, 0, v1, vcc_lo
	s_delay_alu instid0(VALU_DEP_1) | instskip(SKIP_1) | instid1(VALU_DEP_1)
	v_cmp_gt_i64_e32 vcc_lo, s[8:9], v[10:11]
	v_cmp_gt_u64_e64 s0, 0x10000, v[10:11]
	s_and_b32 s14, vcc_lo, s0
	s_delay_alu instid0(SALU_CYCLE_1)
	s_and_saveexec_b32 s0, s14
	s_cbranch_execnz .LBB59_20
; %bb.16:                               ;   in Loop: Header=BB59_9 Depth=1
	s_or_b32 exec_lo, exec_lo, s0
	s_delay_alu instid0(SALU_CYCLE_1)
	s_mov_b32 s0, exec_lo
	v_cmpx_gt_u64_e64 s[4:5], v[0:1]
	s_cbranch_execnz .LBB59_21
.LBB59_17:                              ;   in Loop: Header=BB59_9 Depth=1
	s_or_b32 exec_lo, exec_lo, s0
	s_delay_alu instid0(SALU_CYCLE_1)
	s_mov_b32 s0, exec_lo
	v_cmpx_gt_u64_e64 s[4:5], v[6:7]
	s_cbranch_execnz .LBB59_22
.LBB59_18:                              ;   in Loop: Header=BB59_9 Depth=1
	s_or_b32 exec_lo, exec_lo, s0
	s_delay_alu instid0(SALU_CYCLE_1)
	s_mov_b32 s0, exec_lo
	v_cmpx_gt_u64_e64 s[4:5], v[8:9]
	s_cbranch_execnz .LBB59_23
.LBB59_19:                              ;   in Loop: Header=BB59_9 Depth=1
	s_or_b32 exec_lo, exec_lo, s0
	s_delay_alu instid0(SALU_CYCLE_1)
	s_mov_b32 s0, exec_lo
	v_cmpx_gt_u64_e64 s[4:5], v[10:11]
	s_cbranch_execz .LBB59_8
	s_branch .LBB59_24
.LBB59_20:                              ;   in Loop: Header=BB59_9 Depth=1
	v_add_co_u32 v38, vcc_lo, v22, s6
	v_add_co_ci_u32_e32 v39, vcc_lo, s7, v23, vcc_lo
	v_add_co_u32 v40, vcc_lo, v20, s6
	v_add_co_ci_u32_e32 v41, vcc_lo, s7, v21, vcc_lo
	v_dual_mov_b32 v42, 0 :: v_dual_mov_b32 v43, 0
	global_load_d16_hi_b16 v42, v[40:41], off
	global_load_d16_hi_b16 v43, v[38:39], off
	s_waitcnt vmcnt(1)
	v_or_b32_e32 v3, v42, v3
	s_waitcnt vmcnt(0)
	v_or_b32_e32 v5, v43, v5
	s_or_b32 exec_lo, exec_lo, s0
	s_delay_alu instid0(SALU_CYCLE_1)
	s_mov_b32 s0, exec_lo
	v_cmpx_gt_u64_e64 s[4:5], v[0:1]
	s_cbranch_execz .LBB59_17
.LBB59_21:                              ;   in Loop: Header=BB59_9 Depth=1
	v_bfe_i32 v38, v4, 0, 16
	s_delay_alu instid0(VALU_DEP_1) | instskip(SKIP_1) | instid1(VALU_DEP_2)
	v_cvt_f32_i32_e32 v39, v38
	v_xor_b32_e32 v38, v12, v38
	v_rcp_iflag_f32_e32 v40, v39
	s_delay_alu instid0(VALU_DEP_1) | instskip(NEXT) | instid1(VALU_DEP_1)
	v_ashrrev_i32_e32 v38, 30, v38
	v_or_b32_e32 v38, 1, v38
	s_waitcnt_depctr 0xfff
	v_mul_f32_e32 v40, v13, v40
	s_delay_alu instid0(VALU_DEP_1) | instskip(NEXT) | instid1(VALU_DEP_1)
	v_trunc_f32_e32 v40, v40
	v_fma_f32 v41, -v40, v39, v13
	v_cvt_i32_f32_e32 v40, v40
	s_delay_alu instid0(VALU_DEP_2) | instskip(SKIP_1) | instid1(VALU_DEP_1)
	v_cmp_ge_f32_e64 vcc_lo, |v41|, |v39|
	v_cndmask_b32_e32 v38, 0, v38, vcc_lo
	v_add_nc_u32_e32 v38, v40, v38
	s_delay_alu instid0(VALU_DEP_1) | instskip(SKIP_4) | instid1(SALU_CYCLE_1)
	v_mad_u16 v40, v38, s16, v2
	v_add_co_u32 v38, vcc_lo, v18, s6
	v_add_co_ci_u32_e32 v39, vcc_lo, s7, v19, vcc_lo
	global_store_b16 v[38:39], v40, off
	s_or_b32 exec_lo, exec_lo, s0
	s_mov_b32 s0, exec_lo
	v_cmpx_gt_u64_e64 s[4:5], v[6:7]
	s_cbranch_execz .LBB59_18
.LBB59_22:                              ;   in Loop: Header=BB59_9 Depth=1
	v_ashrrev_i32_e32 v6, 16, v4
	v_lshrrev_b32_e32 v2, 16, v2
	s_delay_alu instid0(VALU_DEP_2) | instskip(SKIP_1) | instid1(VALU_DEP_2)
	v_cvt_f32_i32_e32 v7, v6
	v_xor_b32_e32 v6, v12, v6
	v_rcp_iflag_f32_e32 v38, v7
	s_delay_alu instid0(VALU_DEP_1) | instskip(NEXT) | instid1(VALU_DEP_1)
	v_ashrrev_i32_e32 v6, 30, v6
	v_or_b32_e32 v6, 1, v6
	s_waitcnt_depctr 0xfff
	v_mul_f32_e32 v38, v13, v38
	s_delay_alu instid0(VALU_DEP_1) | instskip(NEXT) | instid1(VALU_DEP_1)
	v_trunc_f32_e32 v38, v38
	v_fma_f32 v39, -v38, v7, v13
	v_cvt_i32_f32_e32 v38, v38
	s_delay_alu instid0(VALU_DEP_2) | instskip(SKIP_1) | instid1(VALU_DEP_1)
	v_cmp_ge_f32_e64 vcc_lo, |v39|, |v7|
	v_cndmask_b32_e32 v6, 0, v6, vcc_lo
	v_add_nc_u32_e32 v6, v38, v6
	s_delay_alu instid0(VALU_DEP_1) | instskip(SKIP_4) | instid1(SALU_CYCLE_1)
	v_mad_u16 v2, v6, s16, v2
	v_add_co_u32 v6, vcc_lo, v36, s6
	v_add_co_ci_u32_e32 v7, vcc_lo, s7, v37, vcc_lo
	global_store_b16 v[6:7], v2, off
	s_or_b32 exec_lo, exec_lo, s0
	s_mov_b32 s0, exec_lo
	v_cmpx_gt_u64_e64 s[4:5], v[8:9]
	s_cbranch_execz .LBB59_19
.LBB59_23:                              ;   in Loop: Header=BB59_9 Depth=1
	v_alignbit_b32 v2, v5, v4, 16
	s_delay_alu instid0(VALU_DEP_1) | instskip(NEXT) | instid1(VALU_DEP_1)
	v_ashrrev_i32_e32 v2, 16, v2
	v_cvt_f32_i32_e32 v6, v2
	v_xor_b32_e32 v2, v12, v2
	s_delay_alu instid0(VALU_DEP_2) | instskip(NEXT) | instid1(VALU_DEP_1)
	v_rcp_iflag_f32_e32 v7, v6
	v_ashrrev_i32_e32 v2, 30, v2
	s_delay_alu instid0(VALU_DEP_1) | instskip(SKIP_2) | instid1(VALU_DEP_1)
	v_or_b32_e32 v2, 1, v2
	s_waitcnt_depctr 0xfff
	v_mul_f32_e32 v7, v13, v7
	v_trunc_f32_e32 v7, v7
	s_delay_alu instid0(VALU_DEP_1) | instskip(SKIP_1) | instid1(VALU_DEP_2)
	v_fma_f32 v8, -v7, v6, v13
	v_cvt_i32_f32_e32 v7, v7
	v_cmp_ge_f32_e64 vcc_lo, |v8|, |v6|
	v_cndmask_b32_e32 v2, 0, v2, vcc_lo
	v_add_co_u32 v6, vcc_lo, v30, s6
	s_delay_alu instid0(VALU_DEP_2) | instskip(SKIP_1) | instid1(VALU_DEP_2)
	v_add_nc_u32_e32 v2, v7, v2
	v_add_co_ci_u32_e32 v7, vcc_lo, s7, v31, vcc_lo
	v_mad_u16 v2, v2, s16, v3
	global_store_b16 v[6:7], v2, off
	s_or_b32 exec_lo, exec_lo, s0
	s_delay_alu instid0(SALU_CYCLE_1)
	s_mov_b32 s0, exec_lo
	v_cmpx_gt_u64_e64 s[4:5], v[10:11]
	s_cbranch_execz .LBB59_8
.LBB59_24:                              ;   in Loop: Header=BB59_9 Depth=1
	v_ashrrev_i64 v[4:5], 48, v[4:5]
	v_lshrrev_b32_e32 v3, 16, v3
	s_delay_alu instid0(VALU_DEP_2) | instskip(SKIP_1) | instid1(VALU_DEP_2)
	v_cvt_f32_i32_e32 v2, v4
	v_xor_b32_e32 v4, v12, v4
	v_rcp_iflag_f32_e32 v5, v2
	s_delay_alu instid0(VALU_DEP_1) | instskip(NEXT) | instid1(VALU_DEP_1)
	v_ashrrev_i32_e32 v4, 30, v4
	v_or_b32_e32 v4, 1, v4
	s_waitcnt_depctr 0xfff
	v_mul_f32_e32 v5, v13, v5
	s_delay_alu instid0(VALU_DEP_1) | instskip(NEXT) | instid1(VALU_DEP_1)
	v_trunc_f32_e32 v5, v5
	v_fma_f32 v6, -v5, v2, v13
	v_cvt_i32_f32_e32 v5, v5
	s_delay_alu instid0(VALU_DEP_2) | instskip(SKIP_1) | instid1(VALU_DEP_1)
	v_cmp_ge_f32_e64 vcc_lo, |v6|, |v2|
	v_cndmask_b32_e32 v2, 0, v4, vcc_lo
	v_add_nc_u32_e32 v2, v5, v2
	s_delay_alu instid0(VALU_DEP_1)
	v_mad_u16 v4, v2, s16, v3
	v_add_co_u32 v2, vcc_lo, v24, s6
	v_add_co_ci_u32_e32 v3, vcc_lo, s7, v25, vcc_lo
	global_store_b16 v[2:3], v4, off
	s_branch .LBB59_8
.LBB59_25:
	s_nop 0
	s_sendmsg sendmsg(MSG_DEALLOC_VGPRS)
	s_endpgm
	.section	.rodata,"a",@progbits
	.p2align	6, 0x0
	.amdhsa_kernel _ZN2at6native12_GLOBAL__N_125multi_tensor_apply_kernelINS1_18TensorListMetadataILi4EEENS1_32PointwiseOpScalar0dTensorFunctorIsLi4ELi2ELi3EEEJSt7dividesIsEsEEEvT_T0_DpT1_
		.amdhsa_group_segment_fixed_size 0
		.amdhsa_private_segment_fixed_size 0
		.amdhsa_kernarg_size 3312
		.amdhsa_user_sgpr_count 15
		.amdhsa_user_sgpr_dispatch_ptr 0
		.amdhsa_user_sgpr_queue_ptr 0
		.amdhsa_user_sgpr_kernarg_segment_ptr 1
		.amdhsa_user_sgpr_dispatch_id 0
		.amdhsa_user_sgpr_private_segment_size 0
		.amdhsa_wavefront_size32 1
		.amdhsa_uses_dynamic_stack 0
		.amdhsa_enable_private_segment 0
		.amdhsa_system_sgpr_workgroup_id_x 1
		.amdhsa_system_sgpr_workgroup_id_y 0
		.amdhsa_system_sgpr_workgroup_id_z 0
		.amdhsa_system_sgpr_workgroup_info 0
		.amdhsa_system_vgpr_workitem_id 0
		.amdhsa_next_free_vgpr 44
		.amdhsa_next_free_sgpr 20
		.amdhsa_reserve_vcc 1
		.amdhsa_float_round_mode_32 0
		.amdhsa_float_round_mode_16_64 0
		.amdhsa_float_denorm_mode_32 3
		.amdhsa_float_denorm_mode_16_64 3
		.amdhsa_dx10_clamp 1
		.amdhsa_ieee_mode 1
		.amdhsa_fp16_overflow 0
		.amdhsa_workgroup_processor_mode 1
		.amdhsa_memory_ordered 1
		.amdhsa_forward_progress 0
		.amdhsa_shared_vgpr_count 0
		.amdhsa_exception_fp_ieee_invalid_op 0
		.amdhsa_exception_fp_denorm_src 0
		.amdhsa_exception_fp_ieee_div_zero 0
		.amdhsa_exception_fp_ieee_overflow 0
		.amdhsa_exception_fp_ieee_underflow 0
		.amdhsa_exception_fp_ieee_inexact 0
		.amdhsa_exception_int_div_zero 0
	.end_amdhsa_kernel
	.section	.text._ZN2at6native12_GLOBAL__N_125multi_tensor_apply_kernelINS1_18TensorListMetadataILi4EEENS1_32PointwiseOpScalar0dTensorFunctorIsLi4ELi2ELi3EEEJSt7dividesIsEsEEEvT_T0_DpT1_,"axG",@progbits,_ZN2at6native12_GLOBAL__N_125multi_tensor_apply_kernelINS1_18TensorListMetadataILi4EEENS1_32PointwiseOpScalar0dTensorFunctorIsLi4ELi2ELi3EEEJSt7dividesIsEsEEEvT_T0_DpT1_,comdat
.Lfunc_end59:
	.size	_ZN2at6native12_GLOBAL__N_125multi_tensor_apply_kernelINS1_18TensorListMetadataILi4EEENS1_32PointwiseOpScalar0dTensorFunctorIsLi4ELi2ELi3EEEJSt7dividesIsEsEEEvT_T0_DpT1_, .Lfunc_end59-_ZN2at6native12_GLOBAL__N_125multi_tensor_apply_kernelINS1_18TensorListMetadataILi4EEENS1_32PointwiseOpScalar0dTensorFunctorIsLi4ELi2ELi3EEEJSt7dividesIsEsEEEvT_T0_DpT1_
                                        ; -- End function
	.section	.AMDGPU.csdata,"",@progbits
; Kernel info:
; codeLenInByte = 2616
; NumSgprs: 22
; NumVgprs: 44
; ScratchSize: 0
; MemoryBound: 0
; FloatMode: 240
; IeeeMode: 1
; LDSByteSize: 0 bytes/workgroup (compile time only)
; SGPRBlocks: 2
; VGPRBlocks: 5
; NumSGPRsForWavesPerEU: 22
; NumVGPRsForWavesPerEU: 44
; Occupancy: 16
; WaveLimiterHint : 0
; COMPUTE_PGM_RSRC2:SCRATCH_EN: 0
; COMPUTE_PGM_RSRC2:USER_SGPR: 15
; COMPUTE_PGM_RSRC2:TRAP_HANDLER: 0
; COMPUTE_PGM_RSRC2:TGID_X_EN: 1
; COMPUTE_PGM_RSRC2:TGID_Y_EN: 0
; COMPUTE_PGM_RSRC2:TGID_Z_EN: 0
; COMPUTE_PGM_RSRC2:TIDIG_COMP_CNT: 0
	.section	.text._ZN2at6native12_GLOBAL__N_125multi_tensor_apply_kernelINS1_18TensorListMetadataILi4EEENS1_32PointwiseOpScalar0dTensorFunctorIdLi4ELi2ELi3EEEJSt7dividesIdEdEEEvT_T0_DpT1_,"axG",@progbits,_ZN2at6native12_GLOBAL__N_125multi_tensor_apply_kernelINS1_18TensorListMetadataILi4EEENS1_32PointwiseOpScalar0dTensorFunctorIdLi4ELi2ELi3EEEJSt7dividesIdEdEEEvT_T0_DpT1_,comdat
	.globl	_ZN2at6native12_GLOBAL__N_125multi_tensor_apply_kernelINS1_18TensorListMetadataILi4EEENS1_32PointwiseOpScalar0dTensorFunctorIdLi4ELi2ELi3EEEJSt7dividesIdEdEEEvT_T0_DpT1_ ; -- Begin function _ZN2at6native12_GLOBAL__N_125multi_tensor_apply_kernelINS1_18TensorListMetadataILi4EEENS1_32PointwiseOpScalar0dTensorFunctorIdLi4ELi2ELi3EEEJSt7dividesIdEdEEEvT_T0_DpT1_
	.p2align	8
	.type	_ZN2at6native12_GLOBAL__N_125multi_tensor_apply_kernelINS1_18TensorListMetadataILi4EEENS1_32PointwiseOpScalar0dTensorFunctorIdLi4ELi2ELi3EEEJSt7dividesIdEdEEEvT_T0_DpT1_,@function
_ZN2at6native12_GLOBAL__N_125multi_tensor_apply_kernelINS1_18TensorListMetadataILi4EEENS1_32PointwiseOpScalar0dTensorFunctorIdLi4ELi2ELi3EEEJSt7dividesIdEdEEEvT_T0_DpT1_: ; @_ZN2at6native12_GLOBAL__N_125multi_tensor_apply_kernelINS1_18TensorListMetadataILi4EEENS1_32PointwiseOpScalar0dTensorFunctorIdLi4ELi2ELi3EEEJSt7dividesIdEdEEEvT_T0_DpT1_
; %bb.0:
	v_mov_b32_e32 v1, s15
	s_add_u32 s2, s0, s15
	s_mul_hi_u32 s3, s15, 3
	s_mul_i32 s15, s15, 3
	s_addc_u32 s4, s1, 0
	global_load_u8 v1, v1, s[0:1] offset:1440
	s_add_u32 s2, s2, s15
	s_addc_u32 s3, s4, s3
	s_mov_b32 s25, 0
	s_load_b32 s8, s[2:3], 0x6e0
	s_mov_b32 s7, s25
	s_mov_b32 s29, s25
	s_waitcnt lgkmcnt(0)
	s_ashr_i32 s9, s8, 31
	s_delay_alu instid0(SALU_CYCLE_1) | instskip(SKIP_2) | instid1(VALU_DEP_1)
	s_lshl_b64 s[4:5], s[8:9], 19
	s_waitcnt vmcnt(0)
	v_readfirstlane_b32 s2, v1
	s_lshl_b32 s2, s2, 3
	s_clause 0x4
	s_load_b64 s[14:15], s[0:1], s2 offset:0x0
	s_load_b64 s[10:11], s[0:1], s2 offset:0x120
	s_load_b64 s[16:17], s[0:1], s2 offset:0x240
	s_load_b64 s[18:19], s[0:1], s2 offset:0x360
	s_load_b64 s[26:27], s[0:1], s2 offset:0x480
	s_waitcnt lgkmcnt(0)
	s_add_u32 s3, s14, s4
	s_addc_u32 s12, s15, s5
	s_add_u32 s2, s10, s4
	s_and_b32 s24, s3, 31
	s_and_b32 s6, s2, 31
	s_load_b64 s[10:11], s[10:11], 0x0
	s_cmp_lg_u64 s[6:7], 0
	s_cselect_b32 s2, -1, 0
	s_add_u32 s13, s16, s4
	s_addc_u32 s20, s17, s5
	s_add_u32 s21, s18, s4
	s_addc_u32 s22, s19, s5
	s_or_b32 s6, s21, s13
	s_delay_alu instid0(SALU_CYCLE_1)
	s_and_b32 s23, s6, 31
	s_load_b64 s[6:7], s[0:1], 0xbf0
	s_cmp_lg_u32 s23, 0
	s_cselect_b32 s23, -1, 0
	s_lshl_b64 s[8:9], s[8:9], 16
	s_or_b32 s2, s23, s2
	s_sub_u32 s8, s26, s8
	s_subb_u32 s9, s27, s9
	s_and_b32 s28, s26, 3
	s_delay_alu instid0(SALU_CYCLE_1) | instskip(NEXT) | instid1(SALU_CYCLE_1)
	s_or_b64 s[24:25], s[24:25], s[28:29]
	s_cmp_lg_u64 s[24:25], 0
	s_cselect_b32 s23, -1, 0
	s_delay_alu instid0(SALU_CYCLE_1) | instskip(NEXT) | instid1(SALU_CYCLE_1)
	s_or_b32 s2, s2, s23
	s_and_not1_b32 vcc_lo, exec_lo, s2
	s_mov_b32 s2, -1
	s_cbranch_vccz .LBB60_21
; %bb.1:
	v_dual_mov_b32 v18, 0 :: v_dual_lshlrev_b32 v17, 2, v0
	s_mov_b32 s23, exec_lo
	s_delay_alu instid0(VALU_DEP_1)
	v_cmpx_gt_i64_e64 s[8:9], v[17:18]
	s_cbranch_execz .LBB60_20
; %bb.2:
	s_waitcnt lgkmcnt(0)
	v_cmp_neq_f64_e64 s24, s[6:7], 1.0
	s_load_b32 s2, s[0:1], 0xc04
	v_lshlrev_b32_e32 v21, 5, v0
	s_mov_b32 s25, 0
	s_waitcnt lgkmcnt(0)
	s_and_b32 s2, s2, 0xffff
	s_delay_alu instid0(SALU_CYCLE_1)
	v_add_lshl_u32 v17, v0, s2, 2
	s_lshl_b32 s26, s2, 2
	s_lshl_b32 s27, s2, 5
	s_branch .LBB60_4
.LBB60_3:                               ;   in Loop: Header=BB60_4 Depth=1
	v_cmp_le_i64_e32 vcc_lo, s[8:9], v[17:18]
	v_cmp_lt_u64_e64 s2, 0xffff, v[17:18]
	v_add_co_u32 v5, s28, s21, v21
	s_delay_alu instid0(VALU_DEP_1)
	v_add_co_ci_u32_e64 v6, null, s22, 0, s28
	s_clause 0x1
	global_store_b128 v[5:6], v[1:4], off
	global_store_b128 v[5:6], v[9:12], off offset:16
	s_or_b32 s2, vcc_lo, s2
	s_add_u32 s3, s3, s27
	s_addc_u32 s12, s12, 0
	s_add_u32 s21, s21, s27
	v_add_co_u32 v17, vcc_lo, v17, s26
	s_addc_u32 s22, s22, 0
	s_add_u32 s13, s13, s27
	v_add_co_ci_u32_e32 v18, vcc_lo, 0, v18, vcc_lo
	s_addc_u32 s20, s20, 0
	s_and_b32 s2, exec_lo, s2
	s_delay_alu instid0(SALU_CYCLE_1) | instskip(NEXT) | instid1(SALU_CYCLE_1)
	s_or_b32 s25, s2, s25
	s_and_not1_b32 exec_lo, exec_lo, s25
	s_cbranch_execz .LBB60_20
.LBB60_4:                               ; =>This Inner Loop Header: Depth=1
	v_add_co_u32 v5, s2, s13, v21
	s_delay_alu instid0(VALU_DEP_1) | instskip(SKIP_1) | instid1(VALU_DEP_1)
	v_add_co_ci_u32_e64 v6, null, s20, 0, s2
	v_add_co_u32 v13, s2, s3, v21
	v_add_co_ci_u32_e64 v14, null, s12, 0, s2
	s_clause 0x1
	global_load_b128 v[1:4], v[5:6], off
	global_load_b128 v[9:12], v[5:6], off offset:16
	s_clause 0x1
	global_load_b128 v[5:8], v[13:14], off offset:16
	global_load_b128 v[13:16], v[13:14], off
	s_waitcnt vmcnt(3)
	v_div_scale_f64 v[19:20], null, v[1:2], v[1:2], s[10:11]
	s_delay_alu instid0(VALU_DEP_1) | instskip(SKIP_2) | instid1(VALU_DEP_1)
	v_rcp_f64_e32 v[22:23], v[19:20]
	s_waitcnt_depctr 0xfff
	v_fma_f64 v[24:25], -v[19:20], v[22:23], 1.0
	v_fma_f64 v[22:23], v[22:23], v[24:25], v[22:23]
	s_delay_alu instid0(VALU_DEP_1) | instskip(NEXT) | instid1(VALU_DEP_1)
	v_fma_f64 v[24:25], -v[19:20], v[22:23], 1.0
	v_fma_f64 v[22:23], v[22:23], v[24:25], v[22:23]
	v_div_scale_f64 v[24:25], vcc_lo, s[10:11], v[1:2], s[10:11]
	s_delay_alu instid0(VALU_DEP_1) | instskip(NEXT) | instid1(VALU_DEP_1)
	v_mul_f64 v[26:27], v[24:25], v[22:23]
	v_fma_f64 v[19:20], -v[19:20], v[26:27], v[24:25]
	s_delay_alu instid0(VALU_DEP_1) | instskip(SKIP_1) | instid1(VALU_DEP_1)
	v_div_fmas_f64 v[19:20], v[19:20], v[22:23], v[26:27]
	s_and_b32 vcc_lo, exec_lo, s24
	v_div_fixup_f64 v[19:20], v[19:20], v[1:2], s[10:11]
	s_cbranch_vccz .LBB60_15
; %bb.5:                                ;   in Loop: Header=BB60_4 Depth=1
	s_waitcnt vmcnt(0)
	s_delay_alu instid0(VALU_DEP_1)
	v_fma_f64 v[1:2], s[6:7], v[19:20], v[13:14]
	s_cbranch_execnz .LBB60_7
.LBB60_6:                               ;   in Loop: Header=BB60_4 Depth=1
	s_waitcnt vmcnt(0)
	s_delay_alu instid0(VALU_DEP_1)
	v_add_f64 v[1:2], v[13:14], v[19:20]
.LBB60_7:                               ;   in Loop: Header=BB60_4 Depth=1
	s_waitcnt vmcnt(0)
	v_div_scale_f64 v[13:14], null, v[3:4], v[3:4], s[10:11]
	s_delay_alu instid0(VALU_DEP_1) | instskip(SKIP_2) | instid1(VALU_DEP_1)
	v_rcp_f64_e32 v[19:20], v[13:14]
	s_waitcnt_depctr 0xfff
	v_fma_f64 v[22:23], -v[13:14], v[19:20], 1.0
	v_fma_f64 v[19:20], v[19:20], v[22:23], v[19:20]
	s_delay_alu instid0(VALU_DEP_1) | instskip(NEXT) | instid1(VALU_DEP_1)
	v_fma_f64 v[22:23], -v[13:14], v[19:20], 1.0
	v_fma_f64 v[19:20], v[19:20], v[22:23], v[19:20]
	v_div_scale_f64 v[22:23], vcc_lo, s[10:11], v[3:4], s[10:11]
	s_delay_alu instid0(VALU_DEP_1) | instskip(NEXT) | instid1(VALU_DEP_1)
	v_mul_f64 v[24:25], v[22:23], v[19:20]
	v_fma_f64 v[13:14], -v[13:14], v[24:25], v[22:23]
	s_delay_alu instid0(VALU_DEP_1) | instskip(SKIP_1) | instid1(VALU_DEP_1)
	v_div_fmas_f64 v[13:14], v[13:14], v[19:20], v[24:25]
	s_and_not1_b32 vcc_lo, exec_lo, s24
	v_div_fixup_f64 v[13:14], v[13:14], v[3:4], s[10:11]
	s_cbranch_vccnz .LBB60_16
; %bb.8:                                ;   in Loop: Header=BB60_4 Depth=1
	s_delay_alu instid0(VALU_DEP_1)
	v_fma_f64 v[3:4], s[6:7], v[13:14], v[15:16]
	s_cbranch_execnz .LBB60_10
.LBB60_9:                               ;   in Loop: Header=BB60_4 Depth=1
	s_delay_alu instid0(VALU_DEP_1)
	v_add_f64 v[3:4], v[15:16], v[13:14]
.LBB60_10:                              ;   in Loop: Header=BB60_4 Depth=1
	v_div_scale_f64 v[13:14], null, v[9:10], v[9:10], s[10:11]
	s_delay_alu instid0(VALU_DEP_1) | instskip(SKIP_2) | instid1(VALU_DEP_1)
	v_rcp_f64_e32 v[15:16], v[13:14]
	s_waitcnt_depctr 0xfff
	v_fma_f64 v[19:20], -v[13:14], v[15:16], 1.0
	v_fma_f64 v[15:16], v[15:16], v[19:20], v[15:16]
	s_delay_alu instid0(VALU_DEP_1) | instskip(NEXT) | instid1(VALU_DEP_1)
	v_fma_f64 v[19:20], -v[13:14], v[15:16], 1.0
	v_fma_f64 v[15:16], v[15:16], v[19:20], v[15:16]
	v_div_scale_f64 v[19:20], vcc_lo, s[10:11], v[9:10], s[10:11]
	s_delay_alu instid0(VALU_DEP_1) | instskip(NEXT) | instid1(VALU_DEP_1)
	v_mul_f64 v[22:23], v[19:20], v[15:16]
	v_fma_f64 v[13:14], -v[13:14], v[22:23], v[19:20]
	s_delay_alu instid0(VALU_DEP_1) | instskip(SKIP_1) | instid1(VALU_DEP_1)
	v_div_fmas_f64 v[13:14], v[13:14], v[15:16], v[22:23]
	s_and_not1_b32 vcc_lo, exec_lo, s24
	v_div_fixup_f64 v[13:14], v[13:14], v[9:10], s[10:11]
	s_cbranch_vccnz .LBB60_17
; %bb.11:                               ;   in Loop: Header=BB60_4 Depth=1
	s_delay_alu instid0(VALU_DEP_1)
	v_fma_f64 v[9:10], s[6:7], v[13:14], v[5:6]
	s_cbranch_execnz .LBB60_13
.LBB60_12:                              ;   in Loop: Header=BB60_4 Depth=1
	s_delay_alu instid0(VALU_DEP_1)
	v_add_f64 v[9:10], v[5:6], v[13:14]
.LBB60_13:                              ;   in Loop: Header=BB60_4 Depth=1
	v_div_scale_f64 v[5:6], null, v[11:12], v[11:12], s[10:11]
	s_delay_alu instid0(VALU_DEP_1) | instskip(SKIP_2) | instid1(VALU_DEP_1)
	v_rcp_f64_e32 v[13:14], v[5:6]
	s_waitcnt_depctr 0xfff
	v_fma_f64 v[15:16], -v[5:6], v[13:14], 1.0
	v_fma_f64 v[13:14], v[13:14], v[15:16], v[13:14]
	s_delay_alu instid0(VALU_DEP_1) | instskip(NEXT) | instid1(VALU_DEP_1)
	v_fma_f64 v[15:16], -v[5:6], v[13:14], 1.0
	v_fma_f64 v[13:14], v[13:14], v[15:16], v[13:14]
	v_div_scale_f64 v[15:16], vcc_lo, s[10:11], v[11:12], s[10:11]
	s_delay_alu instid0(VALU_DEP_1) | instskip(NEXT) | instid1(VALU_DEP_1)
	v_mul_f64 v[19:20], v[15:16], v[13:14]
	v_fma_f64 v[5:6], -v[5:6], v[19:20], v[15:16]
	s_delay_alu instid0(VALU_DEP_1) | instskip(SKIP_1) | instid1(VALU_DEP_1)
	v_div_fmas_f64 v[5:6], v[5:6], v[13:14], v[19:20]
	s_and_not1_b32 vcc_lo, exec_lo, s24
	v_div_fixup_f64 v[5:6], v[5:6], v[11:12], s[10:11]
	s_cbranch_vccnz .LBB60_18
; %bb.14:                               ;   in Loop: Header=BB60_4 Depth=1
	s_delay_alu instid0(VALU_DEP_1)
	v_fma_f64 v[11:12], s[6:7], v[5:6], v[7:8]
	s_cbranch_execnz .LBB60_3
	s_branch .LBB60_19
.LBB60_15:                              ;   in Loop: Header=BB60_4 Depth=1
                                        ; implicit-def: $vgpr1_vgpr2
	s_branch .LBB60_6
.LBB60_16:                              ;   in Loop: Header=BB60_4 Depth=1
	s_branch .LBB60_9
.LBB60_17:                              ;   in Loop: Header=BB60_4 Depth=1
                                        ; implicit-def: $vgpr9_vgpr10
	s_branch .LBB60_12
.LBB60_18:                              ;   in Loop: Header=BB60_4 Depth=1
.LBB60_19:                              ;   in Loop: Header=BB60_4 Depth=1
	s_delay_alu instid0(VALU_DEP_1)
	v_add_f64 v[11:12], v[7:8], v[5:6]
	s_branch .LBB60_3
.LBB60_20:
	s_or_b32 exec_lo, exec_lo, s23
	s_mov_b32 s2, 0
.LBB60_21:
	s_delay_alu instid0(SALU_CYCLE_1)
	s_and_not1_b32 vcc_lo, exec_lo, s2
	s_cbranch_vccnz .LBB60_57
; %bb.22:
	v_cmp_lt_i64_e64 s2, s[8:9], 1
	s_delay_alu instid0(VALU_DEP_1)
	s_and_b32 vcc_lo, exec_lo, s2
	s_cbranch_vccnz .LBB60_57
; %bb.23:
	s_load_b32 s0, s[0:1], 0xc04
	v_dual_mov_b32 v1, 0 :: v_dual_lshlrev_b32 v2, 3, v0
	s_waitcnt lgkmcnt(0)
	v_cmp_neq_f64_e64 s1, s[6:7], 1.0
	v_cmp_gt_u64_e64 s2, 0x10000, s[8:9]
	s_mov_b32 s3, 0
	v_mov_b32_e32 v3, v1
	v_add_co_u32 v26, s12, s14, v2
	s_delay_alu instid0(VALU_DEP_1) | instskip(SKIP_1) | instid1(VALU_DEP_1)
	v_add_co_ci_u32_e64 v27, null, s15, 0, s12
	v_add_co_u32 v28, s12, s16, v2
	v_add_co_ci_u32_e64 v29, null, s17, 0, s12
	s_and_b32 s20, s0, 0xffff
	v_add_co_u32 v30, s0, s18, v2
	v_mad_u64_u32 v[4:5], null, s20, 24, v[2:3]
	v_add_co_ci_u32_e64 v31, null, s19, 0, s0
	s_and_b32 s0, s2, exec_lo
	s_cselect_b32 s13, s9, 0
	s_cselect_b32 s12, s8, 0x10000
	s_lshl_b32 s0, s20, 4
	s_delay_alu instid0(VALU_DEP_2) | instskip(NEXT) | instid1(VALU_DEP_3)
	v_add_co_u32 v32, vcc_lo, s14, v4
	v_add_co_ci_u32_e32 v33, vcc_lo, s15, v5, vcc_lo
	v_add_co_u32 v34, vcc_lo, s16, v4
	v_add_co_u32 v2, s0, s0, v2
	v_add_co_ci_u32_e32 v35, vcc_lo, s17, v5, vcc_lo
	v_add_co_ci_u32_e64 v3, null, 0, 0, s0
	v_add_co_u32 v36, vcc_lo, s18, v4
	v_add_lshl_u32 v4, v0, s20, 3
	v_add_co_ci_u32_e32 v37, vcc_lo, s19, v5, vcc_lo
	v_add_co_u32 v38, vcc_lo, s14, v2
	v_add_co_ci_u32_e32 v39, vcc_lo, s15, v3, vcc_lo
	s_delay_alu instid0(VALU_DEP_4)
	v_add_co_u32 v44, s0, s14, v4
	v_add_co_u32 v40, vcc_lo, s16, v2
	v_add_co_ci_u32_e64 v45, null, s15, 0, s0
	v_add_co_u32 v46, s0, s16, v4
	v_add_co_ci_u32_e32 v41, vcc_lo, s17, v3, vcc_lo
	v_add_co_u32 v42, vcc_lo, s18, v2
	v_add_co_ci_u32_e64 v47, null, s17, 0, s0
	v_add_co_u32 v48, s0, s18, v4
	v_add_co_ci_u32_e32 v43, vcc_lo, s19, v3, vcc_lo
	v_add_co_ci_u32_e64 v49, null, s19, 0, s0
	s_lshl_b32 s2, s20, 2
	s_lshl_b32 s21, s20, 1
	s_mul_i32 s22, s20, 3
	s_lshl_b32 s16, s20, 5
	s_mov_b64 s[14:15], s[2:3]
	s_branch .LBB60_25
.LBB60_24:                              ;   in Loop: Header=BB60_25 Depth=1
	s_or_b32 exec_lo, exec_lo, s0
	v_add_co_u32 v26, vcc_lo, v26, s16
	v_add_co_ci_u32_e32 v27, vcc_lo, 0, v27, vcc_lo
	v_add_co_u32 v28, vcc_lo, v28, s16
	v_add_co_ci_u32_e32 v29, vcc_lo, 0, v29, vcc_lo
	;; [unrolled: 2-line block ×11, first 2 shown]
	v_cmp_ge_i64_e64 s0, s[14:15], s[8:9]
	v_cmp_lt_u64_e64 s3, 0xffff, s[14:15]
	v_add_co_u32 v46, vcc_lo, v46, s16
	v_add_co_ci_u32_e32 v47, vcc_lo, 0, v47, vcc_lo
	v_add_co_u32 v48, vcc_lo, v48, s16
	v_add_co_ci_u32_e32 v49, vcc_lo, 0, v49, vcc_lo
	s_or_b32 s0, s0, s3
	s_add_u32 s14, s14, s2
	s_addc_u32 s15, s15, 0
	s_and_b32 vcc_lo, exec_lo, s0
	s_cbranch_vccnz .LBB60_57
.LBB60_25:                              ; =>This Inner Loop Header: Depth=1
	v_mov_b32_e32 v12, 0
	v_mov_b32_e32 v13, 0
	v_cmp_gt_i64_e32 vcc_lo, s[8:9], v[0:1]
	v_cmp_gt_u64_e64 s0, 0x10000, v[0:1]
	s_delay_alu instid0(VALU_DEP_3) | instskip(SKIP_1) | instid1(VALU_DEP_3)
	v_dual_mov_b32 v19, v13 :: v_dual_mov_b32 v18, v12
	v_dual_mov_b32 v21, v13 :: v_dual_mov_b32 v20, v12
	s_and_b32 s3, vcc_lo, s0
	s_delay_alu instid0(SALU_CYCLE_1)
	s_and_saveexec_b32 s0, s3
	s_cbranch_execz .LBB60_27
; %bb.26:                               ;   in Loop: Header=BB60_25 Depth=1
	v_add_co_u32 v2, vcc_lo, v26, s4
	v_add_co_ci_u32_e32 v3, vcc_lo, s5, v27, vcc_lo
	v_add_co_u32 v4, vcc_lo, v28, s4
	v_add_co_ci_u32_e32 v5, vcc_lo, s5, v29, vcc_lo
	global_load_b64 v[20:21], v[2:3], off
	global_load_b64 v[18:19], v[4:5], off
.LBB60_27:                              ;   in Loop: Header=BB60_25 Depth=1
	s_or_b32 exec_lo, exec_lo, s0
	v_add_co_u32 v2, vcc_lo, s20, v0
	v_add_co_ci_u32_e32 v3, vcc_lo, 0, v1, vcc_lo
	v_dual_mov_b32 v17, v13 :: v_dual_mov_b32 v16, v12
	s_delay_alu instid0(VALU_DEP_2) | instskip(SKIP_1) | instid1(VALU_DEP_1)
	v_cmp_gt_i64_e32 vcc_lo, s[8:9], v[2:3]
	v_cmp_gt_u64_e64 s0, 0x10000, v[2:3]
	s_and_b32 s3, vcc_lo, s0
	s_delay_alu instid0(SALU_CYCLE_1)
	s_and_saveexec_b32 s0, s3
	s_cbranch_execz .LBB60_29
; %bb.28:                               ;   in Loop: Header=BB60_25 Depth=1
	v_add_co_u32 v4, vcc_lo, v44, s4
	v_add_co_ci_u32_e32 v5, vcc_lo, s5, v45, vcc_lo
	v_add_co_u32 v6, vcc_lo, v46, s4
	v_add_co_ci_u32_e32 v7, vcc_lo, s5, v47, vcc_lo
	global_load_b64 v[16:17], v[4:5], off
	global_load_b64 v[12:13], v[6:7], off
.LBB60_29:                              ;   in Loop: Header=BB60_25 Depth=1
	s_or_b32 exec_lo, exec_lo, s0
	v_add_co_u32 v4, vcc_lo, s21, v0
	v_add_co_ci_u32_e32 v5, vcc_lo, 0, v1, vcc_lo
	v_mov_b32_e32 v8, 0
	v_mov_b32_e32 v9, 0
	s_delay_alu instid0(VALU_DEP_3) | instskip(SKIP_1) | instid1(VALU_DEP_3)
	v_cmp_gt_i64_e32 vcc_lo, s[8:9], v[4:5]
	v_cmp_gt_u64_e64 s0, 0x10000, v[4:5]
	v_dual_mov_b32 v23, v9 :: v_dual_mov_b32 v22, v8
	v_dual_mov_b32 v15, v9 :: v_dual_mov_b32 v14, v8
	s_delay_alu instid0(VALU_DEP_3) | instskip(NEXT) | instid1(SALU_CYCLE_1)
	s_and_b32 s3, vcc_lo, s0
	s_and_saveexec_b32 s0, s3
	s_cbranch_execz .LBB60_31
; %bb.30:                               ;   in Loop: Header=BB60_25 Depth=1
	v_add_co_u32 v6, vcc_lo, v38, s4
	v_add_co_ci_u32_e32 v7, vcc_lo, s5, v39, vcc_lo
	v_add_co_u32 v10, vcc_lo, v40, s4
	v_add_co_ci_u32_e32 v11, vcc_lo, s5, v41, vcc_lo
	global_load_b64 v[14:15], v[6:7], off
	global_load_b64 v[22:23], v[10:11], off
.LBB60_31:                              ;   in Loop: Header=BB60_25 Depth=1
	s_or_b32 exec_lo, exec_lo, s0
	v_add_co_u32 v6, vcc_lo, s22, v0
	v_add_co_ci_u32_e32 v7, vcc_lo, 0, v1, vcc_lo
	v_dual_mov_b32 v11, v9 :: v_dual_mov_b32 v10, v8
	s_delay_alu instid0(VALU_DEP_2) | instskip(SKIP_1) | instid1(VALU_DEP_1)
	v_cmp_gt_i64_e32 vcc_lo, s[8:9], v[6:7]
	v_cmp_gt_u64_e64 s0, 0x10000, v[6:7]
	s_and_b32 s3, vcc_lo, s0
	s_delay_alu instid0(SALU_CYCLE_1)
	s_and_saveexec_b32 s0, s3
	s_cbranch_execz .LBB60_33
; %bb.32:                               ;   in Loop: Header=BB60_25 Depth=1
	v_add_co_u32 v8, vcc_lo, v32, s4
	v_add_co_ci_u32_e32 v9, vcc_lo, s5, v33, vcc_lo
	v_add_co_u32 v24, vcc_lo, v34, s4
	v_add_co_ci_u32_e32 v25, vcc_lo, s5, v35, vcc_lo
	global_load_b64 v[10:11], v[8:9], off
	global_load_b64 v[8:9], v[24:25], off
.LBB60_33:                              ;   in Loop: Header=BB60_25 Depth=1
	s_or_b32 exec_lo, exec_lo, s0
	s_waitcnt vmcnt(0)
	v_div_scale_f64 v[24:25], null, v[18:19], v[18:19], s[10:11]
	s_delay_alu instid0(VALU_DEP_1) | instskip(SKIP_2) | instid1(VALU_DEP_1)
	v_rcp_f64_e32 v[50:51], v[24:25]
	s_waitcnt_depctr 0xfff
	v_fma_f64 v[52:53], -v[24:25], v[50:51], 1.0
	v_fma_f64 v[50:51], v[50:51], v[52:53], v[50:51]
	s_delay_alu instid0(VALU_DEP_1) | instskip(NEXT) | instid1(VALU_DEP_1)
	v_fma_f64 v[52:53], -v[24:25], v[50:51], 1.0
	v_fma_f64 v[50:51], v[50:51], v[52:53], v[50:51]
	v_div_scale_f64 v[52:53], vcc_lo, s[10:11], v[18:19], s[10:11]
	s_delay_alu instid0(VALU_DEP_1) | instskip(NEXT) | instid1(VALU_DEP_1)
	v_mul_f64 v[54:55], v[52:53], v[50:51]
	v_fma_f64 v[24:25], -v[24:25], v[54:55], v[52:53]
	s_delay_alu instid0(VALU_DEP_1) | instskip(SKIP_1) | instid1(VALU_DEP_1)
	v_div_fmas_f64 v[24:25], v[24:25], v[50:51], v[54:55]
	s_and_b32 vcc_lo, exec_lo, s1
	v_div_fixup_f64 v[24:25], v[24:25], v[18:19], s[10:11]
	s_cbranch_vccz .LBB60_53
; %bb.34:                               ;   in Loop: Header=BB60_25 Depth=1
	s_delay_alu instid0(VALU_DEP_1)
	v_fma_f64 v[18:19], s[6:7], v[24:25], v[20:21]
	s_cbranch_execnz .LBB60_36
.LBB60_35:                              ;   in Loop: Header=BB60_25 Depth=1
	s_delay_alu instid0(VALU_DEP_1)
	v_add_f64 v[18:19], v[20:21], v[24:25]
.LBB60_36:                              ;   in Loop: Header=BB60_25 Depth=1
	v_div_scale_f64 v[20:21], null, v[12:13], v[12:13], s[10:11]
	s_delay_alu instid0(VALU_DEP_1) | instskip(SKIP_2) | instid1(VALU_DEP_1)
	v_rcp_f64_e32 v[24:25], v[20:21]
	s_waitcnt_depctr 0xfff
	v_fma_f64 v[50:51], -v[20:21], v[24:25], 1.0
	v_fma_f64 v[24:25], v[24:25], v[50:51], v[24:25]
	s_delay_alu instid0(VALU_DEP_1) | instskip(NEXT) | instid1(VALU_DEP_1)
	v_fma_f64 v[50:51], -v[20:21], v[24:25], 1.0
	v_fma_f64 v[24:25], v[24:25], v[50:51], v[24:25]
	v_div_scale_f64 v[50:51], vcc_lo, s[10:11], v[12:13], s[10:11]
	s_delay_alu instid0(VALU_DEP_1) | instskip(NEXT) | instid1(VALU_DEP_1)
	v_mul_f64 v[52:53], v[50:51], v[24:25]
	v_fma_f64 v[20:21], -v[20:21], v[52:53], v[50:51]
	s_delay_alu instid0(VALU_DEP_1) | instskip(SKIP_1) | instid1(VALU_DEP_1)
	v_div_fmas_f64 v[20:21], v[20:21], v[24:25], v[52:53]
	s_and_not1_b32 vcc_lo, exec_lo, s1
	v_div_fixup_f64 v[20:21], v[20:21], v[12:13], s[10:11]
	s_cbranch_vccnz .LBB60_54
; %bb.37:                               ;   in Loop: Header=BB60_25 Depth=1
	s_delay_alu instid0(VALU_DEP_1)
	v_fma_f64 v[12:13], s[6:7], v[20:21], v[16:17]
	s_cbranch_execnz .LBB60_39
.LBB60_38:                              ;   in Loop: Header=BB60_25 Depth=1
	s_delay_alu instid0(VALU_DEP_1)
	v_add_f64 v[12:13], v[16:17], v[20:21]
.LBB60_39:                              ;   in Loop: Header=BB60_25 Depth=1
	v_div_scale_f64 v[16:17], null, v[22:23], v[22:23], s[10:11]
	s_delay_alu instid0(VALU_DEP_1) | instskip(SKIP_2) | instid1(VALU_DEP_1)
	v_rcp_f64_e32 v[20:21], v[16:17]
	s_waitcnt_depctr 0xfff
	v_fma_f64 v[24:25], -v[16:17], v[20:21], 1.0
	v_fma_f64 v[20:21], v[20:21], v[24:25], v[20:21]
	s_delay_alu instid0(VALU_DEP_1) | instskip(NEXT) | instid1(VALU_DEP_1)
	v_fma_f64 v[24:25], -v[16:17], v[20:21], 1.0
	v_fma_f64 v[20:21], v[20:21], v[24:25], v[20:21]
	v_div_scale_f64 v[24:25], vcc_lo, s[10:11], v[22:23], s[10:11]
	s_delay_alu instid0(VALU_DEP_1) | instskip(NEXT) | instid1(VALU_DEP_1)
	v_mul_f64 v[50:51], v[24:25], v[20:21]
	v_fma_f64 v[16:17], -v[16:17], v[50:51], v[24:25]
	s_delay_alu instid0(VALU_DEP_1) | instskip(SKIP_1) | instid1(VALU_DEP_1)
	v_div_fmas_f64 v[16:17], v[16:17], v[20:21], v[50:51]
	s_and_not1_b32 vcc_lo, exec_lo, s1
	v_div_fixup_f64 v[20:21], v[16:17], v[22:23], s[10:11]
	s_cbranch_vccnz .LBB60_55
; %bb.40:                               ;   in Loop: Header=BB60_25 Depth=1
	s_delay_alu instid0(VALU_DEP_1)
	v_fma_f64 v[16:17], s[6:7], v[20:21], v[14:15]
	s_cbranch_execnz .LBB60_42
.LBB60_41:                              ;   in Loop: Header=BB60_25 Depth=1
	s_delay_alu instid0(VALU_DEP_1)
	v_add_f64 v[16:17], v[14:15], v[20:21]
.LBB60_42:                              ;   in Loop: Header=BB60_25 Depth=1
	v_div_scale_f64 v[14:15], null, v[8:9], v[8:9], s[10:11]
	s_delay_alu instid0(VALU_DEP_1) | instskip(SKIP_2) | instid1(VALU_DEP_1)
	v_rcp_f64_e32 v[20:21], v[14:15]
	s_waitcnt_depctr 0xfff
	v_fma_f64 v[22:23], -v[14:15], v[20:21], 1.0
	v_fma_f64 v[20:21], v[20:21], v[22:23], v[20:21]
	s_delay_alu instid0(VALU_DEP_1) | instskip(NEXT) | instid1(VALU_DEP_1)
	v_fma_f64 v[22:23], -v[14:15], v[20:21], 1.0
	v_fma_f64 v[20:21], v[20:21], v[22:23], v[20:21]
	v_div_scale_f64 v[22:23], vcc_lo, s[10:11], v[8:9], s[10:11]
	s_delay_alu instid0(VALU_DEP_1) | instskip(NEXT) | instid1(VALU_DEP_1)
	v_mul_f64 v[24:25], v[22:23], v[20:21]
	v_fma_f64 v[14:15], -v[14:15], v[24:25], v[22:23]
	s_delay_alu instid0(VALU_DEP_1) | instskip(SKIP_1) | instid1(VALU_DEP_1)
	v_div_fmas_f64 v[14:15], v[14:15], v[20:21], v[24:25]
	s_and_not1_b32 vcc_lo, exec_lo, s1
	v_div_fixup_f64 v[14:15], v[14:15], v[8:9], s[10:11]
	s_cbranch_vccnz .LBB60_56
; %bb.43:                               ;   in Loop: Header=BB60_25 Depth=1
	s_delay_alu instid0(VALU_DEP_1)
	v_fma_f64 v[8:9], s[6:7], v[14:15], v[10:11]
	s_cbranch_execnz .LBB60_45
.LBB60_44:                              ;   in Loop: Header=BB60_25 Depth=1
	s_delay_alu instid0(VALU_DEP_1)
	v_add_f64 v[8:9], v[10:11], v[14:15]
.LBB60_45:                              ;   in Loop: Header=BB60_25 Depth=1
	s_mov_b32 s0, exec_lo
	v_cmpx_gt_u64_e64 s[12:13], v[0:1]
	s_xor_b32 s0, exec_lo, s0
	s_cbranch_execz .LBB60_47
; %bb.46:                               ;   in Loop: Header=BB60_25 Depth=1
	v_add_co_u32 v10, vcc_lo, v30, s4
	v_add_co_ci_u32_e32 v11, vcc_lo, s5, v31, vcc_lo
	global_store_b64 v[10:11], v[18:19], off
.LBB60_47:                              ;   in Loop: Header=BB60_25 Depth=1
	s_or_b32 exec_lo, exec_lo, s0
	s_delay_alu instid0(SALU_CYCLE_1)
	s_mov_b32 s0, exec_lo
	v_cmpx_gt_u64_e64 s[12:13], v[2:3]
	s_cbranch_execnz .LBB60_50
; %bb.48:                               ;   in Loop: Header=BB60_25 Depth=1
	s_or_b32 exec_lo, exec_lo, s0
	s_delay_alu instid0(SALU_CYCLE_1)
	s_mov_b32 s0, exec_lo
	v_cmpx_gt_u64_e64 s[12:13], v[4:5]
	s_cbranch_execnz .LBB60_51
.LBB60_49:                              ;   in Loop: Header=BB60_25 Depth=1
	s_or_b32 exec_lo, exec_lo, s0
	s_delay_alu instid0(SALU_CYCLE_1)
	s_mov_b32 s0, exec_lo
	v_cmpx_gt_u64_e64 s[12:13], v[6:7]
	s_cbranch_execz .LBB60_24
	s_branch .LBB60_52
.LBB60_50:                              ;   in Loop: Header=BB60_25 Depth=1
	v_add_co_u32 v2, vcc_lo, v48, s4
	v_add_co_ci_u32_e32 v3, vcc_lo, s5, v49, vcc_lo
	global_store_b64 v[2:3], v[12:13], off
	s_or_b32 exec_lo, exec_lo, s0
	s_delay_alu instid0(SALU_CYCLE_1)
	s_mov_b32 s0, exec_lo
	v_cmpx_gt_u64_e64 s[12:13], v[4:5]
	s_cbranch_execz .LBB60_49
.LBB60_51:                              ;   in Loop: Header=BB60_25 Depth=1
	v_add_co_u32 v2, vcc_lo, v42, s4
	v_add_co_ci_u32_e32 v3, vcc_lo, s5, v43, vcc_lo
	global_store_b64 v[2:3], v[16:17], off
	s_or_b32 exec_lo, exec_lo, s0
	s_delay_alu instid0(SALU_CYCLE_1)
	s_mov_b32 s0, exec_lo
	v_cmpx_gt_u64_e64 s[12:13], v[6:7]
	s_cbranch_execz .LBB60_24
.LBB60_52:                              ;   in Loop: Header=BB60_25 Depth=1
	v_add_co_u32 v2, vcc_lo, v36, s4
	v_add_co_ci_u32_e32 v3, vcc_lo, s5, v37, vcc_lo
	global_store_b64 v[2:3], v[8:9], off
	s_branch .LBB60_24
.LBB60_53:                              ;   in Loop: Header=BB60_25 Depth=1
                                        ; implicit-def: $vgpr18_vgpr19
	s_branch .LBB60_35
.LBB60_54:                              ;   in Loop: Header=BB60_25 Depth=1
                                        ; implicit-def: $vgpr12_vgpr13
	s_branch .LBB60_38
.LBB60_55:                              ;   in Loop: Header=BB60_25 Depth=1
                                        ; implicit-def: $vgpr16_vgpr17
	s_branch .LBB60_41
.LBB60_56:                              ;   in Loop: Header=BB60_25 Depth=1
                                        ; implicit-def: $vgpr8_vgpr9
	s_branch .LBB60_44
.LBB60_57:
	s_nop 0
	s_sendmsg sendmsg(MSG_DEALLOC_VGPRS)
	s_endpgm
	.section	.rodata,"a",@progbits
	.p2align	6, 0x0
	.amdhsa_kernel _ZN2at6native12_GLOBAL__N_125multi_tensor_apply_kernelINS1_18TensorListMetadataILi4EEENS1_32PointwiseOpScalar0dTensorFunctorIdLi4ELi2ELi3EEEJSt7dividesIdEdEEEvT_T0_DpT1_
		.amdhsa_group_segment_fixed_size 0
		.amdhsa_private_segment_fixed_size 0
		.amdhsa_kernarg_size 3320
		.amdhsa_user_sgpr_count 15
		.amdhsa_user_sgpr_dispatch_ptr 0
		.amdhsa_user_sgpr_queue_ptr 0
		.amdhsa_user_sgpr_kernarg_segment_ptr 1
		.amdhsa_user_sgpr_dispatch_id 0
		.amdhsa_user_sgpr_private_segment_size 0
		.amdhsa_wavefront_size32 1
		.amdhsa_uses_dynamic_stack 0
		.amdhsa_enable_private_segment 0
		.amdhsa_system_sgpr_workgroup_id_x 1
		.amdhsa_system_sgpr_workgroup_id_y 0
		.amdhsa_system_sgpr_workgroup_id_z 0
		.amdhsa_system_sgpr_workgroup_info 0
		.amdhsa_system_vgpr_workitem_id 0
		.amdhsa_next_free_vgpr 56
		.amdhsa_next_free_sgpr 30
		.amdhsa_reserve_vcc 1
		.amdhsa_float_round_mode_32 0
		.amdhsa_float_round_mode_16_64 0
		.amdhsa_float_denorm_mode_32 3
		.amdhsa_float_denorm_mode_16_64 3
		.amdhsa_dx10_clamp 1
		.amdhsa_ieee_mode 1
		.amdhsa_fp16_overflow 0
		.amdhsa_workgroup_processor_mode 1
		.amdhsa_memory_ordered 1
		.amdhsa_forward_progress 0
		.amdhsa_shared_vgpr_count 0
		.amdhsa_exception_fp_ieee_invalid_op 0
		.amdhsa_exception_fp_denorm_src 0
		.amdhsa_exception_fp_ieee_div_zero 0
		.amdhsa_exception_fp_ieee_overflow 0
		.amdhsa_exception_fp_ieee_underflow 0
		.amdhsa_exception_fp_ieee_inexact 0
		.amdhsa_exception_int_div_zero 0
	.end_amdhsa_kernel
	.section	.text._ZN2at6native12_GLOBAL__N_125multi_tensor_apply_kernelINS1_18TensorListMetadataILi4EEENS1_32PointwiseOpScalar0dTensorFunctorIdLi4ELi2ELi3EEEJSt7dividesIdEdEEEvT_T0_DpT1_,"axG",@progbits,_ZN2at6native12_GLOBAL__N_125multi_tensor_apply_kernelINS1_18TensorListMetadataILi4EEENS1_32PointwiseOpScalar0dTensorFunctorIdLi4ELi2ELi3EEEJSt7dividesIdEdEEEvT_T0_DpT1_,comdat
.Lfunc_end60:
	.size	_ZN2at6native12_GLOBAL__N_125multi_tensor_apply_kernelINS1_18TensorListMetadataILi4EEENS1_32PointwiseOpScalar0dTensorFunctorIdLi4ELi2ELi3EEEJSt7dividesIdEdEEEvT_T0_DpT1_, .Lfunc_end60-_ZN2at6native12_GLOBAL__N_125multi_tensor_apply_kernelINS1_18TensorListMetadataILi4EEENS1_32PointwiseOpScalar0dTensorFunctorIdLi4ELi2ELi3EEEJSt7dividesIdEdEEEvT_T0_DpT1_
                                        ; -- End function
	.section	.AMDGPU.csdata,"",@progbits
; Kernel info:
; codeLenInByte = 2940
; NumSgprs: 32
; NumVgprs: 56
; ScratchSize: 0
; MemoryBound: 1
; FloatMode: 240
; IeeeMode: 1
; LDSByteSize: 0 bytes/workgroup (compile time only)
; SGPRBlocks: 3
; VGPRBlocks: 6
; NumSGPRsForWavesPerEU: 32
; NumVGPRsForWavesPerEU: 56
; Occupancy: 16
; WaveLimiterHint : 0
; COMPUTE_PGM_RSRC2:SCRATCH_EN: 0
; COMPUTE_PGM_RSRC2:USER_SGPR: 15
; COMPUTE_PGM_RSRC2:TRAP_HANDLER: 0
; COMPUTE_PGM_RSRC2:TGID_X_EN: 1
; COMPUTE_PGM_RSRC2:TGID_Y_EN: 0
; COMPUTE_PGM_RSRC2:TGID_Z_EN: 0
; COMPUTE_PGM_RSRC2:TIDIG_COMP_CNT: 0
	.section	.text._ZN2at6native12_GLOBAL__N_125multi_tensor_apply_kernelINS1_18TensorListMetadataILi4EEENS1_32PointwiseOpScalar0dTensorFunctorIfLi4ELi2ELi3EEEJSt7dividesIfEfEEEvT_T0_DpT1_,"axG",@progbits,_ZN2at6native12_GLOBAL__N_125multi_tensor_apply_kernelINS1_18TensorListMetadataILi4EEENS1_32PointwiseOpScalar0dTensorFunctorIfLi4ELi2ELi3EEEJSt7dividesIfEfEEEvT_T0_DpT1_,comdat
	.globl	_ZN2at6native12_GLOBAL__N_125multi_tensor_apply_kernelINS1_18TensorListMetadataILi4EEENS1_32PointwiseOpScalar0dTensorFunctorIfLi4ELi2ELi3EEEJSt7dividesIfEfEEEvT_T0_DpT1_ ; -- Begin function _ZN2at6native12_GLOBAL__N_125multi_tensor_apply_kernelINS1_18TensorListMetadataILi4EEENS1_32PointwiseOpScalar0dTensorFunctorIfLi4ELi2ELi3EEEJSt7dividesIfEfEEEvT_T0_DpT1_
	.p2align	8
	.type	_ZN2at6native12_GLOBAL__N_125multi_tensor_apply_kernelINS1_18TensorListMetadataILi4EEENS1_32PointwiseOpScalar0dTensorFunctorIfLi4ELi2ELi3EEEJSt7dividesIfEfEEEvT_T0_DpT1_,@function
_ZN2at6native12_GLOBAL__N_125multi_tensor_apply_kernelINS1_18TensorListMetadataILi4EEENS1_32PointwiseOpScalar0dTensorFunctorIfLi4ELi2ELi3EEEJSt7dividesIfEfEEEvT_T0_DpT1_: ; @_ZN2at6native12_GLOBAL__N_125multi_tensor_apply_kernelINS1_18TensorListMetadataILi4EEENS1_32PointwiseOpScalar0dTensorFunctorIfLi4ELi2ELi3EEEJSt7dividesIfEfEEEvT_T0_DpT1_
; %bb.0:
	v_mov_b32_e32 v1, s15
	s_add_u32 s2, s0, s15
	s_mul_hi_u32 s3, s15, 3
	s_mul_i32 s15, s15, 3
	s_addc_u32 s4, s1, 0
	global_load_u8 v1, v1, s[0:1] offset:1440
	s_load_b32 s16, s[0:1], 0xbec
	s_add_u32 s2, s2, s15
	s_addc_u32 s3, s4, s3
	s_mov_b32 s25, 0
	s_load_b32 s2, s[2:3], 0x6e0
	s_mov_b32 s9, s25
	s_mov_b32 s29, s25
	s_waitcnt vmcnt(0)
	v_readfirstlane_b32 s3, v1
	s_delay_alu instid0(VALU_DEP_1)
	s_lshl_b32 s8, s3, 3
	s_waitcnt lgkmcnt(0)
	s_ashr_i32 s3, s2, 31
	s_clause 0x3
	s_load_b64 s[10:11], s[0:1], s8 offset:0x0
	s_load_b64 s[4:5], s[0:1], s8 offset:0x120
	;; [unrolled: 1-line block ×4, first 2 shown]
	s_lshl_b64 s[6:7], s[2:3], 18
	s_load_b64 s[26:27], s[0:1], s8 offset:0x480
	s_waitcnt lgkmcnt(0)
	s_add_u32 s18, s10, s6
	s_addc_u32 s19, s11, s7
	s_add_u32 s8, s4, s6
	s_and_b32 s24, s18, 15
	s_and_b32 s8, s8, 15
	s_load_b32 s17, s[4:5], 0x0
	s_cmp_lg_u64 s[8:9], 0
	s_cselect_b32 s8, -1, 0
	s_add_u32 s20, s12, s6
	s_addc_u32 s21, s13, s7
	s_add_u32 s22, s14, s6
	s_addc_u32 s23, s15, s7
	s_or_b32 s9, s22, s20
	s_delay_alu instid0(SALU_CYCLE_1) | instskip(NEXT) | instid1(SALU_CYCLE_1)
	s_and_b32 s9, s9, 15
	s_cmp_lg_u32 s9, 0
	s_cselect_b32 s9, -1, 0
	s_lshl_b64 s[2:3], s[2:3], 16
	s_or_b32 s30, s9, s8
	s_sub_u32 s8, s26, s2
	s_subb_u32 s9, s27, s3
	s_and_b32 s28, s26, 3
	s_delay_alu instid0(SALU_CYCLE_1) | instskip(NEXT) | instid1(SALU_CYCLE_1)
	s_or_b64 s[2:3], s[24:25], s[28:29]
	s_cmp_lg_u64 s[2:3], 0
	s_cselect_b32 s2, -1, 0
	s_delay_alu instid0(SALU_CYCLE_1) | instskip(NEXT) | instid1(SALU_CYCLE_1)
	s_or_b32 s2, s30, s2
	s_and_not1_b32 vcc_lo, exec_lo, s2
	s_mov_b32 s2, -1
	s_cbranch_vccz .LBB61_5
; %bb.1:
	v_dual_mov_b32 v2, 0 :: v_dual_lshlrev_b32 v1, 2, v0
	s_mov_b32 s24, exec_lo
	s_delay_alu instid0(VALU_DEP_1)
	v_cmpx_gt_i64_e64 s[8:9], v[1:2]
	s_cbranch_execz .LBB61_4
; %bb.2:
	s_load_b32 s2, s[0:1], 0xbfc
	v_lshlrev_b32_e32 v3, 4, v0
	s_waitcnt lgkmcnt(0)
	s_and_b32 s3, s2, 0xffff
	v_cmp_eq_f32_e64 s2, s16, 1.0
	v_add_lshl_u32 v1, v0, s3, 2
	s_lshl_b32 s26, s3, 2
	s_lshl_b32 s27, s3, 4
.LBB61_3:                               ; =>This Inner Loop Header: Depth=1
	v_add_co_u32 v4, s3, s20, v3
	s_delay_alu instid0(VALU_DEP_1) | instskip(SKIP_1) | instid1(VALU_DEP_1)
	v_add_co_ci_u32_e64 v5, null, s21, 0, s3
	v_add_co_u32 v8, s3, s18, v3
	v_add_co_ci_u32_e64 v9, null, s19, 0, s3
	global_load_b128 v[4:7], v[4:5], off
	v_cmp_le_i64_e32 vcc_lo, s[8:9], v[1:2]
	v_cmp_lt_u64_e64 s3, 0xffff, v[1:2]
	global_load_b128 v[8:11], v[8:9], off
	v_add_co_u32 v12, s4, s22, v3
	s_delay_alu instid0(VALU_DEP_1) | instskip(SKIP_2) | instid1(VALU_DEP_1)
	v_add_co_ci_u32_e64 v13, null, s23, 0, s4
	s_or_b32 s28, vcc_lo, s3
	v_add_co_u32 v1, s4, v1, s26
	v_add_co_ci_u32_e64 v2, s4, 0, v2, s4
	s_add_u32 s18, s18, s27
	s_addc_u32 s19, s19, 0
	s_add_u32 s22, s22, s27
	s_addc_u32 s23, s23, 0
	;; [unrolled: 2-line block ×3, first 2 shown]
	s_waitcnt vmcnt(1)
	v_div_scale_f32 v14, null, v4, v4, s17
	v_div_scale_f32 v16, null, v5, v5, s17
	;; [unrolled: 1-line block ×3, first 2 shown]
	s_delay_alu instid0(VALU_DEP_3) | instskip(SKIP_1) | instid1(VALU_DEP_3)
	v_rcp_f32_e32 v22, v14
	v_div_scale_f32 v20, null, v7, v7, s17
	v_rcp_f32_e32 v23, v16
	s_delay_alu instid0(VALU_DEP_2) | instskip(SKIP_1) | instid1(VALU_DEP_2)
	v_rcp_f32_e32 v24, v18
	v_div_scale_f32 v15, vcc_lo, s17, v4, s17
	v_rcp_f32_e32 v25, v20
	v_div_scale_f32 v17, s3, s17, v5, s17
	v_fma_f32 v26, -v14, v22, 1.0
	v_div_scale_f32 v19, s4, s17, v6, s17
	s_delay_alu instid0(TRANS32_DEP_3) | instskip(NEXT) | instid1(TRANS32_DEP_2)
	v_fma_f32 v27, -v16, v23, 1.0
	v_fma_f32 v28, -v18, v24, 1.0
	s_delay_alu instid0(VALU_DEP_4) | instskip(SKIP_1) | instid1(VALU_DEP_4)
	v_fmac_f32_e32 v22, v26, v22
	v_div_scale_f32 v21, s5, s17, v7, s17
	v_fmac_f32_e32 v23, v27, v23
	s_delay_alu instid0(TRANS32_DEP_1) | instskip(SKIP_1) | instid1(VALU_DEP_3)
	v_fma_f32 v29, -v20, v25, 1.0
	v_fmac_f32_e32 v24, v28, v24
	v_dual_mul_f32 v26, v15, v22 :: v_dual_mul_f32 v27, v17, v23
	s_delay_alu instid0(VALU_DEP_2) | instskip(NEXT) | instid1(VALU_DEP_2)
	v_dual_fmac_f32 v25, v29, v25 :: v_dual_mul_f32 v28, v19, v24
	v_fma_f32 v30, -v14, v26, v15
	s_delay_alu instid0(VALU_DEP_3) | instskip(NEXT) | instid1(VALU_DEP_3)
	v_fma_f32 v31, -v16, v27, v17
	v_mul_f32_e32 v29, v21, v25
	s_delay_alu instid0(VALU_DEP_4) | instskip(NEXT) | instid1(VALU_DEP_3)
	v_fma_f32 v32, -v18, v28, v19
	v_dual_fmac_f32 v26, v30, v22 :: v_dual_fmac_f32 v27, v31, v23
	s_delay_alu instid0(VALU_DEP_3) | instskip(NEXT) | instid1(VALU_DEP_3)
	v_fma_f32 v33, -v20, v29, v21
	v_fmac_f32_e32 v28, v32, v24
	s_delay_alu instid0(VALU_DEP_3) | instskip(NEXT) | instid1(VALU_DEP_4)
	v_fma_f32 v14, -v14, v26, v15
	v_fma_f32 v15, -v16, v27, v17
	s_delay_alu instid0(VALU_DEP_4) | instskip(NEXT) | instid1(VALU_DEP_4)
	v_fmac_f32_e32 v29, v33, v25
	v_fma_f32 v16, -v18, v28, v19
	s_delay_alu instid0(VALU_DEP_4)
	v_div_fmas_f32 v14, v14, v22, v26
	s_mov_b32 vcc_lo, s3
	s_and_b32 s3, exec_lo, s28
	v_fma_f32 v17, -v20, v29, v21
	v_div_fmas_f32 v15, v15, v23, v27
	s_mov_b32 vcc_lo, s4
	v_div_fixup_f32 v4, v14, v4, s17
	v_div_fmas_f32 v16, v16, v24, v28
	s_mov_b32 vcc_lo, s5
	v_div_fixup_f32 v5, v15, v5, s17
	v_div_fmas_f32 v14, v17, v25, v29
	s_waitcnt vmcnt(0)
	v_add_f32_e32 v15, v8, v4
	v_div_fixup_f32 v6, v16, v6, s17
	v_fma_f32 v4, s16, v4, v8
	v_add_f32_e32 v8, v9, v5
	v_div_fixup_f32 v7, v14, v7, s17
	v_fma_f32 v5, s16, v5, v9
	v_add_f32_e32 v9, v10, v6
	v_fma_f32 v6, s16, v6, v10
	v_cndmask_b32_e64 v4, v4, v15, s2
	v_add_f32_e32 v10, v11, v7
	v_fmac_f32_e32 v11, s16, v7
	v_cndmask_b32_e64 v5, v5, v8, s2
	v_cndmask_b32_e64 v6, v6, v9, s2
	s_or_b32 s25, s3, s25
	s_delay_alu instid0(VALU_DEP_3)
	v_cndmask_b32_e64 v7, v11, v10, s2
	global_store_b128 v[12:13], v[4:7], off
	s_and_not1_b32 exec_lo, exec_lo, s25
	s_cbranch_execnz .LBB61_3
.LBB61_4:
	s_or_b32 exec_lo, exec_lo, s24
	s_mov_b32 s2, 0
.LBB61_5:
	s_delay_alu instid0(SALU_CYCLE_1)
	s_and_not1_b32 vcc_lo, exec_lo, s2
	s_cbranch_vccnz .LBB61_25
; %bb.6:
	v_cmp_lt_i64_e64 s2, s[8:9], 1
	s_delay_alu instid0(VALU_DEP_1)
	s_and_b32 vcc_lo, exec_lo, s2
	s_cbranch_vccnz .LBB61_25
; %bb.7:
	s_load_b32 s1, s[0:1], 0xbfc
	v_dual_mov_b32 v1, 0 :: v_dual_lshlrev_b32 v2, 2, v0
	v_cmp_gt_u64_e64 s2, 0x10000, s[8:9]
	v_cmp_eq_f32_e64 s0, s16, 1.0
	s_mov_b32 s3, 0
	s_delay_alu instid0(VALU_DEP_3) | instskip(SKIP_1) | instid1(VALU_DEP_1)
	v_mov_b32_e32 v3, v1
	v_add_co_u32 v8, s4, s10, v2
	v_add_co_ci_u32_e64 v9, null, s11, 0, s4
	v_add_co_u32 v10, s4, s12, v2
	s_delay_alu instid0(VALU_DEP_1)
	v_add_co_ci_u32_e64 v11, null, s13, 0, s4
	s_waitcnt lgkmcnt(0)
	s_and_b32 s18, s1, 0xffff
	v_add_co_u32 v12, s1, s14, v2
	v_mad_u64_u32 v[4:5], null, s18, 12, v[2:3]
	v_add_co_ci_u32_e64 v13, null, s15, 0, s1
	s_and_b32 s1, s2, exec_lo
	s_cselect_b32 s5, s9, 0
	s_cselect_b32 s4, s8, 0x10000
	s_lshl_b32 s1, s18, 3
	s_delay_alu instid0(VALU_DEP_2) | instskip(NEXT) | instid1(VALU_DEP_3)
	v_add_co_u32 v14, vcc_lo, s10, v4
	v_add_co_ci_u32_e32 v15, vcc_lo, s11, v5, vcc_lo
	v_add_co_u32 v16, vcc_lo, s12, v4
	v_add_co_u32 v2, s1, s1, v2
	v_add_co_ci_u32_e32 v17, vcc_lo, s13, v5, vcc_lo
	v_add_co_ci_u32_e64 v3, null, 0, 0, s1
	v_add_co_u32 v18, vcc_lo, s14, v4
	v_add_lshl_u32 v4, v0, s18, 2
	v_add_co_ci_u32_e32 v19, vcc_lo, s15, v5, vcc_lo
	v_add_co_u32 v20, vcc_lo, s10, v2
	v_add_co_ci_u32_e32 v21, vcc_lo, s11, v3, vcc_lo
	s_delay_alu instid0(VALU_DEP_4)
	v_add_co_u32 v26, s1, s10, v4
	v_add_co_u32 v22, vcc_lo, s12, v2
	v_add_co_ci_u32_e64 v27, null, s11, 0, s1
	v_add_co_u32 v28, s1, s12, v4
	v_add_co_ci_u32_e32 v23, vcc_lo, s13, v3, vcc_lo
	v_add_co_u32 v24, vcc_lo, s14, v2
	v_add_co_ci_u32_e64 v29, null, s13, 0, s1
	v_add_co_u32 v30, s1, s14, v4
	v_add_co_ci_u32_e32 v25, vcc_lo, s15, v3, vcc_lo
	v_add_co_ci_u32_e64 v31, null, s15, 0, s1
	s_lshl_b32 s2, s18, 2
	s_lshl_b32 s19, s18, 1
	s_mul_i32 s20, s18, 3
	s_lshl_b32 s12, s18, 4
	s_mov_b64 s[10:11], s[2:3]
	s_branch .LBB61_9
.LBB61_8:                               ;   in Loop: Header=BB61_9 Depth=1
	s_or_b32 exec_lo, exec_lo, s1
	v_add_co_u32 v8, vcc_lo, v8, s12
	v_add_co_ci_u32_e32 v9, vcc_lo, 0, v9, vcc_lo
	v_add_co_u32 v10, vcc_lo, v10, s12
	v_add_co_ci_u32_e32 v11, vcc_lo, 0, v11, vcc_lo
	;; [unrolled: 2-line block ×11, first 2 shown]
	v_cmp_ge_i64_e64 s1, s[10:11], s[8:9]
	v_cmp_lt_u64_e64 s3, 0xffff, s[10:11]
	v_add_co_u32 v28, vcc_lo, v28, s12
	v_add_co_ci_u32_e32 v29, vcc_lo, 0, v29, vcc_lo
	v_add_co_u32 v30, vcc_lo, v30, s12
	v_add_co_ci_u32_e32 v31, vcc_lo, 0, v31, vcc_lo
	s_or_b32 s1, s1, s3
	s_add_u32 s10, s10, s2
	s_addc_u32 s11, s11, 0
	s_and_b32 vcc_lo, exec_lo, s1
	s_cbranch_vccnz .LBB61_25
.LBB61_9:                               ; =>This Inner Loop Header: Depth=1
	v_cmp_gt_i64_e32 vcc_lo, s[8:9], v[0:1]
	v_cmp_gt_u64_e64 s1, 0x10000, v[0:1]
	s_waitcnt vmcnt(0)
	v_dual_mov_b32 v38, 0 :: v_dual_mov_b32 v35, 0
	s_delay_alu instid0(VALU_DEP_2) | instskip(NEXT) | instid1(SALU_CYCLE_1)
	s_and_b32 s3, vcc_lo, s1
	s_and_saveexec_b32 s1, s3
	s_cbranch_execz .LBB61_11
; %bb.10:                               ;   in Loop: Header=BB61_9 Depth=1
	v_add_co_u32 v2, vcc_lo, v8, s6
	v_add_co_ci_u32_e32 v3, vcc_lo, s7, v9, vcc_lo
	v_add_co_u32 v4, vcc_lo, v10, s6
	v_add_co_ci_u32_e32 v5, vcc_lo, s7, v11, vcc_lo
	global_load_b32 v35, v[2:3], off
	global_load_b32 v38, v[4:5], off
.LBB61_11:                              ;   in Loop: Header=BB61_9 Depth=1
	s_or_b32 exec_lo, exec_lo, s1
	v_add_co_u32 v4, vcc_lo, s18, v0
	v_add_co_ci_u32_e32 v5, vcc_lo, 0, v1, vcc_lo
	v_dual_mov_b32 v32, 0 :: v_dual_mov_b32 v39, 0
	v_mov_b32_e32 v36, 0
	s_delay_alu instid0(VALU_DEP_3) | instskip(SKIP_1) | instid1(VALU_DEP_1)
	v_cmp_gt_i64_e32 vcc_lo, s[8:9], v[4:5]
	v_cmp_gt_u64_e64 s1, 0x10000, v[4:5]
	s_and_b32 s3, vcc_lo, s1
	s_delay_alu instid0(SALU_CYCLE_1)
	s_and_saveexec_b32 s1, s3
	s_cbranch_execz .LBB61_13
; %bb.12:                               ;   in Loop: Header=BB61_9 Depth=1
	v_add_co_u32 v2, vcc_lo, v26, s6
	v_add_co_ci_u32_e32 v3, vcc_lo, s7, v27, vcc_lo
	v_add_co_u32 v6, vcc_lo, v28, s6
	v_add_co_ci_u32_e32 v7, vcc_lo, s7, v29, vcc_lo
	global_load_b32 v36, v[2:3], off
	global_load_b32 v39, v[6:7], off
.LBB61_13:                              ;   in Loop: Header=BB61_9 Depth=1
	s_or_b32 exec_lo, exec_lo, s1
	v_add_co_u32 v6, vcc_lo, s19, v0
	v_add_co_ci_u32_e32 v7, vcc_lo, 0, v1, vcc_lo
	v_mov_b32_e32 v33, 0
	s_delay_alu instid0(VALU_DEP_2) | instskip(SKIP_1) | instid1(VALU_DEP_1)
	v_cmp_gt_i64_e32 vcc_lo, s[8:9], v[6:7]
	v_cmp_gt_u64_e64 s1, 0x10000, v[6:7]
	s_and_b32 s3, vcc_lo, s1
	s_delay_alu instid0(SALU_CYCLE_1)
	s_and_saveexec_b32 s1, s3
	s_cbranch_execz .LBB61_15
; %bb.14:                               ;   in Loop: Header=BB61_9 Depth=1
	v_add_co_u32 v2, vcc_lo, v20, s6
	v_add_co_ci_u32_e32 v3, vcc_lo, s7, v21, vcc_lo
	v_add_co_u32 v40, vcc_lo, v22, s6
	v_add_co_ci_u32_e32 v41, vcc_lo, s7, v23, vcc_lo
	global_load_b32 v33, v[2:3], off
	global_load_b32 v32, v[40:41], off
.LBB61_15:                              ;   in Loop: Header=BB61_9 Depth=1
	s_or_b32 exec_lo, exec_lo, s1
	v_add_co_u32 v2, vcc_lo, s20, v0
	v_add_co_ci_u32_e32 v3, vcc_lo, 0, v1, vcc_lo
	v_dual_mov_b32 v37, 0 :: v_dual_mov_b32 v34, 0
	s_delay_alu instid0(VALU_DEP_2) | instskip(SKIP_1) | instid1(VALU_DEP_1)
	v_cmp_gt_i64_e32 vcc_lo, s[8:9], v[2:3]
	v_cmp_gt_u64_e64 s1, 0x10000, v[2:3]
	s_and_b32 s3, vcc_lo, s1
	s_delay_alu instid0(SALU_CYCLE_1)
	s_and_saveexec_b32 s1, s3
	s_cbranch_execnz .LBB61_20
; %bb.16:                               ;   in Loop: Header=BB61_9 Depth=1
	s_or_b32 exec_lo, exec_lo, s1
	s_delay_alu instid0(SALU_CYCLE_1)
	s_mov_b32 s1, exec_lo
	v_cmpx_gt_u64_e64 s[4:5], v[0:1]
	s_cbranch_execnz .LBB61_21
.LBB61_17:                              ;   in Loop: Header=BB61_9 Depth=1
	s_or_b32 exec_lo, exec_lo, s1
	s_delay_alu instid0(SALU_CYCLE_1)
	s_mov_b32 s1, exec_lo
	v_cmpx_gt_u64_e64 s[4:5], v[4:5]
	s_cbranch_execnz .LBB61_22
.LBB61_18:                              ;   in Loop: Header=BB61_9 Depth=1
	s_or_b32 exec_lo, exec_lo, s1
	s_delay_alu instid0(SALU_CYCLE_1)
	s_mov_b32 s1, exec_lo
	v_cmpx_gt_u64_e64 s[4:5], v[6:7]
	s_cbranch_execnz .LBB61_23
.LBB61_19:                              ;   in Loop: Header=BB61_9 Depth=1
	s_or_b32 exec_lo, exec_lo, s1
	s_delay_alu instid0(SALU_CYCLE_1)
	s_mov_b32 s1, exec_lo
	v_cmpx_gt_u64_e64 s[4:5], v[2:3]
	s_cbranch_execz .LBB61_8
	s_branch .LBB61_24
.LBB61_20:                              ;   in Loop: Header=BB61_9 Depth=1
	v_add_co_u32 v40, vcc_lo, v14, s6
	v_add_co_ci_u32_e32 v41, vcc_lo, s7, v15, vcc_lo
	v_add_co_u32 v42, vcc_lo, v16, s6
	v_add_co_ci_u32_e32 v43, vcc_lo, s7, v17, vcc_lo
	global_load_b32 v34, v[40:41], off
	global_load_b32 v37, v[42:43], off
	s_or_b32 exec_lo, exec_lo, s1
	s_delay_alu instid0(SALU_CYCLE_1)
	s_mov_b32 s1, exec_lo
	v_cmpx_gt_u64_e64 s[4:5], v[0:1]
	s_cbranch_execz .LBB61_17
.LBB61_21:                              ;   in Loop: Header=BB61_9 Depth=1
	s_waitcnt vmcnt(0)
	v_div_scale_f32 v40, null, v38, v38, s17
	v_div_scale_f32 v43, vcc_lo, s17, v38, s17
	s_delay_alu instid0(VALU_DEP_2) | instskip(SKIP_2) | instid1(VALU_DEP_1)
	v_rcp_f32_e32 v41, v40
	s_waitcnt_depctr 0xfff
	v_fma_f32 v42, -v40, v41, 1.0
	v_fmac_f32_e32 v41, v42, v41
	s_delay_alu instid0(VALU_DEP_1) | instskip(NEXT) | instid1(VALU_DEP_1)
	v_mul_f32_e32 v42, v43, v41
	v_fma_f32 v44, -v40, v42, v43
	s_delay_alu instid0(VALU_DEP_1) | instskip(NEXT) | instid1(VALU_DEP_1)
	v_fmac_f32_e32 v42, v44, v41
	v_fma_f32 v40, -v40, v42, v43
	s_delay_alu instid0(VALU_DEP_1) | instskip(NEXT) | instid1(VALU_DEP_1)
	v_div_fmas_f32 v40, v40, v41, v42
	v_div_fixup_f32 v38, v40, v38, s17
	s_delay_alu instid0(VALU_DEP_1) | instskip(SKIP_1) | instid1(VALU_DEP_1)
	v_add_f32_e32 v40, v35, v38
	v_fmac_f32_e32 v35, s16, v38
	v_cndmask_b32_e64 v35, v35, v40, s0
	v_add_co_u32 v40, vcc_lo, v12, s6
	v_add_co_ci_u32_e32 v41, vcc_lo, s7, v13, vcc_lo
	global_store_b32 v[40:41], v35, off
	s_or_b32 exec_lo, exec_lo, s1
	s_delay_alu instid0(SALU_CYCLE_1)
	s_mov_b32 s1, exec_lo
	v_cmpx_gt_u64_e64 s[4:5], v[4:5]
	s_cbranch_execz .LBB61_18
.LBB61_22:                              ;   in Loop: Header=BB61_9 Depth=1
	s_waitcnt vmcnt(0)
	v_div_scale_f32 v4, null, v39, v39, s17
	v_div_scale_f32 v38, vcc_lo, s17, v39, s17
	s_delay_alu instid0(VALU_DEP_2) | instskip(SKIP_2) | instid1(VALU_DEP_1)
	v_rcp_f32_e32 v5, v4
	s_waitcnt_depctr 0xfff
	v_fma_f32 v35, -v4, v5, 1.0
	v_fmac_f32_e32 v5, v35, v5
	s_delay_alu instid0(VALU_DEP_1) | instskip(NEXT) | instid1(VALU_DEP_1)
	v_mul_f32_e32 v35, v38, v5
	v_fma_f32 v40, -v4, v35, v38
	s_delay_alu instid0(VALU_DEP_1) | instskip(NEXT) | instid1(VALU_DEP_1)
	v_fmac_f32_e32 v35, v40, v5
	v_fma_f32 v4, -v4, v35, v38
	s_delay_alu instid0(VALU_DEP_1) | instskip(NEXT) | instid1(VALU_DEP_1)
	v_div_fmas_f32 v4, v4, v5, v35
	v_div_fixup_f32 v4, v4, v39, s17
	s_delay_alu instid0(VALU_DEP_1) | instskip(SKIP_2) | instid1(VALU_DEP_2)
	v_add_f32_e32 v5, v36, v4
	v_fmac_f32_e32 v36, s16, v4
	v_add_co_u32 v4, vcc_lo, v30, s6
	v_cndmask_b32_e64 v35, v36, v5, s0
	v_add_co_ci_u32_e32 v5, vcc_lo, s7, v31, vcc_lo
	global_store_b32 v[4:5], v35, off
	s_or_b32 exec_lo, exec_lo, s1
	s_delay_alu instid0(SALU_CYCLE_1)
	s_mov_b32 s1, exec_lo
	v_cmpx_gt_u64_e64 s[4:5], v[6:7]
	s_cbranch_execz .LBB61_19
.LBB61_23:                              ;   in Loop: Header=BB61_9 Depth=1
	s_waitcnt vmcnt(0)
	v_div_scale_f32 v4, null, v32, v32, s17
	v_div_scale_f32 v7, vcc_lo, s17, v32, s17
	s_delay_alu instid0(VALU_DEP_2) | instskip(SKIP_2) | instid1(VALU_DEP_1)
	v_rcp_f32_e32 v5, v4
	s_waitcnt_depctr 0xfff
	v_fma_f32 v6, -v4, v5, 1.0
	v_fmac_f32_e32 v5, v6, v5
	s_delay_alu instid0(VALU_DEP_1) | instskip(NEXT) | instid1(VALU_DEP_1)
	v_mul_f32_e32 v6, v7, v5
	v_fma_f32 v35, -v4, v6, v7
	s_delay_alu instid0(VALU_DEP_1) | instskip(NEXT) | instid1(VALU_DEP_1)
	v_fmac_f32_e32 v6, v35, v5
	v_fma_f32 v4, -v4, v6, v7
	s_delay_alu instid0(VALU_DEP_1) | instskip(NEXT) | instid1(VALU_DEP_1)
	v_div_fmas_f32 v4, v4, v5, v6
	v_div_fixup_f32 v4, v4, v32, s17
	s_delay_alu instid0(VALU_DEP_1) | instskip(SKIP_2) | instid1(VALU_DEP_2)
	v_add_f32_e32 v5, v33, v4
	v_fmac_f32_e32 v33, s16, v4
	v_add_co_u32 v4, vcc_lo, v24, s6
	v_cndmask_b32_e64 v6, v33, v5, s0
	v_add_co_ci_u32_e32 v5, vcc_lo, s7, v25, vcc_lo
	global_store_b32 v[4:5], v6, off
	s_or_b32 exec_lo, exec_lo, s1
	s_delay_alu instid0(SALU_CYCLE_1)
	s_mov_b32 s1, exec_lo
	v_cmpx_gt_u64_e64 s[4:5], v[2:3]
	s_cbranch_execz .LBB61_8
.LBB61_24:                              ;   in Loop: Header=BB61_9 Depth=1
	s_waitcnt vmcnt(0)
	v_div_scale_f32 v2, null, v37, v37, s17
	v_div_scale_f32 v5, vcc_lo, s17, v37, s17
	s_delay_alu instid0(VALU_DEP_2) | instskip(SKIP_2) | instid1(VALU_DEP_1)
	v_rcp_f32_e32 v3, v2
	s_waitcnt_depctr 0xfff
	v_fma_f32 v4, -v2, v3, 1.0
	v_fmac_f32_e32 v3, v4, v3
	s_delay_alu instid0(VALU_DEP_1) | instskip(NEXT) | instid1(VALU_DEP_1)
	v_mul_f32_e32 v4, v5, v3
	v_fma_f32 v6, -v2, v4, v5
	s_delay_alu instid0(VALU_DEP_1) | instskip(NEXT) | instid1(VALU_DEP_1)
	v_fmac_f32_e32 v4, v6, v3
	v_fma_f32 v2, -v2, v4, v5
	s_delay_alu instid0(VALU_DEP_1) | instskip(NEXT) | instid1(VALU_DEP_1)
	v_div_fmas_f32 v2, v2, v3, v4
	v_div_fixup_f32 v2, v2, v37, s17
	s_delay_alu instid0(VALU_DEP_1) | instskip(SKIP_2) | instid1(VALU_DEP_2)
	v_add_f32_e32 v3, v34, v2
	v_fmac_f32_e32 v34, s16, v2
	v_add_co_u32 v2, vcc_lo, v18, s6
	v_cndmask_b32_e64 v4, v34, v3, s0
	v_add_co_ci_u32_e32 v3, vcc_lo, s7, v19, vcc_lo
	global_store_b32 v[2:3], v4, off
	s_branch .LBB61_8
.LBB61_25:
	s_nop 0
	s_sendmsg sendmsg(MSG_DEALLOC_VGPRS)
	s_endpgm
	.section	.rodata,"a",@progbits
	.p2align	6, 0x0
	.amdhsa_kernel _ZN2at6native12_GLOBAL__N_125multi_tensor_apply_kernelINS1_18TensorListMetadataILi4EEENS1_32PointwiseOpScalar0dTensorFunctorIfLi4ELi2ELi3EEEJSt7dividesIfEfEEEvT_T0_DpT1_
		.amdhsa_group_segment_fixed_size 0
		.amdhsa_private_segment_fixed_size 0
		.amdhsa_kernarg_size 3312
		.amdhsa_user_sgpr_count 15
		.amdhsa_user_sgpr_dispatch_ptr 0
		.amdhsa_user_sgpr_queue_ptr 0
		.amdhsa_user_sgpr_kernarg_segment_ptr 1
		.amdhsa_user_sgpr_dispatch_id 0
		.amdhsa_user_sgpr_private_segment_size 0
		.amdhsa_wavefront_size32 1
		.amdhsa_uses_dynamic_stack 0
		.amdhsa_enable_private_segment 0
		.amdhsa_system_sgpr_workgroup_id_x 1
		.amdhsa_system_sgpr_workgroup_id_y 0
		.amdhsa_system_sgpr_workgroup_id_z 0
		.amdhsa_system_sgpr_workgroup_info 0
		.amdhsa_system_vgpr_workitem_id 0
		.amdhsa_next_free_vgpr 45
		.amdhsa_next_free_sgpr 31
		.amdhsa_reserve_vcc 1
		.amdhsa_float_round_mode_32 0
		.amdhsa_float_round_mode_16_64 0
		.amdhsa_float_denorm_mode_32 3
		.amdhsa_float_denorm_mode_16_64 3
		.amdhsa_dx10_clamp 1
		.amdhsa_ieee_mode 1
		.amdhsa_fp16_overflow 0
		.amdhsa_workgroup_processor_mode 1
		.amdhsa_memory_ordered 1
		.amdhsa_forward_progress 0
		.amdhsa_shared_vgpr_count 0
		.amdhsa_exception_fp_ieee_invalid_op 0
		.amdhsa_exception_fp_denorm_src 0
		.amdhsa_exception_fp_ieee_div_zero 0
		.amdhsa_exception_fp_ieee_overflow 0
		.amdhsa_exception_fp_ieee_underflow 0
		.amdhsa_exception_fp_ieee_inexact 0
		.amdhsa_exception_int_div_zero 0
	.end_amdhsa_kernel
	.section	.text._ZN2at6native12_GLOBAL__N_125multi_tensor_apply_kernelINS1_18TensorListMetadataILi4EEENS1_32PointwiseOpScalar0dTensorFunctorIfLi4ELi2ELi3EEEJSt7dividesIfEfEEEvT_T0_DpT1_,"axG",@progbits,_ZN2at6native12_GLOBAL__N_125multi_tensor_apply_kernelINS1_18TensorListMetadataILi4EEENS1_32PointwiseOpScalar0dTensorFunctorIfLi4ELi2ELi3EEEJSt7dividesIfEfEEEvT_T0_DpT1_,comdat
.Lfunc_end61:
	.size	_ZN2at6native12_GLOBAL__N_125multi_tensor_apply_kernelINS1_18TensorListMetadataILi4EEENS1_32PointwiseOpScalar0dTensorFunctorIfLi4ELi2ELi3EEEJSt7dividesIfEfEEEvT_T0_DpT1_, .Lfunc_end61-_ZN2at6native12_GLOBAL__N_125multi_tensor_apply_kernelINS1_18TensorListMetadataILi4EEENS1_32PointwiseOpScalar0dTensorFunctorIfLi4ELi2ELi3EEEJSt7dividesIfEfEEEvT_T0_DpT1_
                                        ; -- End function
	.section	.AMDGPU.csdata,"",@progbits
; Kernel info:
; codeLenInByte = 2632
; NumSgprs: 33
; NumVgprs: 45
; ScratchSize: 0
; MemoryBound: 0
; FloatMode: 240
; IeeeMode: 1
; LDSByteSize: 0 bytes/workgroup (compile time only)
; SGPRBlocks: 4
; VGPRBlocks: 5
; NumSGPRsForWavesPerEU: 33
; NumVGPRsForWavesPerEU: 45
; Occupancy: 16
; WaveLimiterHint : 0
; COMPUTE_PGM_RSRC2:SCRATCH_EN: 0
; COMPUTE_PGM_RSRC2:USER_SGPR: 15
; COMPUTE_PGM_RSRC2:TRAP_HANDLER: 0
; COMPUTE_PGM_RSRC2:TGID_X_EN: 1
; COMPUTE_PGM_RSRC2:TGID_Y_EN: 0
; COMPUTE_PGM_RSRC2:TGID_Z_EN: 0
; COMPUTE_PGM_RSRC2:TIDIG_COMP_CNT: 0
	.section	.text._ZN2at6native12_GLOBAL__N_125multi_tensor_apply_kernelINS1_18TensorListMetadataILi4EEENS1_32PointwiseOpScalar0dTensorFunctorIN3c107complexIdEELi4ELi2ELi3EEEJSt7dividesIS8_ES8_EEEvT_T0_DpT1_,"axG",@progbits,_ZN2at6native12_GLOBAL__N_125multi_tensor_apply_kernelINS1_18TensorListMetadataILi4EEENS1_32PointwiseOpScalar0dTensorFunctorIN3c107complexIdEELi4ELi2ELi3EEEJSt7dividesIS8_ES8_EEEvT_T0_DpT1_,comdat
	.globl	_ZN2at6native12_GLOBAL__N_125multi_tensor_apply_kernelINS1_18TensorListMetadataILi4EEENS1_32PointwiseOpScalar0dTensorFunctorIN3c107complexIdEELi4ELi2ELi3EEEJSt7dividesIS8_ES8_EEEvT_T0_DpT1_ ; -- Begin function _ZN2at6native12_GLOBAL__N_125multi_tensor_apply_kernelINS1_18TensorListMetadataILi4EEENS1_32PointwiseOpScalar0dTensorFunctorIN3c107complexIdEELi4ELi2ELi3EEEJSt7dividesIS8_ES8_EEEvT_T0_DpT1_
	.p2align	8
	.type	_ZN2at6native12_GLOBAL__N_125multi_tensor_apply_kernelINS1_18TensorListMetadataILi4EEENS1_32PointwiseOpScalar0dTensorFunctorIN3c107complexIdEELi4ELi2ELi3EEEJSt7dividesIS8_ES8_EEEvT_T0_DpT1_,@function
_ZN2at6native12_GLOBAL__N_125multi_tensor_apply_kernelINS1_18TensorListMetadataILi4EEENS1_32PointwiseOpScalar0dTensorFunctorIN3c107complexIdEELi4ELi2ELi3EEEJSt7dividesIS8_ES8_EEEvT_T0_DpT1_: ; @_ZN2at6native12_GLOBAL__N_125multi_tensor_apply_kernelINS1_18TensorListMetadataILi4EEENS1_32PointwiseOpScalar0dTensorFunctorIN3c107complexIdEELi4ELi2ELi3EEEJSt7dividesIS8_ES8_EEEvT_T0_DpT1_
; %bb.0:
	v_mov_b32_e32 v1, s15
	s_add_u32 s2, s0, s15
	s_mul_hi_u32 s3, s15, 3
	s_mul_i32 s15, s15, 3
	s_addc_u32 s4, s1, 0
	global_load_u8 v1, v1, s[0:1] offset:1440
	s_add_u32 s2, s2, s15
	s_addc_u32 s3, s4, s3
	s_mov_b32 s29, 0
	s_load_b32 s2, s[2:3], 0x6e0
	s_mov_b32 s31, s29
	s_waitcnt vmcnt(0)
	v_readfirstlane_b32 s3, v1
	s_delay_alu instid0(VALU_DEP_1)
	s_lshl_b32 s4, s3, 3
	s_waitcnt lgkmcnt(0)
	s_ashr_i32 s3, s2, 31
	s_clause 0x3
	s_load_b64 s[18:19], s[0:1], s4 offset:0x0
	s_load_b64 s[8:9], s[0:1], s4 offset:0x120
	;; [unrolled: 1-line block ×4, first 2 shown]
	s_lshl_b64 s[12:13], s[2:3], 20
	s_load_b64 s[10:11], s[0:1], s4 offset:0x480
	s_waitcnt lgkmcnt(0)
	s_add_u32 s16, s18, s12
	s_addc_u32 s17, s19, s13
	s_add_u32 s5, s8, s12
	s_delay_alu instid0(SALU_CYCLE_1)
	s_and_b32 s28, s5, 63
	s_add_u32 s24, s20, s12
	s_addc_u32 s25, s21, s13
	s_add_u32 s26, s22, s12
	s_addc_u32 s27, s23, s13
	s_or_b32 s4, s26, s24
	s_delay_alu instid0(SALU_CYCLE_1) | instskip(NEXT) | instid1(SALU_CYCLE_1)
	s_and_b32 s4, s4, 63
	s_cmp_lg_u32 s4, 0
	s_load_b128 s[4:7], s[0:1], 0xbf0
	s_cselect_b32 s14, -1, 0
	s_lshl_b64 s[2:3], s[2:3], 16
	s_and_b32 s30, s16, 63
	s_cmp_lg_u64 s[28:29], 0
	s_cselect_b32 s15, -1, 0
	s_delay_alu instid0(SALU_CYCLE_1)
	s_or_b32 s33, s14, s15
	s_sub_u32 s14, s10, s2
	s_subb_u32 s15, s11, s3
	s_and_b32 s28, s10, 3
	s_load_b128 s[8:11], s[8:9], 0x0
	s_or_b64 s[2:3], s[30:31], s[28:29]
	s_delay_alu instid0(SALU_CYCLE_1) | instskip(SKIP_1) | instid1(SALU_CYCLE_1)
	s_cmp_lg_u64 s[2:3], 0
	s_cselect_b32 s2, -1, 0
	s_or_b32 s2, s33, s2
	s_delay_alu instid0(SALU_CYCLE_1)
	s_and_not1_b32 vcc_lo, exec_lo, s2
	s_mov_b32 s2, -1
	s_cbranch_vccz .LBB62_85
; %bb.1:
	v_dual_mov_b32 v34, 0 :: v_dual_lshlrev_b32 v33, 2, v0
	s_mov_b32 s28, exec_lo
	s_delay_alu instid0(VALU_DEP_1)
	v_cmpx_gt_i64_e64 s[14:15], v[33:34]
	s_cbranch_execz .LBB62_84
; %bb.2:
	s_waitcnt lgkmcnt(0)
	v_cmp_neq_f64_e64 s2, s[4:5], 1.0
	v_cmp_neq_f64_e64 s3, s[6:7], 0
	s_load_b32 s30, s[0:1], 0xc0c
	v_lshlrev_b32_e32 v43, 6, v0
	s_waitcnt lgkmcnt(0)
	s_and_b32 s33, s30, 0xffff
	s_delay_alu instid0(SALU_CYCLE_1) | instskip(SKIP_2) | instid1(VALU_DEP_3)
	v_add_lshl_u32 v33, v0, s33, 2
	s_lshl_b32 s30, s33, 2
	s_lshl_b32 s33, s33, 6
	s_or_b32 s31, s2, s3
	s_branch .LBB62_5
.LBB62_3:                               ;   in Loop: Header=BB62_5 Depth=1
	s_or_b32 exec_lo, exec_lo, s2
.LBB62_4:                               ;   in Loop: Header=BB62_5 Depth=1
	v_add_f64 v[11:12], v[11:12], v[37:38]
	v_add_f64 v[9:10], v[9:10], v[35:36]
	;; [unrolled: 1-line block ×8, first 2 shown]
	v_cmp_le_i64_e32 vcc_lo, s[14:15], v[33:34]
	v_cmp_lt_u64_e64 s2, 0xffff, v[33:34]
	v_add_co_u32 v17, s3, s26, v43
	s_delay_alu instid0(VALU_DEP_1)
	v_add_co_ci_u32_e64 v18, null, s27, 0, s3
	s_clause 0x3
	global_store_b128 v[17:18], v[9:12], off
	global_store_b128 v[17:18], v[5:8], off offset:16
	global_store_b128 v[17:18], v[13:16], off offset:32
	;; [unrolled: 1-line block ×3, first 2 shown]
	s_or_b32 s2, vcc_lo, s2
	s_add_u32 s16, s16, s33
	s_addc_u32 s17, s17, 0
	s_add_u32 s26, s26, s33
	s_addc_u32 s27, s27, 0
	v_add_co_u32 v33, vcc_lo, v33, s30
	s_add_u32 s24, s24, s33
	s_addc_u32 s25, s25, 0
	v_add_co_ci_u32_e32 v34, vcc_lo, 0, v34, vcc_lo
	s_and_b32 s2, exec_lo, s2
	s_delay_alu instid0(SALU_CYCLE_1) | instskip(NEXT) | instid1(SALU_CYCLE_1)
	s_or_b32 s29, s2, s29
	s_and_not1_b32 exec_lo, exec_lo, s29
	s_cbranch_execz .LBB62_84
.LBB62_5:                               ; =>This Inner Loop Header: Depth=1
	v_add_co_u32 v21, s2, s24, v43
	s_delay_alu instid0(VALU_DEP_1) | instskip(SKIP_1) | instid1(VALU_DEP_1)
	v_add_co_ci_u32_e64 v22, null, s25, 0, s2
	v_add_co_u32 v9, s2, s16, v43
	v_add_co_ci_u32_e64 v10, null, s17, 0, s2
	s_clause 0x1
	global_load_b128 v[29:32], v[21:22], off
	global_load_b128 v[25:28], v[21:22], off offset:16
	s_clause 0x3
	global_load_b128 v[1:4], v[9:10], off offset:48
	global_load_b128 v[13:16], v[9:10], off offset:32
	;; [unrolled: 1-line block ×3, first 2 shown]
	global_load_b128 v[9:12], v[9:10], off
	s_clause 0x1
	global_load_b128 v[17:20], v[21:22], off offset:48
	global_load_b128 v[21:24], v[21:22], off offset:32
	s_waitcnt vmcnt(7)
	v_cmp_gt_f64_e32 vcc_lo, 0, v[29:30]
	v_xor_b32_e32 v35, 0x80000000, v30
	v_mov_b32_e32 v39, v29
	v_xor_b32_e32 v36, 0x80000000, v32
	s_delay_alu instid0(VALU_DEP_3) | instskip(SKIP_1) | instid1(VALU_DEP_3)
	v_dual_mov_b32 v41, v31 :: v_dual_cndmask_b32 v40, v30, v35
	v_cmp_gt_f64_e32 vcc_lo, 0, v[31:32]
	v_cndmask_b32_e32 v42, v32, v36, vcc_lo
	s_and_b32 vcc_lo, exec_lo, s31
	s_delay_alu instid0(VALU_DEP_1)
	v_cmp_ge_f64_e64 s2, v[39:40], v[41:42]
	s_cbranch_vccz .LBB62_15
; %bb.6:                                ;   in Loop: Header=BB62_5 Depth=1
                                        ; implicit-def: $vgpr35_vgpr36
                                        ; implicit-def: $vgpr37_vgpr38
	s_delay_alu instid0(VALU_DEP_1) | instskip(NEXT) | instid1(SALU_CYCLE_1)
	s_and_saveexec_b32 s3, s2
	s_xor_b32 s34, exec_lo, s3
	s_cbranch_execz .LBB62_12
; %bb.7:                                ;   in Loop: Header=BB62_5 Depth=1
	v_cmp_neq_f64_e32 vcc_lo, 0, v[29:30]
	v_cmp_neq_f64_e64 s3, 0, v[31:32]
                                        ; implicit-def: $vgpr35_vgpr36
                                        ; implicit-def: $vgpr37_vgpr38
	s_delay_alu instid0(VALU_DEP_1) | instskip(NEXT) | instid1(SALU_CYCLE_1)
	s_or_b32 s3, vcc_lo, s3
	s_and_saveexec_b32 s35, s3
	s_delay_alu instid0(SALU_CYCLE_1)
	s_xor_b32 s3, exec_lo, s35
	s_cbranch_execz .LBB62_9
; %bb.8:                                ;   in Loop: Header=BB62_5 Depth=1
	v_div_scale_f64 v[35:36], null, v[29:30], v[29:30], v[31:32]
	v_div_scale_f64 v[46:47], vcc_lo, v[31:32], v[29:30], v[31:32]
	s_delay_alu instid0(VALU_DEP_2) | instskip(SKIP_2) | instid1(VALU_DEP_1)
	v_rcp_f64_e32 v[37:38], v[35:36]
	s_waitcnt_depctr 0xfff
	v_fma_f64 v[44:45], -v[35:36], v[37:38], 1.0
	v_fma_f64 v[37:38], v[37:38], v[44:45], v[37:38]
	s_delay_alu instid0(VALU_DEP_1) | instskip(NEXT) | instid1(VALU_DEP_1)
	v_fma_f64 v[44:45], -v[35:36], v[37:38], 1.0
	v_fma_f64 v[37:38], v[37:38], v[44:45], v[37:38]
	s_delay_alu instid0(VALU_DEP_1) | instskip(NEXT) | instid1(VALU_DEP_1)
	v_mul_f64 v[44:45], v[46:47], v[37:38]
	v_fma_f64 v[35:36], -v[35:36], v[44:45], v[46:47]
	s_delay_alu instid0(VALU_DEP_1) | instskip(NEXT) | instid1(VALU_DEP_1)
	v_div_fmas_f64 v[35:36], v[35:36], v[37:38], v[44:45]
	v_div_fixup_f64 v[35:36], v[35:36], v[29:30], v[31:32]
	s_delay_alu instid0(VALU_DEP_1) | instskip(NEXT) | instid1(VALU_DEP_1)
	v_fma_f64 v[37:38], v[31:32], v[35:36], v[29:30]
	v_div_scale_f64 v[44:45], null, v[37:38], v[37:38], 1.0
	v_div_scale_f64 v[50:51], vcc_lo, 1.0, v[37:38], 1.0
	s_delay_alu instid0(VALU_DEP_2) | instskip(SKIP_2) | instid1(VALU_DEP_1)
	v_rcp_f64_e32 v[46:47], v[44:45]
	s_waitcnt_depctr 0xfff
	v_fma_f64 v[48:49], -v[44:45], v[46:47], 1.0
	v_fma_f64 v[46:47], v[46:47], v[48:49], v[46:47]
	s_delay_alu instid0(VALU_DEP_1) | instskip(NEXT) | instid1(VALU_DEP_1)
	v_fma_f64 v[48:49], -v[44:45], v[46:47], 1.0
	v_fma_f64 v[46:47], v[46:47], v[48:49], v[46:47]
	s_delay_alu instid0(VALU_DEP_1) | instskip(NEXT) | instid1(VALU_DEP_1)
	v_mul_f64 v[48:49], v[50:51], v[46:47]
	v_fma_f64 v[44:45], -v[44:45], v[48:49], v[50:51]
	s_delay_alu instid0(VALU_DEP_1) | instskip(SKIP_2) | instid1(VALU_DEP_3)
	v_div_fmas_f64 v[44:45], v[44:45], v[46:47], v[48:49]
	v_fma_f64 v[46:47], s[10:11], v[35:36], s[8:9]
	v_fma_f64 v[35:36], -s[8:9], v[35:36], s[10:11]
	v_div_fixup_f64 v[44:45], v[44:45], v[37:38], 1.0
	s_delay_alu instid0(VALU_DEP_1) | instskip(NEXT) | instid1(VALU_DEP_3)
	v_mul_f64 v[37:38], v[46:47], v[44:45]
	v_mul_f64 v[35:36], v[35:36], v[44:45]
.LBB62_9:                               ;   in Loop: Header=BB62_5 Depth=1
	s_and_not1_saveexec_b32 s35, s3
	s_cbranch_execz .LBB62_11
; %bb.10:                               ;   in Loop: Header=BB62_5 Depth=1
	v_div_scale_f64 v[35:36], null, v[39:40], v[39:40], s[8:9]
	v_div_scale_f64 v[37:38], null, v[41:42], v[41:42], s[10:11]
	v_div_scale_f64 v[52:53], vcc_lo, s[8:9], v[39:40], s[8:9]
	s_delay_alu instid0(VALU_DEP_3) | instskip(NEXT) | instid1(VALU_DEP_2)
	v_rcp_f64_e32 v[44:45], v[35:36]
	v_rcp_f64_e32 v[46:47], v[37:38]
	s_waitcnt_depctr 0xfff
	v_fma_f64 v[48:49], -v[35:36], v[44:45], 1.0
	v_fma_f64 v[50:51], -v[37:38], v[46:47], 1.0
	s_delay_alu instid0(VALU_DEP_2) | instskip(NEXT) | instid1(VALU_DEP_2)
	v_fma_f64 v[44:45], v[44:45], v[48:49], v[44:45]
	v_fma_f64 v[46:47], v[46:47], v[50:51], v[46:47]
	s_delay_alu instid0(VALU_DEP_2) | instskip(NEXT) | instid1(VALU_DEP_2)
	v_fma_f64 v[48:49], -v[35:36], v[44:45], 1.0
	v_fma_f64 v[50:51], -v[37:38], v[46:47], 1.0
	s_delay_alu instid0(VALU_DEP_2) | instskip(SKIP_1) | instid1(VALU_DEP_3)
	v_fma_f64 v[44:45], v[44:45], v[48:49], v[44:45]
	v_div_scale_f64 v[48:49], s3, s[10:11], v[41:42], s[10:11]
	v_fma_f64 v[46:47], v[46:47], v[50:51], v[46:47]
	s_delay_alu instid0(VALU_DEP_3) | instskip(NEXT) | instid1(VALU_DEP_2)
	v_mul_f64 v[50:51], v[52:53], v[44:45]
	v_mul_f64 v[54:55], v[48:49], v[46:47]
	s_delay_alu instid0(VALU_DEP_2) | instskip(NEXT) | instid1(VALU_DEP_2)
	v_fma_f64 v[35:36], -v[35:36], v[50:51], v[52:53]
	v_fma_f64 v[37:38], -v[37:38], v[54:55], v[48:49]
	s_delay_alu instid0(VALU_DEP_2) | instskip(SKIP_1) | instid1(VALU_DEP_2)
	v_div_fmas_f64 v[35:36], v[35:36], v[44:45], v[50:51]
	s_mov_b32 vcc_lo, s3
	v_div_fmas_f64 v[44:45], v[37:38], v[46:47], v[54:55]
	s_delay_alu instid0(VALU_DEP_2) | instskip(NEXT) | instid1(VALU_DEP_2)
	v_div_fixup_f64 v[37:38], v[35:36], v[39:40], s[8:9]
	v_div_fixup_f64 v[35:36], v[44:45], v[41:42], s[10:11]
.LBB62_11:                              ;   in Loop: Header=BB62_5 Depth=1
	s_or_b32 exec_lo, exec_lo, s35
.LBB62_12:                              ;   in Loop: Header=BB62_5 Depth=1
	s_and_not1_saveexec_b32 s3, s34
	s_cbranch_execz .LBB62_14
; %bb.13:                               ;   in Loop: Header=BB62_5 Depth=1
	v_div_scale_f64 v[35:36], null, v[31:32], v[31:32], v[29:30]
	v_div_scale_f64 v[46:47], vcc_lo, v[29:30], v[31:32], v[29:30]
	s_delay_alu instid0(VALU_DEP_2) | instskip(SKIP_2) | instid1(VALU_DEP_1)
	v_rcp_f64_e32 v[37:38], v[35:36]
	s_waitcnt_depctr 0xfff
	v_fma_f64 v[44:45], -v[35:36], v[37:38], 1.0
	v_fma_f64 v[37:38], v[37:38], v[44:45], v[37:38]
	s_delay_alu instid0(VALU_DEP_1) | instskip(NEXT) | instid1(VALU_DEP_1)
	v_fma_f64 v[44:45], -v[35:36], v[37:38], 1.0
	v_fma_f64 v[37:38], v[37:38], v[44:45], v[37:38]
	s_delay_alu instid0(VALU_DEP_1) | instskip(NEXT) | instid1(VALU_DEP_1)
	v_mul_f64 v[44:45], v[46:47], v[37:38]
	v_fma_f64 v[35:36], -v[35:36], v[44:45], v[46:47]
	s_delay_alu instid0(VALU_DEP_1) | instskip(NEXT) | instid1(VALU_DEP_1)
	v_div_fmas_f64 v[35:36], v[35:36], v[37:38], v[44:45]
	v_div_fixup_f64 v[35:36], v[35:36], v[31:32], v[29:30]
	s_delay_alu instid0(VALU_DEP_1) | instskip(NEXT) | instid1(VALU_DEP_1)
	v_fma_f64 v[37:38], v[29:30], v[35:36], v[31:32]
	v_div_scale_f64 v[44:45], null, v[37:38], v[37:38], 1.0
	v_div_scale_f64 v[50:51], vcc_lo, 1.0, v[37:38], 1.0
	s_delay_alu instid0(VALU_DEP_2) | instskip(SKIP_2) | instid1(VALU_DEP_1)
	v_rcp_f64_e32 v[46:47], v[44:45]
	s_waitcnt_depctr 0xfff
	v_fma_f64 v[48:49], -v[44:45], v[46:47], 1.0
	v_fma_f64 v[46:47], v[46:47], v[48:49], v[46:47]
	s_delay_alu instid0(VALU_DEP_1) | instskip(NEXT) | instid1(VALU_DEP_1)
	v_fma_f64 v[48:49], -v[44:45], v[46:47], 1.0
	v_fma_f64 v[46:47], v[46:47], v[48:49], v[46:47]
	s_delay_alu instid0(VALU_DEP_1) | instskip(NEXT) | instid1(VALU_DEP_1)
	v_mul_f64 v[48:49], v[50:51], v[46:47]
	v_fma_f64 v[44:45], -v[44:45], v[48:49], v[50:51]
	s_delay_alu instid0(VALU_DEP_1) | instskip(SKIP_2) | instid1(VALU_DEP_3)
	v_div_fmas_f64 v[44:45], v[44:45], v[46:47], v[48:49]
	v_fma_f64 v[46:47], s[8:9], v[35:36], s[10:11]
	v_fma_f64 v[35:36], s[10:11], v[35:36], -s[8:9]
	v_div_fixup_f64 v[44:45], v[44:45], v[37:38], 1.0
	s_delay_alu instid0(VALU_DEP_1) | instskip(NEXT) | instid1(VALU_DEP_3)
	v_mul_f64 v[37:38], v[46:47], v[44:45]
	v_mul_f64 v[35:36], v[35:36], v[44:45]
.LBB62_14:                              ;   in Loop: Header=BB62_5 Depth=1
	s_or_b32 exec_lo, exec_lo, s3
	s_delay_alu instid0(VALU_DEP_1) | instskip(SKIP_1) | instid1(VALU_DEP_2)
	v_mul_f64 v[44:45], s[6:7], v[35:36]
	v_mul_f64 v[46:47], s[4:5], v[35:36]
	v_fma_f64 v[35:36], s[4:5], v[37:38], -v[44:45]
	s_delay_alu instid0(VALU_DEP_2)
	v_fma_f64 v[37:38], s[6:7], v[37:38], v[46:47]
	s_branch .LBB62_25
.LBB62_15:                              ;   in Loop: Header=BB62_5 Depth=1
                                        ; implicit-def: $vgpr37_vgpr38
                                        ; implicit-def: $vgpr35_vgpr36
	s_cbranch_execz .LBB62_25
; %bb.16:                               ;   in Loop: Header=BB62_5 Depth=1
                                        ; implicit-def: $vgpr37_vgpr38
                                        ; implicit-def: $vgpr35_vgpr36
	s_delay_alu instid0(VALU_DEP_1) | instskip(NEXT) | instid1(SALU_CYCLE_1)
	s_and_saveexec_b32 s3, s2
	s_xor_b32 s3, exec_lo, s3
	s_cbranch_execz .LBB62_22
; %bb.17:                               ;   in Loop: Header=BB62_5 Depth=1
	v_cmp_neq_f64_e32 vcc_lo, 0, v[29:30]
	v_cmp_neq_f64_e64 s2, 0, v[31:32]
                                        ; implicit-def: $vgpr37_vgpr38
                                        ; implicit-def: $vgpr35_vgpr36
	s_delay_alu instid0(VALU_DEP_1) | instskip(NEXT) | instid1(SALU_CYCLE_1)
	s_or_b32 s2, vcc_lo, s2
	s_and_saveexec_b32 s34, s2
	s_delay_alu instid0(SALU_CYCLE_1)
	s_xor_b32 s2, exec_lo, s34
	s_cbranch_execz .LBB62_19
; %bb.18:                               ;   in Loop: Header=BB62_5 Depth=1
	v_div_scale_f64 v[35:36], null, v[29:30], v[29:30], v[31:32]
	v_div_scale_f64 v[41:42], vcc_lo, v[31:32], v[29:30], v[31:32]
	s_delay_alu instid0(VALU_DEP_2) | instskip(SKIP_2) | instid1(VALU_DEP_1)
	v_rcp_f64_e32 v[37:38], v[35:36]
	s_waitcnt_depctr 0xfff
	v_fma_f64 v[39:40], -v[35:36], v[37:38], 1.0
	v_fma_f64 v[37:38], v[37:38], v[39:40], v[37:38]
	s_delay_alu instid0(VALU_DEP_1) | instskip(NEXT) | instid1(VALU_DEP_1)
	v_fma_f64 v[39:40], -v[35:36], v[37:38], 1.0
	v_fma_f64 v[37:38], v[37:38], v[39:40], v[37:38]
	s_delay_alu instid0(VALU_DEP_1) | instskip(NEXT) | instid1(VALU_DEP_1)
	v_mul_f64 v[39:40], v[41:42], v[37:38]
	v_fma_f64 v[35:36], -v[35:36], v[39:40], v[41:42]
	s_delay_alu instid0(VALU_DEP_1) | instskip(NEXT) | instid1(VALU_DEP_1)
	v_div_fmas_f64 v[35:36], v[35:36], v[37:38], v[39:40]
	v_div_fixup_f64 v[35:36], v[35:36], v[29:30], v[31:32]
	s_delay_alu instid0(VALU_DEP_1) | instskip(NEXT) | instid1(VALU_DEP_1)
	v_fma_f64 v[29:30], v[31:32], v[35:36], v[29:30]
	v_div_scale_f64 v[31:32], null, v[29:30], v[29:30], 1.0
	v_div_scale_f64 v[41:42], vcc_lo, 1.0, v[29:30], 1.0
	s_delay_alu instid0(VALU_DEP_2) | instskip(SKIP_2) | instid1(VALU_DEP_1)
	v_rcp_f64_e32 v[37:38], v[31:32]
	s_waitcnt_depctr 0xfff
	v_fma_f64 v[39:40], -v[31:32], v[37:38], 1.0
	v_fma_f64 v[37:38], v[37:38], v[39:40], v[37:38]
	s_delay_alu instid0(VALU_DEP_1) | instskip(NEXT) | instid1(VALU_DEP_1)
	v_fma_f64 v[39:40], -v[31:32], v[37:38], 1.0
	v_fma_f64 v[37:38], v[37:38], v[39:40], v[37:38]
	s_delay_alu instid0(VALU_DEP_1) | instskip(NEXT) | instid1(VALU_DEP_1)
	v_mul_f64 v[39:40], v[41:42], v[37:38]
	v_fma_f64 v[31:32], -v[31:32], v[39:40], v[41:42]
                                        ; implicit-def: $vgpr41_vgpr42
	s_delay_alu instid0(VALU_DEP_1) | instskip(SKIP_1) | instid1(VALU_DEP_2)
	v_div_fmas_f64 v[31:32], v[31:32], v[37:38], v[39:40]
	v_fma_f64 v[37:38], s[10:11], v[35:36], s[8:9]
                                        ; implicit-def: $vgpr39_vgpr40
	v_div_fixup_f64 v[29:30], v[31:32], v[29:30], 1.0
	v_fma_f64 v[31:32], -s[8:9], v[35:36], s[10:11]
	s_delay_alu instid0(VALU_DEP_2) | instskip(NEXT) | instid1(VALU_DEP_2)
	v_mul_f64 v[35:36], v[37:38], v[29:30]
	v_mul_f64 v[37:38], v[31:32], v[29:30]
.LBB62_19:                              ;   in Loop: Header=BB62_5 Depth=1
	s_and_not1_saveexec_b32 s34, s2
	s_cbranch_execz .LBB62_21
; %bb.20:                               ;   in Loop: Header=BB62_5 Depth=1
	v_div_scale_f64 v[29:30], null, v[39:40], v[39:40], s[8:9]
	v_div_scale_f64 v[31:32], null, v[41:42], v[41:42], s[10:11]
	v_div_scale_f64 v[48:49], vcc_lo, s[8:9], v[39:40], s[8:9]
	s_delay_alu instid0(VALU_DEP_3) | instskip(NEXT) | instid1(VALU_DEP_2)
	v_rcp_f64_e32 v[35:36], v[29:30]
	v_rcp_f64_e32 v[37:38], v[31:32]
	s_waitcnt_depctr 0xfff
	v_fma_f64 v[44:45], -v[29:30], v[35:36], 1.0
	v_fma_f64 v[46:47], -v[31:32], v[37:38], 1.0
	s_delay_alu instid0(VALU_DEP_2) | instskip(NEXT) | instid1(VALU_DEP_2)
	v_fma_f64 v[35:36], v[35:36], v[44:45], v[35:36]
	v_fma_f64 v[37:38], v[37:38], v[46:47], v[37:38]
	s_delay_alu instid0(VALU_DEP_2) | instskip(NEXT) | instid1(VALU_DEP_2)
	v_fma_f64 v[44:45], -v[29:30], v[35:36], 1.0
	v_fma_f64 v[46:47], -v[31:32], v[37:38], 1.0
	s_delay_alu instid0(VALU_DEP_2) | instskip(SKIP_1) | instid1(VALU_DEP_3)
	v_fma_f64 v[35:36], v[35:36], v[44:45], v[35:36]
	v_div_scale_f64 v[44:45], s2, s[10:11], v[41:42], s[10:11]
	v_fma_f64 v[37:38], v[37:38], v[46:47], v[37:38]
	s_delay_alu instid0(VALU_DEP_3) | instskip(NEXT) | instid1(VALU_DEP_2)
	v_mul_f64 v[46:47], v[48:49], v[35:36]
	v_mul_f64 v[50:51], v[44:45], v[37:38]
	s_delay_alu instid0(VALU_DEP_2) | instskip(NEXT) | instid1(VALU_DEP_2)
	v_fma_f64 v[29:30], -v[29:30], v[46:47], v[48:49]
	v_fma_f64 v[31:32], -v[31:32], v[50:51], v[44:45]
	s_delay_alu instid0(VALU_DEP_2) | instskip(SKIP_1) | instid1(VALU_DEP_2)
	v_div_fmas_f64 v[29:30], v[29:30], v[35:36], v[46:47]
	s_mov_b32 vcc_lo, s2
	v_div_fmas_f64 v[31:32], v[31:32], v[37:38], v[50:51]
	s_delay_alu instid0(VALU_DEP_2) | instskip(NEXT) | instid1(VALU_DEP_2)
	v_div_fixup_f64 v[35:36], v[29:30], v[39:40], s[8:9]
	v_div_fixup_f64 v[37:38], v[31:32], v[41:42], s[10:11]
.LBB62_21:                              ;   in Loop: Header=BB62_5 Depth=1
	s_or_b32 exec_lo, exec_lo, s34
                                        ; implicit-def: $vgpr31_vgpr32
.LBB62_22:                              ;   in Loop: Header=BB62_5 Depth=1
	s_and_not1_saveexec_b32 s2, s3
	s_cbranch_execz .LBB62_24
; %bb.23:                               ;   in Loop: Header=BB62_5 Depth=1
	v_div_scale_f64 v[35:36], null, v[31:32], v[31:32], v[29:30]
	v_div_scale_f64 v[41:42], vcc_lo, v[29:30], v[31:32], v[29:30]
	s_delay_alu instid0(VALU_DEP_2) | instskip(SKIP_2) | instid1(VALU_DEP_1)
	v_rcp_f64_e32 v[37:38], v[35:36]
	s_waitcnt_depctr 0xfff
	v_fma_f64 v[39:40], -v[35:36], v[37:38], 1.0
	v_fma_f64 v[37:38], v[37:38], v[39:40], v[37:38]
	s_delay_alu instid0(VALU_DEP_1) | instskip(NEXT) | instid1(VALU_DEP_1)
	v_fma_f64 v[39:40], -v[35:36], v[37:38], 1.0
	v_fma_f64 v[37:38], v[37:38], v[39:40], v[37:38]
	s_delay_alu instid0(VALU_DEP_1) | instskip(NEXT) | instid1(VALU_DEP_1)
	v_mul_f64 v[39:40], v[41:42], v[37:38]
	v_fma_f64 v[35:36], -v[35:36], v[39:40], v[41:42]
	s_delay_alu instid0(VALU_DEP_1) | instskip(NEXT) | instid1(VALU_DEP_1)
	v_div_fmas_f64 v[35:36], v[35:36], v[37:38], v[39:40]
	v_div_fixup_f64 v[35:36], v[35:36], v[31:32], v[29:30]
	s_delay_alu instid0(VALU_DEP_1) | instskip(NEXT) | instid1(VALU_DEP_1)
	v_fma_f64 v[29:30], v[29:30], v[35:36], v[31:32]
	v_div_scale_f64 v[31:32], null, v[29:30], v[29:30], 1.0
	v_div_scale_f64 v[41:42], vcc_lo, 1.0, v[29:30], 1.0
	s_delay_alu instid0(VALU_DEP_2) | instskip(SKIP_2) | instid1(VALU_DEP_1)
	v_rcp_f64_e32 v[37:38], v[31:32]
	s_waitcnt_depctr 0xfff
	v_fma_f64 v[39:40], -v[31:32], v[37:38], 1.0
	v_fma_f64 v[37:38], v[37:38], v[39:40], v[37:38]
	s_delay_alu instid0(VALU_DEP_1) | instskip(NEXT) | instid1(VALU_DEP_1)
	v_fma_f64 v[39:40], -v[31:32], v[37:38], 1.0
	v_fma_f64 v[37:38], v[37:38], v[39:40], v[37:38]
	s_delay_alu instid0(VALU_DEP_1) | instskip(NEXT) | instid1(VALU_DEP_1)
	v_mul_f64 v[39:40], v[41:42], v[37:38]
	v_fma_f64 v[31:32], -v[31:32], v[39:40], v[41:42]
	s_delay_alu instid0(VALU_DEP_1) | instskip(SKIP_1) | instid1(VALU_DEP_2)
	v_div_fmas_f64 v[31:32], v[31:32], v[37:38], v[39:40]
	v_fma_f64 v[37:38], s[8:9], v[35:36], s[10:11]
	v_div_fixup_f64 v[29:30], v[31:32], v[29:30], 1.0
	v_fma_f64 v[31:32], s[10:11], v[35:36], -s[8:9]
	s_delay_alu instid0(VALU_DEP_2) | instskip(NEXT) | instid1(VALU_DEP_2)
	v_mul_f64 v[35:36], v[37:38], v[29:30]
	v_mul_f64 v[37:38], v[31:32], v[29:30]
.LBB62_24:                              ;   in Loop: Header=BB62_5 Depth=1
	s_or_b32 exec_lo, exec_lo, s2
.LBB62_25:                              ;   in Loop: Header=BB62_5 Depth=1
	s_waitcnt vmcnt(6)
	v_cmp_gt_f64_e32 vcc_lo, 0, v[25:26]
	v_xor_b32_e32 v29, 0x80000000, v26
	v_mov_b32_e32 v39, v25
	v_xor_b32_e32 v30, 0x80000000, v28
	s_delay_alu instid0(VALU_DEP_3) | instskip(SKIP_1) | instid1(VALU_DEP_3)
	v_dual_mov_b32 v41, v27 :: v_dual_cndmask_b32 v40, v26, v29
	v_cmp_gt_f64_e32 vcc_lo, 0, v[27:28]
	v_cndmask_b32_e32 v42, v28, v30, vcc_lo
	s_and_not1_b32 vcc_lo, exec_lo, s31
	s_delay_alu instid0(VALU_DEP_1)
	v_cmp_ge_f64_e64 s2, v[39:40], v[41:42]
	s_cbranch_vccnz .LBB62_35
; %bb.26:                               ;   in Loop: Header=BB62_5 Depth=1
                                        ; implicit-def: $vgpr29_vgpr30
                                        ; implicit-def: $vgpr31_vgpr32
	s_delay_alu instid0(VALU_DEP_1) | instskip(NEXT) | instid1(SALU_CYCLE_1)
	s_and_saveexec_b32 s3, s2
	s_xor_b32 s34, exec_lo, s3
	s_cbranch_execz .LBB62_32
; %bb.27:                               ;   in Loop: Header=BB62_5 Depth=1
	v_cmp_neq_f64_e32 vcc_lo, 0, v[25:26]
	v_cmp_neq_f64_e64 s3, 0, v[27:28]
                                        ; implicit-def: $vgpr29_vgpr30
                                        ; implicit-def: $vgpr31_vgpr32
	s_delay_alu instid0(VALU_DEP_1) | instskip(NEXT) | instid1(SALU_CYCLE_1)
	s_or_b32 s3, vcc_lo, s3
	s_and_saveexec_b32 s35, s3
	s_delay_alu instid0(SALU_CYCLE_1)
	s_xor_b32 s3, exec_lo, s35
	s_cbranch_execz .LBB62_29
; %bb.28:                               ;   in Loop: Header=BB62_5 Depth=1
	v_div_scale_f64 v[29:30], null, v[25:26], v[25:26], v[27:28]
	v_div_scale_f64 v[46:47], vcc_lo, v[27:28], v[25:26], v[27:28]
	s_delay_alu instid0(VALU_DEP_2) | instskip(SKIP_2) | instid1(VALU_DEP_1)
	v_rcp_f64_e32 v[31:32], v[29:30]
	s_waitcnt_depctr 0xfff
	v_fma_f64 v[44:45], -v[29:30], v[31:32], 1.0
	v_fma_f64 v[31:32], v[31:32], v[44:45], v[31:32]
	s_delay_alu instid0(VALU_DEP_1) | instskip(NEXT) | instid1(VALU_DEP_1)
	v_fma_f64 v[44:45], -v[29:30], v[31:32], 1.0
	v_fma_f64 v[31:32], v[31:32], v[44:45], v[31:32]
	s_delay_alu instid0(VALU_DEP_1) | instskip(NEXT) | instid1(VALU_DEP_1)
	v_mul_f64 v[44:45], v[46:47], v[31:32]
	v_fma_f64 v[29:30], -v[29:30], v[44:45], v[46:47]
	s_delay_alu instid0(VALU_DEP_1) | instskip(NEXT) | instid1(VALU_DEP_1)
	v_div_fmas_f64 v[29:30], v[29:30], v[31:32], v[44:45]
	v_div_fixup_f64 v[29:30], v[29:30], v[25:26], v[27:28]
	s_delay_alu instid0(VALU_DEP_1) | instskip(NEXT) | instid1(VALU_DEP_1)
	v_fma_f64 v[31:32], v[27:28], v[29:30], v[25:26]
	v_div_scale_f64 v[44:45], null, v[31:32], v[31:32], 1.0
	v_div_scale_f64 v[50:51], vcc_lo, 1.0, v[31:32], 1.0
	s_delay_alu instid0(VALU_DEP_2) | instskip(SKIP_2) | instid1(VALU_DEP_1)
	v_rcp_f64_e32 v[46:47], v[44:45]
	s_waitcnt_depctr 0xfff
	v_fma_f64 v[48:49], -v[44:45], v[46:47], 1.0
	v_fma_f64 v[46:47], v[46:47], v[48:49], v[46:47]
	s_delay_alu instid0(VALU_DEP_1) | instskip(NEXT) | instid1(VALU_DEP_1)
	v_fma_f64 v[48:49], -v[44:45], v[46:47], 1.0
	v_fma_f64 v[46:47], v[46:47], v[48:49], v[46:47]
	s_delay_alu instid0(VALU_DEP_1) | instskip(NEXT) | instid1(VALU_DEP_1)
	v_mul_f64 v[48:49], v[50:51], v[46:47]
	v_fma_f64 v[44:45], -v[44:45], v[48:49], v[50:51]
	s_delay_alu instid0(VALU_DEP_1) | instskip(SKIP_2) | instid1(VALU_DEP_3)
	v_div_fmas_f64 v[44:45], v[44:45], v[46:47], v[48:49]
	v_fma_f64 v[46:47], s[10:11], v[29:30], s[8:9]
	v_fma_f64 v[29:30], -s[8:9], v[29:30], s[10:11]
	v_div_fixup_f64 v[44:45], v[44:45], v[31:32], 1.0
	s_delay_alu instid0(VALU_DEP_1) | instskip(NEXT) | instid1(VALU_DEP_3)
	v_mul_f64 v[31:32], v[46:47], v[44:45]
	v_mul_f64 v[29:30], v[29:30], v[44:45]
.LBB62_29:                              ;   in Loop: Header=BB62_5 Depth=1
	s_and_not1_saveexec_b32 s35, s3
	s_cbranch_execz .LBB62_31
; %bb.30:                               ;   in Loop: Header=BB62_5 Depth=1
	v_div_scale_f64 v[29:30], null, v[39:40], v[39:40], s[8:9]
	v_div_scale_f64 v[31:32], null, v[41:42], v[41:42], s[10:11]
	v_div_scale_f64 v[52:53], vcc_lo, s[8:9], v[39:40], s[8:9]
	s_delay_alu instid0(VALU_DEP_3) | instskip(NEXT) | instid1(VALU_DEP_2)
	v_rcp_f64_e32 v[44:45], v[29:30]
	v_rcp_f64_e32 v[46:47], v[31:32]
	s_waitcnt_depctr 0xfff
	v_fma_f64 v[48:49], -v[29:30], v[44:45], 1.0
	v_fma_f64 v[50:51], -v[31:32], v[46:47], 1.0
	s_delay_alu instid0(VALU_DEP_2) | instskip(NEXT) | instid1(VALU_DEP_2)
	v_fma_f64 v[44:45], v[44:45], v[48:49], v[44:45]
	v_fma_f64 v[46:47], v[46:47], v[50:51], v[46:47]
	s_delay_alu instid0(VALU_DEP_2) | instskip(NEXT) | instid1(VALU_DEP_2)
	v_fma_f64 v[48:49], -v[29:30], v[44:45], 1.0
	v_fma_f64 v[50:51], -v[31:32], v[46:47], 1.0
	s_delay_alu instid0(VALU_DEP_2) | instskip(SKIP_1) | instid1(VALU_DEP_3)
	v_fma_f64 v[44:45], v[44:45], v[48:49], v[44:45]
	v_div_scale_f64 v[48:49], s3, s[10:11], v[41:42], s[10:11]
	v_fma_f64 v[46:47], v[46:47], v[50:51], v[46:47]
	s_delay_alu instid0(VALU_DEP_3) | instskip(NEXT) | instid1(VALU_DEP_2)
	v_mul_f64 v[50:51], v[52:53], v[44:45]
	v_mul_f64 v[54:55], v[48:49], v[46:47]
	s_delay_alu instid0(VALU_DEP_2) | instskip(NEXT) | instid1(VALU_DEP_2)
	v_fma_f64 v[29:30], -v[29:30], v[50:51], v[52:53]
	v_fma_f64 v[31:32], -v[31:32], v[54:55], v[48:49]
	s_delay_alu instid0(VALU_DEP_2) | instskip(SKIP_1) | instid1(VALU_DEP_2)
	v_div_fmas_f64 v[29:30], v[29:30], v[44:45], v[50:51]
	s_mov_b32 vcc_lo, s3
	v_div_fmas_f64 v[44:45], v[31:32], v[46:47], v[54:55]
	s_delay_alu instid0(VALU_DEP_2) | instskip(NEXT) | instid1(VALU_DEP_2)
	v_div_fixup_f64 v[31:32], v[29:30], v[39:40], s[8:9]
	v_div_fixup_f64 v[29:30], v[44:45], v[41:42], s[10:11]
.LBB62_31:                              ;   in Loop: Header=BB62_5 Depth=1
	s_or_b32 exec_lo, exec_lo, s35
.LBB62_32:                              ;   in Loop: Header=BB62_5 Depth=1
	s_and_not1_saveexec_b32 s3, s34
	s_cbranch_execz .LBB62_34
; %bb.33:                               ;   in Loop: Header=BB62_5 Depth=1
	v_div_scale_f64 v[29:30], null, v[27:28], v[27:28], v[25:26]
	v_div_scale_f64 v[46:47], vcc_lo, v[25:26], v[27:28], v[25:26]
	s_delay_alu instid0(VALU_DEP_2) | instskip(SKIP_2) | instid1(VALU_DEP_1)
	v_rcp_f64_e32 v[31:32], v[29:30]
	s_waitcnt_depctr 0xfff
	v_fma_f64 v[44:45], -v[29:30], v[31:32], 1.0
	v_fma_f64 v[31:32], v[31:32], v[44:45], v[31:32]
	s_delay_alu instid0(VALU_DEP_1) | instskip(NEXT) | instid1(VALU_DEP_1)
	v_fma_f64 v[44:45], -v[29:30], v[31:32], 1.0
	v_fma_f64 v[31:32], v[31:32], v[44:45], v[31:32]
	s_delay_alu instid0(VALU_DEP_1) | instskip(NEXT) | instid1(VALU_DEP_1)
	v_mul_f64 v[44:45], v[46:47], v[31:32]
	v_fma_f64 v[29:30], -v[29:30], v[44:45], v[46:47]
	s_delay_alu instid0(VALU_DEP_1) | instskip(NEXT) | instid1(VALU_DEP_1)
	v_div_fmas_f64 v[29:30], v[29:30], v[31:32], v[44:45]
	v_div_fixup_f64 v[29:30], v[29:30], v[27:28], v[25:26]
	s_delay_alu instid0(VALU_DEP_1) | instskip(NEXT) | instid1(VALU_DEP_1)
	v_fma_f64 v[31:32], v[25:26], v[29:30], v[27:28]
	v_div_scale_f64 v[44:45], null, v[31:32], v[31:32], 1.0
	v_div_scale_f64 v[50:51], vcc_lo, 1.0, v[31:32], 1.0
	s_delay_alu instid0(VALU_DEP_2) | instskip(SKIP_2) | instid1(VALU_DEP_1)
	v_rcp_f64_e32 v[46:47], v[44:45]
	s_waitcnt_depctr 0xfff
	v_fma_f64 v[48:49], -v[44:45], v[46:47], 1.0
	v_fma_f64 v[46:47], v[46:47], v[48:49], v[46:47]
	s_delay_alu instid0(VALU_DEP_1) | instskip(NEXT) | instid1(VALU_DEP_1)
	v_fma_f64 v[48:49], -v[44:45], v[46:47], 1.0
	v_fma_f64 v[46:47], v[46:47], v[48:49], v[46:47]
	s_delay_alu instid0(VALU_DEP_1) | instskip(NEXT) | instid1(VALU_DEP_1)
	v_mul_f64 v[48:49], v[50:51], v[46:47]
	v_fma_f64 v[44:45], -v[44:45], v[48:49], v[50:51]
	s_delay_alu instid0(VALU_DEP_1) | instskip(SKIP_2) | instid1(VALU_DEP_3)
	v_div_fmas_f64 v[44:45], v[44:45], v[46:47], v[48:49]
	v_fma_f64 v[46:47], s[8:9], v[29:30], s[10:11]
	v_fma_f64 v[29:30], s[10:11], v[29:30], -s[8:9]
	v_div_fixup_f64 v[44:45], v[44:45], v[31:32], 1.0
	s_delay_alu instid0(VALU_DEP_1) | instskip(NEXT) | instid1(VALU_DEP_3)
	v_mul_f64 v[31:32], v[46:47], v[44:45]
	v_mul_f64 v[29:30], v[29:30], v[44:45]
.LBB62_34:                              ;   in Loop: Header=BB62_5 Depth=1
	s_or_b32 exec_lo, exec_lo, s3
	s_delay_alu instid0(VALU_DEP_1) | instskip(SKIP_1) | instid1(VALU_DEP_2)
	v_mul_f64 v[44:45], s[6:7], v[29:30]
	v_mul_f64 v[46:47], s[4:5], v[29:30]
	v_fma_f64 v[29:30], s[4:5], v[31:32], -v[44:45]
	s_delay_alu instid0(VALU_DEP_2)
	v_fma_f64 v[31:32], s[6:7], v[31:32], v[46:47]
	s_branch .LBB62_45
.LBB62_35:                              ;   in Loop: Header=BB62_5 Depth=1
                                        ; implicit-def: $vgpr31_vgpr32
                                        ; implicit-def: $vgpr29_vgpr30
	s_cbranch_execz .LBB62_45
; %bb.36:                               ;   in Loop: Header=BB62_5 Depth=1
                                        ; implicit-def: $vgpr31_vgpr32
                                        ; implicit-def: $vgpr29_vgpr30
	s_delay_alu instid0(VALU_DEP_1) | instskip(NEXT) | instid1(SALU_CYCLE_1)
	s_and_saveexec_b32 s3, s2
	s_xor_b32 s3, exec_lo, s3
	s_cbranch_execz .LBB62_42
; %bb.37:                               ;   in Loop: Header=BB62_5 Depth=1
	v_cmp_neq_f64_e32 vcc_lo, 0, v[25:26]
	v_cmp_neq_f64_e64 s2, 0, v[27:28]
                                        ; implicit-def: $vgpr31_vgpr32
                                        ; implicit-def: $vgpr29_vgpr30
	s_delay_alu instid0(VALU_DEP_1) | instskip(NEXT) | instid1(SALU_CYCLE_1)
	s_or_b32 s2, vcc_lo, s2
	s_and_saveexec_b32 s34, s2
	s_delay_alu instid0(SALU_CYCLE_1)
	s_xor_b32 s2, exec_lo, s34
	s_cbranch_execz .LBB62_39
; %bb.38:                               ;   in Loop: Header=BB62_5 Depth=1
	v_div_scale_f64 v[29:30], null, v[25:26], v[25:26], v[27:28]
	v_div_scale_f64 v[41:42], vcc_lo, v[27:28], v[25:26], v[27:28]
	s_delay_alu instid0(VALU_DEP_2) | instskip(SKIP_2) | instid1(VALU_DEP_1)
	v_rcp_f64_e32 v[31:32], v[29:30]
	s_waitcnt_depctr 0xfff
	v_fma_f64 v[39:40], -v[29:30], v[31:32], 1.0
	v_fma_f64 v[31:32], v[31:32], v[39:40], v[31:32]
	s_delay_alu instid0(VALU_DEP_1) | instskip(NEXT) | instid1(VALU_DEP_1)
	v_fma_f64 v[39:40], -v[29:30], v[31:32], 1.0
	v_fma_f64 v[31:32], v[31:32], v[39:40], v[31:32]
	s_delay_alu instid0(VALU_DEP_1) | instskip(NEXT) | instid1(VALU_DEP_1)
	v_mul_f64 v[39:40], v[41:42], v[31:32]
	v_fma_f64 v[29:30], -v[29:30], v[39:40], v[41:42]
	s_delay_alu instid0(VALU_DEP_1) | instskip(NEXT) | instid1(VALU_DEP_1)
	v_div_fmas_f64 v[29:30], v[29:30], v[31:32], v[39:40]
	v_div_fixup_f64 v[29:30], v[29:30], v[25:26], v[27:28]
	s_delay_alu instid0(VALU_DEP_1) | instskip(NEXT) | instid1(VALU_DEP_1)
	v_fma_f64 v[25:26], v[27:28], v[29:30], v[25:26]
	v_div_scale_f64 v[27:28], null, v[25:26], v[25:26], 1.0
	v_div_scale_f64 v[41:42], vcc_lo, 1.0, v[25:26], 1.0
	s_delay_alu instid0(VALU_DEP_2) | instskip(SKIP_2) | instid1(VALU_DEP_1)
	v_rcp_f64_e32 v[31:32], v[27:28]
	s_waitcnt_depctr 0xfff
	v_fma_f64 v[39:40], -v[27:28], v[31:32], 1.0
	v_fma_f64 v[31:32], v[31:32], v[39:40], v[31:32]
	s_delay_alu instid0(VALU_DEP_1) | instskip(NEXT) | instid1(VALU_DEP_1)
	v_fma_f64 v[39:40], -v[27:28], v[31:32], 1.0
	v_fma_f64 v[31:32], v[31:32], v[39:40], v[31:32]
	s_delay_alu instid0(VALU_DEP_1) | instskip(NEXT) | instid1(VALU_DEP_1)
	v_mul_f64 v[39:40], v[41:42], v[31:32]
	v_fma_f64 v[27:28], -v[27:28], v[39:40], v[41:42]
                                        ; implicit-def: $vgpr41_vgpr42
	s_delay_alu instid0(VALU_DEP_1) | instskip(SKIP_1) | instid1(VALU_DEP_2)
	v_div_fmas_f64 v[27:28], v[27:28], v[31:32], v[39:40]
	v_fma_f64 v[31:32], s[10:11], v[29:30], s[8:9]
                                        ; implicit-def: $vgpr39_vgpr40
	v_div_fixup_f64 v[25:26], v[27:28], v[25:26], 1.0
	v_fma_f64 v[27:28], -s[8:9], v[29:30], s[10:11]
	s_delay_alu instid0(VALU_DEP_2) | instskip(NEXT) | instid1(VALU_DEP_2)
	v_mul_f64 v[29:30], v[31:32], v[25:26]
	v_mul_f64 v[31:32], v[27:28], v[25:26]
.LBB62_39:                              ;   in Loop: Header=BB62_5 Depth=1
	s_and_not1_saveexec_b32 s34, s2
	s_cbranch_execz .LBB62_41
; %bb.40:                               ;   in Loop: Header=BB62_5 Depth=1
	v_div_scale_f64 v[25:26], null, v[39:40], v[39:40], s[8:9]
	v_div_scale_f64 v[27:28], null, v[41:42], v[41:42], s[10:11]
	v_div_scale_f64 v[48:49], vcc_lo, s[8:9], v[39:40], s[8:9]
	s_delay_alu instid0(VALU_DEP_3) | instskip(NEXT) | instid1(VALU_DEP_2)
	v_rcp_f64_e32 v[29:30], v[25:26]
	v_rcp_f64_e32 v[31:32], v[27:28]
	s_waitcnt_depctr 0xfff
	v_fma_f64 v[44:45], -v[25:26], v[29:30], 1.0
	v_fma_f64 v[46:47], -v[27:28], v[31:32], 1.0
	s_delay_alu instid0(VALU_DEP_2) | instskip(NEXT) | instid1(VALU_DEP_2)
	v_fma_f64 v[29:30], v[29:30], v[44:45], v[29:30]
	v_fma_f64 v[31:32], v[31:32], v[46:47], v[31:32]
	s_delay_alu instid0(VALU_DEP_2) | instskip(NEXT) | instid1(VALU_DEP_2)
	v_fma_f64 v[44:45], -v[25:26], v[29:30], 1.0
	v_fma_f64 v[46:47], -v[27:28], v[31:32], 1.0
	s_delay_alu instid0(VALU_DEP_2) | instskip(SKIP_1) | instid1(VALU_DEP_3)
	v_fma_f64 v[29:30], v[29:30], v[44:45], v[29:30]
	v_div_scale_f64 v[44:45], s2, s[10:11], v[41:42], s[10:11]
	v_fma_f64 v[31:32], v[31:32], v[46:47], v[31:32]
	s_delay_alu instid0(VALU_DEP_3) | instskip(NEXT) | instid1(VALU_DEP_2)
	v_mul_f64 v[46:47], v[48:49], v[29:30]
	v_mul_f64 v[50:51], v[44:45], v[31:32]
	s_delay_alu instid0(VALU_DEP_2) | instskip(NEXT) | instid1(VALU_DEP_2)
	v_fma_f64 v[25:26], -v[25:26], v[46:47], v[48:49]
	v_fma_f64 v[27:28], -v[27:28], v[50:51], v[44:45]
	s_delay_alu instid0(VALU_DEP_2) | instskip(SKIP_1) | instid1(VALU_DEP_2)
	v_div_fmas_f64 v[25:26], v[25:26], v[29:30], v[46:47]
	s_mov_b32 vcc_lo, s2
	v_div_fmas_f64 v[27:28], v[27:28], v[31:32], v[50:51]
	s_delay_alu instid0(VALU_DEP_2) | instskip(NEXT) | instid1(VALU_DEP_2)
	v_div_fixup_f64 v[29:30], v[25:26], v[39:40], s[8:9]
	v_div_fixup_f64 v[31:32], v[27:28], v[41:42], s[10:11]
.LBB62_41:                              ;   in Loop: Header=BB62_5 Depth=1
	s_or_b32 exec_lo, exec_lo, s34
                                        ; implicit-def: $vgpr27_vgpr28
.LBB62_42:                              ;   in Loop: Header=BB62_5 Depth=1
	s_and_not1_saveexec_b32 s2, s3
	s_cbranch_execz .LBB62_44
; %bb.43:                               ;   in Loop: Header=BB62_5 Depth=1
	v_div_scale_f64 v[29:30], null, v[27:28], v[27:28], v[25:26]
	v_div_scale_f64 v[41:42], vcc_lo, v[25:26], v[27:28], v[25:26]
	s_delay_alu instid0(VALU_DEP_2) | instskip(SKIP_2) | instid1(VALU_DEP_1)
	v_rcp_f64_e32 v[31:32], v[29:30]
	s_waitcnt_depctr 0xfff
	v_fma_f64 v[39:40], -v[29:30], v[31:32], 1.0
	v_fma_f64 v[31:32], v[31:32], v[39:40], v[31:32]
	s_delay_alu instid0(VALU_DEP_1) | instskip(NEXT) | instid1(VALU_DEP_1)
	v_fma_f64 v[39:40], -v[29:30], v[31:32], 1.0
	v_fma_f64 v[31:32], v[31:32], v[39:40], v[31:32]
	s_delay_alu instid0(VALU_DEP_1) | instskip(NEXT) | instid1(VALU_DEP_1)
	v_mul_f64 v[39:40], v[41:42], v[31:32]
	v_fma_f64 v[29:30], -v[29:30], v[39:40], v[41:42]
	s_delay_alu instid0(VALU_DEP_1) | instskip(NEXT) | instid1(VALU_DEP_1)
	v_div_fmas_f64 v[29:30], v[29:30], v[31:32], v[39:40]
	v_div_fixup_f64 v[29:30], v[29:30], v[27:28], v[25:26]
	s_delay_alu instid0(VALU_DEP_1) | instskip(NEXT) | instid1(VALU_DEP_1)
	v_fma_f64 v[25:26], v[25:26], v[29:30], v[27:28]
	v_div_scale_f64 v[27:28], null, v[25:26], v[25:26], 1.0
	v_div_scale_f64 v[41:42], vcc_lo, 1.0, v[25:26], 1.0
	s_delay_alu instid0(VALU_DEP_2) | instskip(SKIP_2) | instid1(VALU_DEP_1)
	v_rcp_f64_e32 v[31:32], v[27:28]
	s_waitcnt_depctr 0xfff
	v_fma_f64 v[39:40], -v[27:28], v[31:32], 1.0
	v_fma_f64 v[31:32], v[31:32], v[39:40], v[31:32]
	s_delay_alu instid0(VALU_DEP_1) | instskip(NEXT) | instid1(VALU_DEP_1)
	v_fma_f64 v[39:40], -v[27:28], v[31:32], 1.0
	v_fma_f64 v[31:32], v[31:32], v[39:40], v[31:32]
	s_delay_alu instid0(VALU_DEP_1) | instskip(NEXT) | instid1(VALU_DEP_1)
	v_mul_f64 v[39:40], v[41:42], v[31:32]
	v_fma_f64 v[27:28], -v[27:28], v[39:40], v[41:42]
	s_delay_alu instid0(VALU_DEP_1) | instskip(SKIP_1) | instid1(VALU_DEP_2)
	v_div_fmas_f64 v[27:28], v[27:28], v[31:32], v[39:40]
	v_fma_f64 v[31:32], s[8:9], v[29:30], s[10:11]
	v_div_fixup_f64 v[25:26], v[27:28], v[25:26], 1.0
	v_fma_f64 v[27:28], s[10:11], v[29:30], -s[8:9]
	s_delay_alu instid0(VALU_DEP_2) | instskip(NEXT) | instid1(VALU_DEP_2)
	v_mul_f64 v[29:30], v[31:32], v[25:26]
	v_mul_f64 v[31:32], v[27:28], v[25:26]
.LBB62_44:                              ;   in Loop: Header=BB62_5 Depth=1
	s_or_b32 exec_lo, exec_lo, s2
.LBB62_45:                              ;   in Loop: Header=BB62_5 Depth=1
	s_waitcnt vmcnt(0)
	v_cmp_gt_f64_e32 vcc_lo, 0, v[21:22]
	v_xor_b32_e32 v25, 0x80000000, v22
	v_mov_b32_e32 v39, v21
	v_xor_b32_e32 v26, 0x80000000, v24
	s_delay_alu instid0(VALU_DEP_3) | instskip(SKIP_1) | instid1(VALU_DEP_3)
	v_dual_mov_b32 v41, v23 :: v_dual_cndmask_b32 v40, v22, v25
	v_cmp_gt_f64_e32 vcc_lo, 0, v[23:24]
	v_cndmask_b32_e32 v42, v24, v26, vcc_lo
	s_and_not1_b32 vcc_lo, exec_lo, s31
	s_delay_alu instid0(VALU_DEP_1)
	v_cmp_ge_f64_e64 s2, v[39:40], v[41:42]
	s_cbranch_vccnz .LBB62_55
; %bb.46:                               ;   in Loop: Header=BB62_5 Depth=1
                                        ; implicit-def: $vgpr25_vgpr26
                                        ; implicit-def: $vgpr27_vgpr28
	s_delay_alu instid0(VALU_DEP_1) | instskip(NEXT) | instid1(SALU_CYCLE_1)
	s_and_saveexec_b32 s3, s2
	s_xor_b32 s34, exec_lo, s3
	s_cbranch_execz .LBB62_52
; %bb.47:                               ;   in Loop: Header=BB62_5 Depth=1
	v_cmp_neq_f64_e32 vcc_lo, 0, v[21:22]
	v_cmp_neq_f64_e64 s3, 0, v[23:24]
                                        ; implicit-def: $vgpr25_vgpr26
                                        ; implicit-def: $vgpr27_vgpr28
	s_delay_alu instid0(VALU_DEP_1) | instskip(NEXT) | instid1(SALU_CYCLE_1)
	s_or_b32 s3, vcc_lo, s3
	s_and_saveexec_b32 s35, s3
	s_delay_alu instid0(SALU_CYCLE_1)
	s_xor_b32 s3, exec_lo, s35
	s_cbranch_execz .LBB62_49
; %bb.48:                               ;   in Loop: Header=BB62_5 Depth=1
	v_div_scale_f64 v[25:26], null, v[21:22], v[21:22], v[23:24]
	v_div_scale_f64 v[46:47], vcc_lo, v[23:24], v[21:22], v[23:24]
	s_delay_alu instid0(VALU_DEP_2) | instskip(SKIP_2) | instid1(VALU_DEP_1)
	v_rcp_f64_e32 v[27:28], v[25:26]
	s_waitcnt_depctr 0xfff
	v_fma_f64 v[44:45], -v[25:26], v[27:28], 1.0
	v_fma_f64 v[27:28], v[27:28], v[44:45], v[27:28]
	s_delay_alu instid0(VALU_DEP_1) | instskip(NEXT) | instid1(VALU_DEP_1)
	v_fma_f64 v[44:45], -v[25:26], v[27:28], 1.0
	v_fma_f64 v[27:28], v[27:28], v[44:45], v[27:28]
	s_delay_alu instid0(VALU_DEP_1) | instskip(NEXT) | instid1(VALU_DEP_1)
	v_mul_f64 v[44:45], v[46:47], v[27:28]
	v_fma_f64 v[25:26], -v[25:26], v[44:45], v[46:47]
	s_delay_alu instid0(VALU_DEP_1) | instskip(NEXT) | instid1(VALU_DEP_1)
	v_div_fmas_f64 v[25:26], v[25:26], v[27:28], v[44:45]
	v_div_fixup_f64 v[25:26], v[25:26], v[21:22], v[23:24]
	s_delay_alu instid0(VALU_DEP_1) | instskip(NEXT) | instid1(VALU_DEP_1)
	v_fma_f64 v[27:28], v[23:24], v[25:26], v[21:22]
	v_div_scale_f64 v[44:45], null, v[27:28], v[27:28], 1.0
	v_div_scale_f64 v[50:51], vcc_lo, 1.0, v[27:28], 1.0
	s_delay_alu instid0(VALU_DEP_2) | instskip(SKIP_2) | instid1(VALU_DEP_1)
	v_rcp_f64_e32 v[46:47], v[44:45]
	s_waitcnt_depctr 0xfff
	v_fma_f64 v[48:49], -v[44:45], v[46:47], 1.0
	v_fma_f64 v[46:47], v[46:47], v[48:49], v[46:47]
	s_delay_alu instid0(VALU_DEP_1) | instskip(NEXT) | instid1(VALU_DEP_1)
	v_fma_f64 v[48:49], -v[44:45], v[46:47], 1.0
	v_fma_f64 v[46:47], v[46:47], v[48:49], v[46:47]
	s_delay_alu instid0(VALU_DEP_1) | instskip(NEXT) | instid1(VALU_DEP_1)
	v_mul_f64 v[48:49], v[50:51], v[46:47]
	v_fma_f64 v[44:45], -v[44:45], v[48:49], v[50:51]
	s_delay_alu instid0(VALU_DEP_1) | instskip(SKIP_2) | instid1(VALU_DEP_3)
	v_div_fmas_f64 v[44:45], v[44:45], v[46:47], v[48:49]
	v_fma_f64 v[46:47], s[10:11], v[25:26], s[8:9]
	v_fma_f64 v[25:26], -s[8:9], v[25:26], s[10:11]
	v_div_fixup_f64 v[44:45], v[44:45], v[27:28], 1.0
	s_delay_alu instid0(VALU_DEP_1) | instskip(NEXT) | instid1(VALU_DEP_3)
	v_mul_f64 v[27:28], v[46:47], v[44:45]
	v_mul_f64 v[25:26], v[25:26], v[44:45]
.LBB62_49:                              ;   in Loop: Header=BB62_5 Depth=1
	s_and_not1_saveexec_b32 s35, s3
	s_cbranch_execz .LBB62_51
; %bb.50:                               ;   in Loop: Header=BB62_5 Depth=1
	v_div_scale_f64 v[25:26], null, v[39:40], v[39:40], s[8:9]
	v_div_scale_f64 v[27:28], null, v[41:42], v[41:42], s[10:11]
	v_div_scale_f64 v[52:53], vcc_lo, s[8:9], v[39:40], s[8:9]
	s_delay_alu instid0(VALU_DEP_3) | instskip(NEXT) | instid1(VALU_DEP_2)
	v_rcp_f64_e32 v[44:45], v[25:26]
	v_rcp_f64_e32 v[46:47], v[27:28]
	s_waitcnt_depctr 0xfff
	v_fma_f64 v[48:49], -v[25:26], v[44:45], 1.0
	v_fma_f64 v[50:51], -v[27:28], v[46:47], 1.0
	s_delay_alu instid0(VALU_DEP_2) | instskip(NEXT) | instid1(VALU_DEP_2)
	v_fma_f64 v[44:45], v[44:45], v[48:49], v[44:45]
	v_fma_f64 v[46:47], v[46:47], v[50:51], v[46:47]
	s_delay_alu instid0(VALU_DEP_2) | instskip(NEXT) | instid1(VALU_DEP_2)
	v_fma_f64 v[48:49], -v[25:26], v[44:45], 1.0
	v_fma_f64 v[50:51], -v[27:28], v[46:47], 1.0
	s_delay_alu instid0(VALU_DEP_2) | instskip(SKIP_1) | instid1(VALU_DEP_3)
	v_fma_f64 v[44:45], v[44:45], v[48:49], v[44:45]
	v_div_scale_f64 v[48:49], s3, s[10:11], v[41:42], s[10:11]
	v_fma_f64 v[46:47], v[46:47], v[50:51], v[46:47]
	s_delay_alu instid0(VALU_DEP_3) | instskip(NEXT) | instid1(VALU_DEP_2)
	v_mul_f64 v[50:51], v[52:53], v[44:45]
	v_mul_f64 v[54:55], v[48:49], v[46:47]
	s_delay_alu instid0(VALU_DEP_2) | instskip(NEXT) | instid1(VALU_DEP_2)
	v_fma_f64 v[25:26], -v[25:26], v[50:51], v[52:53]
	v_fma_f64 v[27:28], -v[27:28], v[54:55], v[48:49]
	s_delay_alu instid0(VALU_DEP_2) | instskip(SKIP_1) | instid1(VALU_DEP_2)
	v_div_fmas_f64 v[25:26], v[25:26], v[44:45], v[50:51]
	s_mov_b32 vcc_lo, s3
	v_div_fmas_f64 v[44:45], v[27:28], v[46:47], v[54:55]
	s_delay_alu instid0(VALU_DEP_2) | instskip(NEXT) | instid1(VALU_DEP_2)
	v_div_fixup_f64 v[27:28], v[25:26], v[39:40], s[8:9]
	v_div_fixup_f64 v[25:26], v[44:45], v[41:42], s[10:11]
.LBB62_51:                              ;   in Loop: Header=BB62_5 Depth=1
	s_or_b32 exec_lo, exec_lo, s35
.LBB62_52:                              ;   in Loop: Header=BB62_5 Depth=1
	s_and_not1_saveexec_b32 s3, s34
	s_cbranch_execz .LBB62_54
; %bb.53:                               ;   in Loop: Header=BB62_5 Depth=1
	v_div_scale_f64 v[25:26], null, v[23:24], v[23:24], v[21:22]
	v_div_scale_f64 v[46:47], vcc_lo, v[21:22], v[23:24], v[21:22]
	s_delay_alu instid0(VALU_DEP_2) | instskip(SKIP_2) | instid1(VALU_DEP_1)
	v_rcp_f64_e32 v[27:28], v[25:26]
	s_waitcnt_depctr 0xfff
	v_fma_f64 v[44:45], -v[25:26], v[27:28], 1.0
	v_fma_f64 v[27:28], v[27:28], v[44:45], v[27:28]
	s_delay_alu instid0(VALU_DEP_1) | instskip(NEXT) | instid1(VALU_DEP_1)
	v_fma_f64 v[44:45], -v[25:26], v[27:28], 1.0
	v_fma_f64 v[27:28], v[27:28], v[44:45], v[27:28]
	s_delay_alu instid0(VALU_DEP_1) | instskip(NEXT) | instid1(VALU_DEP_1)
	v_mul_f64 v[44:45], v[46:47], v[27:28]
	v_fma_f64 v[25:26], -v[25:26], v[44:45], v[46:47]
	s_delay_alu instid0(VALU_DEP_1) | instskip(NEXT) | instid1(VALU_DEP_1)
	v_div_fmas_f64 v[25:26], v[25:26], v[27:28], v[44:45]
	v_div_fixup_f64 v[25:26], v[25:26], v[23:24], v[21:22]
	s_delay_alu instid0(VALU_DEP_1) | instskip(NEXT) | instid1(VALU_DEP_1)
	v_fma_f64 v[27:28], v[21:22], v[25:26], v[23:24]
	v_div_scale_f64 v[44:45], null, v[27:28], v[27:28], 1.0
	v_div_scale_f64 v[50:51], vcc_lo, 1.0, v[27:28], 1.0
	s_delay_alu instid0(VALU_DEP_2) | instskip(SKIP_2) | instid1(VALU_DEP_1)
	v_rcp_f64_e32 v[46:47], v[44:45]
	s_waitcnt_depctr 0xfff
	v_fma_f64 v[48:49], -v[44:45], v[46:47], 1.0
	v_fma_f64 v[46:47], v[46:47], v[48:49], v[46:47]
	s_delay_alu instid0(VALU_DEP_1) | instskip(NEXT) | instid1(VALU_DEP_1)
	v_fma_f64 v[48:49], -v[44:45], v[46:47], 1.0
	v_fma_f64 v[46:47], v[46:47], v[48:49], v[46:47]
	s_delay_alu instid0(VALU_DEP_1) | instskip(NEXT) | instid1(VALU_DEP_1)
	v_mul_f64 v[48:49], v[50:51], v[46:47]
	v_fma_f64 v[44:45], -v[44:45], v[48:49], v[50:51]
	s_delay_alu instid0(VALU_DEP_1) | instskip(SKIP_2) | instid1(VALU_DEP_3)
	v_div_fmas_f64 v[44:45], v[44:45], v[46:47], v[48:49]
	v_fma_f64 v[46:47], s[8:9], v[25:26], s[10:11]
	v_fma_f64 v[25:26], s[10:11], v[25:26], -s[8:9]
	v_div_fixup_f64 v[44:45], v[44:45], v[27:28], 1.0
	s_delay_alu instid0(VALU_DEP_1) | instskip(NEXT) | instid1(VALU_DEP_3)
	v_mul_f64 v[27:28], v[46:47], v[44:45]
	v_mul_f64 v[25:26], v[25:26], v[44:45]
.LBB62_54:                              ;   in Loop: Header=BB62_5 Depth=1
	s_or_b32 exec_lo, exec_lo, s3
	s_delay_alu instid0(VALU_DEP_1) | instskip(SKIP_1) | instid1(VALU_DEP_2)
	v_mul_f64 v[44:45], s[6:7], v[25:26]
	v_mul_f64 v[46:47], s[4:5], v[25:26]
	v_fma_f64 v[25:26], s[4:5], v[27:28], -v[44:45]
	s_delay_alu instid0(VALU_DEP_2)
	v_fma_f64 v[27:28], s[6:7], v[27:28], v[46:47]
	s_branch .LBB62_65
.LBB62_55:                              ;   in Loop: Header=BB62_5 Depth=1
                                        ; implicit-def: $vgpr27_vgpr28
                                        ; implicit-def: $vgpr25_vgpr26
	s_cbranch_execz .LBB62_65
; %bb.56:                               ;   in Loop: Header=BB62_5 Depth=1
                                        ; implicit-def: $vgpr27_vgpr28
                                        ; implicit-def: $vgpr25_vgpr26
	s_delay_alu instid0(VALU_DEP_1) | instskip(NEXT) | instid1(SALU_CYCLE_1)
	s_and_saveexec_b32 s3, s2
	s_xor_b32 s3, exec_lo, s3
	s_cbranch_execz .LBB62_62
; %bb.57:                               ;   in Loop: Header=BB62_5 Depth=1
	v_cmp_neq_f64_e32 vcc_lo, 0, v[21:22]
	v_cmp_neq_f64_e64 s2, 0, v[23:24]
                                        ; implicit-def: $vgpr27_vgpr28
                                        ; implicit-def: $vgpr25_vgpr26
	s_delay_alu instid0(VALU_DEP_1) | instskip(NEXT) | instid1(SALU_CYCLE_1)
	s_or_b32 s2, vcc_lo, s2
	s_and_saveexec_b32 s34, s2
	s_delay_alu instid0(SALU_CYCLE_1)
	s_xor_b32 s2, exec_lo, s34
	s_cbranch_execz .LBB62_59
; %bb.58:                               ;   in Loop: Header=BB62_5 Depth=1
	v_div_scale_f64 v[25:26], null, v[21:22], v[21:22], v[23:24]
	v_div_scale_f64 v[41:42], vcc_lo, v[23:24], v[21:22], v[23:24]
	s_delay_alu instid0(VALU_DEP_2) | instskip(SKIP_2) | instid1(VALU_DEP_1)
	v_rcp_f64_e32 v[27:28], v[25:26]
	s_waitcnt_depctr 0xfff
	v_fma_f64 v[39:40], -v[25:26], v[27:28], 1.0
	v_fma_f64 v[27:28], v[27:28], v[39:40], v[27:28]
	s_delay_alu instid0(VALU_DEP_1) | instskip(NEXT) | instid1(VALU_DEP_1)
	v_fma_f64 v[39:40], -v[25:26], v[27:28], 1.0
	v_fma_f64 v[27:28], v[27:28], v[39:40], v[27:28]
	s_delay_alu instid0(VALU_DEP_1) | instskip(NEXT) | instid1(VALU_DEP_1)
	v_mul_f64 v[39:40], v[41:42], v[27:28]
	v_fma_f64 v[25:26], -v[25:26], v[39:40], v[41:42]
	s_delay_alu instid0(VALU_DEP_1) | instskip(NEXT) | instid1(VALU_DEP_1)
	v_div_fmas_f64 v[25:26], v[25:26], v[27:28], v[39:40]
	v_div_fixup_f64 v[25:26], v[25:26], v[21:22], v[23:24]
	s_delay_alu instid0(VALU_DEP_1) | instskip(NEXT) | instid1(VALU_DEP_1)
	v_fma_f64 v[21:22], v[23:24], v[25:26], v[21:22]
	v_div_scale_f64 v[23:24], null, v[21:22], v[21:22], 1.0
	v_div_scale_f64 v[41:42], vcc_lo, 1.0, v[21:22], 1.0
	s_delay_alu instid0(VALU_DEP_2) | instskip(SKIP_2) | instid1(VALU_DEP_1)
	v_rcp_f64_e32 v[27:28], v[23:24]
	s_waitcnt_depctr 0xfff
	v_fma_f64 v[39:40], -v[23:24], v[27:28], 1.0
	v_fma_f64 v[27:28], v[27:28], v[39:40], v[27:28]
	s_delay_alu instid0(VALU_DEP_1) | instskip(NEXT) | instid1(VALU_DEP_1)
	v_fma_f64 v[39:40], -v[23:24], v[27:28], 1.0
	v_fma_f64 v[27:28], v[27:28], v[39:40], v[27:28]
	s_delay_alu instid0(VALU_DEP_1) | instskip(NEXT) | instid1(VALU_DEP_1)
	v_mul_f64 v[39:40], v[41:42], v[27:28]
	v_fma_f64 v[23:24], -v[23:24], v[39:40], v[41:42]
                                        ; implicit-def: $vgpr41_vgpr42
	s_delay_alu instid0(VALU_DEP_1) | instskip(SKIP_1) | instid1(VALU_DEP_2)
	v_div_fmas_f64 v[23:24], v[23:24], v[27:28], v[39:40]
	v_fma_f64 v[27:28], s[10:11], v[25:26], s[8:9]
                                        ; implicit-def: $vgpr39_vgpr40
	v_div_fixup_f64 v[21:22], v[23:24], v[21:22], 1.0
	v_fma_f64 v[23:24], -s[8:9], v[25:26], s[10:11]
	s_delay_alu instid0(VALU_DEP_2) | instskip(NEXT) | instid1(VALU_DEP_2)
	v_mul_f64 v[25:26], v[27:28], v[21:22]
	v_mul_f64 v[27:28], v[23:24], v[21:22]
.LBB62_59:                              ;   in Loop: Header=BB62_5 Depth=1
	s_and_not1_saveexec_b32 s34, s2
	s_cbranch_execz .LBB62_61
; %bb.60:                               ;   in Loop: Header=BB62_5 Depth=1
	v_div_scale_f64 v[21:22], null, v[39:40], v[39:40], s[8:9]
	v_div_scale_f64 v[23:24], null, v[41:42], v[41:42], s[10:11]
	v_div_scale_f64 v[48:49], vcc_lo, s[8:9], v[39:40], s[8:9]
	s_delay_alu instid0(VALU_DEP_3) | instskip(NEXT) | instid1(VALU_DEP_2)
	v_rcp_f64_e32 v[25:26], v[21:22]
	v_rcp_f64_e32 v[27:28], v[23:24]
	s_waitcnt_depctr 0xfff
	v_fma_f64 v[44:45], -v[21:22], v[25:26], 1.0
	v_fma_f64 v[46:47], -v[23:24], v[27:28], 1.0
	s_delay_alu instid0(VALU_DEP_2) | instskip(NEXT) | instid1(VALU_DEP_2)
	v_fma_f64 v[25:26], v[25:26], v[44:45], v[25:26]
	v_fma_f64 v[27:28], v[27:28], v[46:47], v[27:28]
	s_delay_alu instid0(VALU_DEP_2) | instskip(NEXT) | instid1(VALU_DEP_2)
	v_fma_f64 v[44:45], -v[21:22], v[25:26], 1.0
	v_fma_f64 v[46:47], -v[23:24], v[27:28], 1.0
	s_delay_alu instid0(VALU_DEP_2) | instskip(SKIP_1) | instid1(VALU_DEP_3)
	v_fma_f64 v[25:26], v[25:26], v[44:45], v[25:26]
	v_div_scale_f64 v[44:45], s2, s[10:11], v[41:42], s[10:11]
	v_fma_f64 v[27:28], v[27:28], v[46:47], v[27:28]
	s_delay_alu instid0(VALU_DEP_3) | instskip(NEXT) | instid1(VALU_DEP_2)
	v_mul_f64 v[46:47], v[48:49], v[25:26]
	v_mul_f64 v[50:51], v[44:45], v[27:28]
	s_delay_alu instid0(VALU_DEP_2) | instskip(NEXT) | instid1(VALU_DEP_2)
	v_fma_f64 v[21:22], -v[21:22], v[46:47], v[48:49]
	v_fma_f64 v[23:24], -v[23:24], v[50:51], v[44:45]
	s_delay_alu instid0(VALU_DEP_2) | instskip(SKIP_1) | instid1(VALU_DEP_2)
	v_div_fmas_f64 v[21:22], v[21:22], v[25:26], v[46:47]
	s_mov_b32 vcc_lo, s2
	v_div_fmas_f64 v[23:24], v[23:24], v[27:28], v[50:51]
	s_delay_alu instid0(VALU_DEP_2) | instskip(NEXT) | instid1(VALU_DEP_2)
	v_div_fixup_f64 v[25:26], v[21:22], v[39:40], s[8:9]
	v_div_fixup_f64 v[27:28], v[23:24], v[41:42], s[10:11]
.LBB62_61:                              ;   in Loop: Header=BB62_5 Depth=1
	s_or_b32 exec_lo, exec_lo, s34
                                        ; implicit-def: $vgpr23_vgpr24
.LBB62_62:                              ;   in Loop: Header=BB62_5 Depth=1
	s_and_not1_saveexec_b32 s2, s3
	s_cbranch_execz .LBB62_64
; %bb.63:                               ;   in Loop: Header=BB62_5 Depth=1
	v_div_scale_f64 v[25:26], null, v[23:24], v[23:24], v[21:22]
	v_div_scale_f64 v[41:42], vcc_lo, v[21:22], v[23:24], v[21:22]
	s_delay_alu instid0(VALU_DEP_2) | instskip(SKIP_2) | instid1(VALU_DEP_1)
	v_rcp_f64_e32 v[27:28], v[25:26]
	s_waitcnt_depctr 0xfff
	v_fma_f64 v[39:40], -v[25:26], v[27:28], 1.0
	v_fma_f64 v[27:28], v[27:28], v[39:40], v[27:28]
	s_delay_alu instid0(VALU_DEP_1) | instskip(NEXT) | instid1(VALU_DEP_1)
	v_fma_f64 v[39:40], -v[25:26], v[27:28], 1.0
	v_fma_f64 v[27:28], v[27:28], v[39:40], v[27:28]
	s_delay_alu instid0(VALU_DEP_1) | instskip(NEXT) | instid1(VALU_DEP_1)
	v_mul_f64 v[39:40], v[41:42], v[27:28]
	v_fma_f64 v[25:26], -v[25:26], v[39:40], v[41:42]
	s_delay_alu instid0(VALU_DEP_1) | instskip(NEXT) | instid1(VALU_DEP_1)
	v_div_fmas_f64 v[25:26], v[25:26], v[27:28], v[39:40]
	v_div_fixup_f64 v[25:26], v[25:26], v[23:24], v[21:22]
	s_delay_alu instid0(VALU_DEP_1) | instskip(NEXT) | instid1(VALU_DEP_1)
	v_fma_f64 v[21:22], v[21:22], v[25:26], v[23:24]
	v_div_scale_f64 v[23:24], null, v[21:22], v[21:22], 1.0
	v_div_scale_f64 v[41:42], vcc_lo, 1.0, v[21:22], 1.0
	s_delay_alu instid0(VALU_DEP_2) | instskip(SKIP_2) | instid1(VALU_DEP_1)
	v_rcp_f64_e32 v[27:28], v[23:24]
	s_waitcnt_depctr 0xfff
	v_fma_f64 v[39:40], -v[23:24], v[27:28], 1.0
	v_fma_f64 v[27:28], v[27:28], v[39:40], v[27:28]
	s_delay_alu instid0(VALU_DEP_1) | instskip(NEXT) | instid1(VALU_DEP_1)
	v_fma_f64 v[39:40], -v[23:24], v[27:28], 1.0
	v_fma_f64 v[27:28], v[27:28], v[39:40], v[27:28]
	s_delay_alu instid0(VALU_DEP_1) | instskip(NEXT) | instid1(VALU_DEP_1)
	v_mul_f64 v[39:40], v[41:42], v[27:28]
	v_fma_f64 v[23:24], -v[23:24], v[39:40], v[41:42]
	s_delay_alu instid0(VALU_DEP_1) | instskip(SKIP_1) | instid1(VALU_DEP_2)
	v_div_fmas_f64 v[23:24], v[23:24], v[27:28], v[39:40]
	v_fma_f64 v[27:28], s[8:9], v[25:26], s[10:11]
	v_div_fixup_f64 v[21:22], v[23:24], v[21:22], 1.0
	v_fma_f64 v[23:24], s[10:11], v[25:26], -s[8:9]
	s_delay_alu instid0(VALU_DEP_2) | instskip(NEXT) | instid1(VALU_DEP_2)
	v_mul_f64 v[25:26], v[27:28], v[21:22]
	v_mul_f64 v[27:28], v[23:24], v[21:22]
.LBB62_64:                              ;   in Loop: Header=BB62_5 Depth=1
	s_or_b32 exec_lo, exec_lo, s2
.LBB62_65:                              ;   in Loop: Header=BB62_5 Depth=1
	v_cmp_gt_f64_e32 vcc_lo, 0, v[17:18]
	v_xor_b32_e32 v22, 0x80000000, v18
	v_mov_b32_e32 v21, v17
	v_xor_b32_e32 v23, 0x80000000, v20
	s_delay_alu instid0(VALU_DEP_3) | instskip(SKIP_1) | instid1(VALU_DEP_3)
	v_cndmask_b32_e32 v22, v18, v22, vcc_lo
	v_cmp_gt_f64_e32 vcc_lo, 0, v[19:20]
	v_dual_cndmask_b32 v24, v20, v23 :: v_dual_mov_b32 v23, v19
	s_and_not1_b32 vcc_lo, exec_lo, s31
	s_delay_alu instid0(VALU_DEP_1)
	v_cmp_ge_f64_e64 s2, v[21:22], v[23:24]
	s_cbranch_vccnz .LBB62_75
; %bb.66:                               ;   in Loop: Header=BB62_5 Depth=1
                                        ; implicit-def: $vgpr39_vgpr40
                                        ; implicit-def: $vgpr41_vgpr42
	s_delay_alu instid0(VALU_DEP_1) | instskip(NEXT) | instid1(SALU_CYCLE_1)
	s_and_saveexec_b32 s3, s2
	s_xor_b32 s34, exec_lo, s3
	s_cbranch_execz .LBB62_72
; %bb.67:                               ;   in Loop: Header=BB62_5 Depth=1
	v_cmp_neq_f64_e32 vcc_lo, 0, v[17:18]
	v_cmp_neq_f64_e64 s3, 0, v[19:20]
                                        ; implicit-def: $vgpr39_vgpr40
                                        ; implicit-def: $vgpr41_vgpr42
	s_delay_alu instid0(VALU_DEP_1) | instskip(NEXT) | instid1(SALU_CYCLE_1)
	s_or_b32 s3, vcc_lo, s3
	s_and_saveexec_b32 s35, s3
	s_delay_alu instid0(SALU_CYCLE_1)
	s_xor_b32 s3, exec_lo, s35
	s_cbranch_execz .LBB62_69
; %bb.68:                               ;   in Loop: Header=BB62_5 Depth=1
	v_div_scale_f64 v[39:40], null, v[17:18], v[17:18], v[19:20]
	v_div_scale_f64 v[46:47], vcc_lo, v[19:20], v[17:18], v[19:20]
	s_delay_alu instid0(VALU_DEP_2) | instskip(SKIP_2) | instid1(VALU_DEP_1)
	v_rcp_f64_e32 v[41:42], v[39:40]
	s_waitcnt_depctr 0xfff
	v_fma_f64 v[44:45], -v[39:40], v[41:42], 1.0
	v_fma_f64 v[41:42], v[41:42], v[44:45], v[41:42]
	s_delay_alu instid0(VALU_DEP_1) | instskip(NEXT) | instid1(VALU_DEP_1)
	v_fma_f64 v[44:45], -v[39:40], v[41:42], 1.0
	v_fma_f64 v[41:42], v[41:42], v[44:45], v[41:42]
	s_delay_alu instid0(VALU_DEP_1) | instskip(NEXT) | instid1(VALU_DEP_1)
	v_mul_f64 v[44:45], v[46:47], v[41:42]
	v_fma_f64 v[39:40], -v[39:40], v[44:45], v[46:47]
	s_delay_alu instid0(VALU_DEP_1) | instskip(NEXT) | instid1(VALU_DEP_1)
	v_div_fmas_f64 v[39:40], v[39:40], v[41:42], v[44:45]
	v_div_fixup_f64 v[39:40], v[39:40], v[17:18], v[19:20]
	s_delay_alu instid0(VALU_DEP_1) | instskip(NEXT) | instid1(VALU_DEP_1)
	v_fma_f64 v[41:42], v[19:20], v[39:40], v[17:18]
	v_div_scale_f64 v[44:45], null, v[41:42], v[41:42], 1.0
	v_div_scale_f64 v[50:51], vcc_lo, 1.0, v[41:42], 1.0
	s_delay_alu instid0(VALU_DEP_2) | instskip(SKIP_2) | instid1(VALU_DEP_1)
	v_rcp_f64_e32 v[46:47], v[44:45]
	s_waitcnt_depctr 0xfff
	v_fma_f64 v[48:49], -v[44:45], v[46:47], 1.0
	v_fma_f64 v[46:47], v[46:47], v[48:49], v[46:47]
	s_delay_alu instid0(VALU_DEP_1) | instskip(NEXT) | instid1(VALU_DEP_1)
	v_fma_f64 v[48:49], -v[44:45], v[46:47], 1.0
	v_fma_f64 v[46:47], v[46:47], v[48:49], v[46:47]
	s_delay_alu instid0(VALU_DEP_1) | instskip(NEXT) | instid1(VALU_DEP_1)
	v_mul_f64 v[48:49], v[50:51], v[46:47]
	v_fma_f64 v[44:45], -v[44:45], v[48:49], v[50:51]
	s_delay_alu instid0(VALU_DEP_1) | instskip(SKIP_2) | instid1(VALU_DEP_3)
	v_div_fmas_f64 v[44:45], v[44:45], v[46:47], v[48:49]
	v_fma_f64 v[46:47], s[10:11], v[39:40], s[8:9]
	v_fma_f64 v[39:40], -s[8:9], v[39:40], s[10:11]
	v_div_fixup_f64 v[44:45], v[44:45], v[41:42], 1.0
	s_delay_alu instid0(VALU_DEP_1) | instskip(NEXT) | instid1(VALU_DEP_3)
	v_mul_f64 v[41:42], v[46:47], v[44:45]
	v_mul_f64 v[39:40], v[39:40], v[44:45]
.LBB62_69:                              ;   in Loop: Header=BB62_5 Depth=1
	s_and_not1_saveexec_b32 s35, s3
	s_cbranch_execz .LBB62_71
; %bb.70:                               ;   in Loop: Header=BB62_5 Depth=1
	v_div_scale_f64 v[39:40], null, v[21:22], v[21:22], s[8:9]
	v_div_scale_f64 v[41:42], null, v[23:24], v[23:24], s[10:11]
	v_div_scale_f64 v[52:53], vcc_lo, s[8:9], v[21:22], s[8:9]
	s_delay_alu instid0(VALU_DEP_3) | instskip(NEXT) | instid1(VALU_DEP_2)
	v_rcp_f64_e32 v[44:45], v[39:40]
	v_rcp_f64_e32 v[46:47], v[41:42]
	s_waitcnt_depctr 0xfff
	v_fma_f64 v[48:49], -v[39:40], v[44:45], 1.0
	v_fma_f64 v[50:51], -v[41:42], v[46:47], 1.0
	s_delay_alu instid0(VALU_DEP_2) | instskip(NEXT) | instid1(VALU_DEP_2)
	v_fma_f64 v[44:45], v[44:45], v[48:49], v[44:45]
	v_fma_f64 v[46:47], v[46:47], v[50:51], v[46:47]
	s_delay_alu instid0(VALU_DEP_2) | instskip(NEXT) | instid1(VALU_DEP_2)
	v_fma_f64 v[48:49], -v[39:40], v[44:45], 1.0
	v_fma_f64 v[50:51], -v[41:42], v[46:47], 1.0
	s_delay_alu instid0(VALU_DEP_2) | instskip(SKIP_1) | instid1(VALU_DEP_3)
	v_fma_f64 v[44:45], v[44:45], v[48:49], v[44:45]
	v_div_scale_f64 v[48:49], s3, s[10:11], v[23:24], s[10:11]
	v_fma_f64 v[46:47], v[46:47], v[50:51], v[46:47]
	s_delay_alu instid0(VALU_DEP_3) | instskip(NEXT) | instid1(VALU_DEP_2)
	v_mul_f64 v[50:51], v[52:53], v[44:45]
	v_mul_f64 v[54:55], v[48:49], v[46:47]
	s_delay_alu instid0(VALU_DEP_2) | instskip(NEXT) | instid1(VALU_DEP_2)
	v_fma_f64 v[39:40], -v[39:40], v[50:51], v[52:53]
	v_fma_f64 v[41:42], -v[41:42], v[54:55], v[48:49]
	s_delay_alu instid0(VALU_DEP_2) | instskip(SKIP_1) | instid1(VALU_DEP_2)
	v_div_fmas_f64 v[39:40], v[39:40], v[44:45], v[50:51]
	s_mov_b32 vcc_lo, s3
	v_div_fmas_f64 v[44:45], v[41:42], v[46:47], v[54:55]
	s_delay_alu instid0(VALU_DEP_2) | instskip(NEXT) | instid1(VALU_DEP_2)
	v_div_fixup_f64 v[41:42], v[39:40], v[21:22], s[8:9]
	v_div_fixup_f64 v[39:40], v[44:45], v[23:24], s[10:11]
.LBB62_71:                              ;   in Loop: Header=BB62_5 Depth=1
	s_or_b32 exec_lo, exec_lo, s35
.LBB62_72:                              ;   in Loop: Header=BB62_5 Depth=1
	s_and_not1_saveexec_b32 s3, s34
	s_cbranch_execz .LBB62_74
; %bb.73:                               ;   in Loop: Header=BB62_5 Depth=1
	v_div_scale_f64 v[39:40], null, v[19:20], v[19:20], v[17:18]
	v_div_scale_f64 v[46:47], vcc_lo, v[17:18], v[19:20], v[17:18]
	s_delay_alu instid0(VALU_DEP_2) | instskip(SKIP_2) | instid1(VALU_DEP_1)
	v_rcp_f64_e32 v[41:42], v[39:40]
	s_waitcnt_depctr 0xfff
	v_fma_f64 v[44:45], -v[39:40], v[41:42], 1.0
	v_fma_f64 v[41:42], v[41:42], v[44:45], v[41:42]
	s_delay_alu instid0(VALU_DEP_1) | instskip(NEXT) | instid1(VALU_DEP_1)
	v_fma_f64 v[44:45], -v[39:40], v[41:42], 1.0
	v_fma_f64 v[41:42], v[41:42], v[44:45], v[41:42]
	s_delay_alu instid0(VALU_DEP_1) | instskip(NEXT) | instid1(VALU_DEP_1)
	v_mul_f64 v[44:45], v[46:47], v[41:42]
	v_fma_f64 v[39:40], -v[39:40], v[44:45], v[46:47]
	s_delay_alu instid0(VALU_DEP_1) | instskip(NEXT) | instid1(VALU_DEP_1)
	v_div_fmas_f64 v[39:40], v[39:40], v[41:42], v[44:45]
	v_div_fixup_f64 v[39:40], v[39:40], v[19:20], v[17:18]
	s_delay_alu instid0(VALU_DEP_1) | instskip(NEXT) | instid1(VALU_DEP_1)
	v_fma_f64 v[41:42], v[17:18], v[39:40], v[19:20]
	v_div_scale_f64 v[44:45], null, v[41:42], v[41:42], 1.0
	v_div_scale_f64 v[50:51], vcc_lo, 1.0, v[41:42], 1.0
	s_delay_alu instid0(VALU_DEP_2) | instskip(SKIP_2) | instid1(VALU_DEP_1)
	v_rcp_f64_e32 v[46:47], v[44:45]
	s_waitcnt_depctr 0xfff
	v_fma_f64 v[48:49], -v[44:45], v[46:47], 1.0
	v_fma_f64 v[46:47], v[46:47], v[48:49], v[46:47]
	s_delay_alu instid0(VALU_DEP_1) | instskip(NEXT) | instid1(VALU_DEP_1)
	v_fma_f64 v[48:49], -v[44:45], v[46:47], 1.0
	v_fma_f64 v[46:47], v[46:47], v[48:49], v[46:47]
	s_delay_alu instid0(VALU_DEP_1) | instskip(NEXT) | instid1(VALU_DEP_1)
	v_mul_f64 v[48:49], v[50:51], v[46:47]
	v_fma_f64 v[44:45], -v[44:45], v[48:49], v[50:51]
	s_delay_alu instid0(VALU_DEP_1) | instskip(SKIP_2) | instid1(VALU_DEP_3)
	v_div_fmas_f64 v[44:45], v[44:45], v[46:47], v[48:49]
	v_fma_f64 v[46:47], s[8:9], v[39:40], s[10:11]
	v_fma_f64 v[39:40], s[10:11], v[39:40], -s[8:9]
	v_div_fixup_f64 v[44:45], v[44:45], v[41:42], 1.0
	s_delay_alu instid0(VALU_DEP_1) | instskip(NEXT) | instid1(VALU_DEP_3)
	v_mul_f64 v[41:42], v[46:47], v[44:45]
	v_mul_f64 v[39:40], v[39:40], v[44:45]
.LBB62_74:                              ;   in Loop: Header=BB62_5 Depth=1
	s_or_b32 exec_lo, exec_lo, s3
	s_delay_alu instid0(VALU_DEP_1) | instskip(SKIP_1) | instid1(VALU_DEP_2)
	v_mul_f64 v[44:45], s[6:7], v[39:40]
	v_mul_f64 v[46:47], s[4:5], v[39:40]
	v_fma_f64 v[39:40], s[4:5], v[41:42], -v[44:45]
	s_delay_alu instid0(VALU_DEP_2)
	v_fma_f64 v[41:42], s[6:7], v[41:42], v[46:47]
	s_branch .LBB62_4
.LBB62_75:                              ;   in Loop: Header=BB62_5 Depth=1
                                        ; implicit-def: $vgpr41_vgpr42
                                        ; implicit-def: $vgpr39_vgpr40
	s_cbranch_execz .LBB62_4
; %bb.76:                               ;   in Loop: Header=BB62_5 Depth=1
                                        ; implicit-def: $vgpr41_vgpr42
                                        ; implicit-def: $vgpr39_vgpr40
	s_delay_alu instid0(VALU_DEP_1) | instskip(NEXT) | instid1(SALU_CYCLE_1)
	s_and_saveexec_b32 s3, s2
	s_xor_b32 s3, exec_lo, s3
	s_cbranch_execz .LBB62_82
; %bb.77:                               ;   in Loop: Header=BB62_5 Depth=1
	v_cmp_neq_f64_e32 vcc_lo, 0, v[17:18]
	v_cmp_neq_f64_e64 s2, 0, v[19:20]
                                        ; implicit-def: $vgpr41_vgpr42
                                        ; implicit-def: $vgpr39_vgpr40
	s_delay_alu instid0(VALU_DEP_1) | instskip(NEXT) | instid1(SALU_CYCLE_1)
	s_or_b32 s2, vcc_lo, s2
	s_and_saveexec_b32 s34, s2
	s_delay_alu instid0(SALU_CYCLE_1)
	s_xor_b32 s2, exec_lo, s34
	s_cbranch_execz .LBB62_79
; %bb.78:                               ;   in Loop: Header=BB62_5 Depth=1
	v_div_scale_f64 v[21:22], null, v[17:18], v[17:18], v[19:20]
	v_div_scale_f64 v[41:42], vcc_lo, v[19:20], v[17:18], v[19:20]
	s_delay_alu instid0(VALU_DEP_2) | instskip(SKIP_2) | instid1(VALU_DEP_1)
	v_rcp_f64_e32 v[23:24], v[21:22]
	s_waitcnt_depctr 0xfff
	v_fma_f64 v[39:40], -v[21:22], v[23:24], 1.0
	v_fma_f64 v[23:24], v[23:24], v[39:40], v[23:24]
	s_delay_alu instid0(VALU_DEP_1) | instskip(NEXT) | instid1(VALU_DEP_1)
	v_fma_f64 v[39:40], -v[21:22], v[23:24], 1.0
	v_fma_f64 v[23:24], v[23:24], v[39:40], v[23:24]
	s_delay_alu instid0(VALU_DEP_1) | instskip(NEXT) | instid1(VALU_DEP_1)
	v_mul_f64 v[39:40], v[41:42], v[23:24]
	v_fma_f64 v[21:22], -v[21:22], v[39:40], v[41:42]
	s_delay_alu instid0(VALU_DEP_1) | instskip(NEXT) | instid1(VALU_DEP_1)
	v_div_fmas_f64 v[21:22], v[21:22], v[23:24], v[39:40]
	v_div_fixup_f64 v[21:22], v[21:22], v[17:18], v[19:20]
	s_delay_alu instid0(VALU_DEP_1) | instskip(NEXT) | instid1(VALU_DEP_1)
	v_fma_f64 v[17:18], v[19:20], v[21:22], v[17:18]
	v_div_scale_f64 v[19:20], null, v[17:18], v[17:18], 1.0
	v_div_scale_f64 v[41:42], vcc_lo, 1.0, v[17:18], 1.0
	s_delay_alu instid0(VALU_DEP_2) | instskip(SKIP_2) | instid1(VALU_DEP_1)
	v_rcp_f64_e32 v[23:24], v[19:20]
	s_waitcnt_depctr 0xfff
	v_fma_f64 v[39:40], -v[19:20], v[23:24], 1.0
	v_fma_f64 v[23:24], v[23:24], v[39:40], v[23:24]
	s_delay_alu instid0(VALU_DEP_1) | instskip(NEXT) | instid1(VALU_DEP_1)
	v_fma_f64 v[39:40], -v[19:20], v[23:24], 1.0
	v_fma_f64 v[23:24], v[23:24], v[39:40], v[23:24]
	s_delay_alu instid0(VALU_DEP_1) | instskip(NEXT) | instid1(VALU_DEP_1)
	v_mul_f64 v[39:40], v[41:42], v[23:24]
	v_fma_f64 v[19:20], -v[19:20], v[39:40], v[41:42]
	s_delay_alu instid0(VALU_DEP_1) | instskip(SKIP_1) | instid1(VALU_DEP_2)
	v_div_fmas_f64 v[19:20], v[19:20], v[23:24], v[39:40]
	v_fma_f64 v[23:24], s[10:11], v[21:22], s[8:9]
	v_div_fixup_f64 v[17:18], v[19:20], v[17:18], 1.0
	v_fma_f64 v[19:20], -s[8:9], v[21:22], s[10:11]
                                        ; implicit-def: $vgpr21_vgpr22
	s_delay_alu instid0(VALU_DEP_2) | instskip(NEXT) | instid1(VALU_DEP_2)
	v_mul_f64 v[39:40], v[23:24], v[17:18]
	v_mul_f64 v[41:42], v[19:20], v[17:18]
                                        ; implicit-def: $vgpr23_vgpr24
.LBB62_79:                              ;   in Loop: Header=BB62_5 Depth=1
	s_and_not1_saveexec_b32 s34, s2
	s_cbranch_execz .LBB62_81
; %bb.80:                               ;   in Loop: Header=BB62_5 Depth=1
	v_div_scale_f64 v[17:18], null, v[21:22], v[21:22], s[8:9]
	v_div_scale_f64 v[19:20], null, v[23:24], v[23:24], s[10:11]
	v_div_scale_f64 v[48:49], vcc_lo, s[8:9], v[21:22], s[8:9]
	s_delay_alu instid0(VALU_DEP_3) | instskip(NEXT) | instid1(VALU_DEP_2)
	v_rcp_f64_e32 v[39:40], v[17:18]
	v_rcp_f64_e32 v[41:42], v[19:20]
	s_waitcnt_depctr 0xfff
	v_fma_f64 v[44:45], -v[17:18], v[39:40], 1.0
	v_fma_f64 v[46:47], -v[19:20], v[41:42], 1.0
	s_delay_alu instid0(VALU_DEP_2) | instskip(NEXT) | instid1(VALU_DEP_2)
	v_fma_f64 v[39:40], v[39:40], v[44:45], v[39:40]
	v_fma_f64 v[41:42], v[41:42], v[46:47], v[41:42]
	s_delay_alu instid0(VALU_DEP_2) | instskip(NEXT) | instid1(VALU_DEP_2)
	v_fma_f64 v[44:45], -v[17:18], v[39:40], 1.0
	v_fma_f64 v[46:47], -v[19:20], v[41:42], 1.0
	s_delay_alu instid0(VALU_DEP_2) | instskip(SKIP_1) | instid1(VALU_DEP_3)
	v_fma_f64 v[39:40], v[39:40], v[44:45], v[39:40]
	v_div_scale_f64 v[44:45], s2, s[10:11], v[23:24], s[10:11]
	v_fma_f64 v[41:42], v[41:42], v[46:47], v[41:42]
	s_delay_alu instid0(VALU_DEP_3) | instskip(NEXT) | instid1(VALU_DEP_2)
	v_mul_f64 v[46:47], v[48:49], v[39:40]
	v_mul_f64 v[50:51], v[44:45], v[41:42]
	s_delay_alu instid0(VALU_DEP_2) | instskip(NEXT) | instid1(VALU_DEP_2)
	v_fma_f64 v[17:18], -v[17:18], v[46:47], v[48:49]
	v_fma_f64 v[19:20], -v[19:20], v[50:51], v[44:45]
	s_delay_alu instid0(VALU_DEP_2) | instskip(SKIP_1) | instid1(VALU_DEP_2)
	v_div_fmas_f64 v[17:18], v[17:18], v[39:40], v[46:47]
	s_mov_b32 vcc_lo, s2
	v_div_fmas_f64 v[19:20], v[19:20], v[41:42], v[50:51]
	s_delay_alu instid0(VALU_DEP_2) | instskip(NEXT) | instid1(VALU_DEP_2)
	v_div_fixup_f64 v[39:40], v[17:18], v[21:22], s[8:9]
	v_div_fixup_f64 v[41:42], v[19:20], v[23:24], s[10:11]
.LBB62_81:                              ;   in Loop: Header=BB62_5 Depth=1
	s_or_b32 exec_lo, exec_lo, s34
                                        ; implicit-def: $vgpr19_vgpr20
.LBB62_82:                              ;   in Loop: Header=BB62_5 Depth=1
	s_and_not1_saveexec_b32 s2, s3
	s_cbranch_execz .LBB62_3
; %bb.83:                               ;   in Loop: Header=BB62_5 Depth=1
	v_div_scale_f64 v[21:22], null, v[19:20], v[19:20], v[17:18]
	v_div_scale_f64 v[41:42], vcc_lo, v[17:18], v[19:20], v[17:18]
	s_delay_alu instid0(VALU_DEP_2) | instskip(SKIP_2) | instid1(VALU_DEP_1)
	v_rcp_f64_e32 v[23:24], v[21:22]
	s_waitcnt_depctr 0xfff
	v_fma_f64 v[39:40], -v[21:22], v[23:24], 1.0
	v_fma_f64 v[23:24], v[23:24], v[39:40], v[23:24]
	s_delay_alu instid0(VALU_DEP_1) | instskip(NEXT) | instid1(VALU_DEP_1)
	v_fma_f64 v[39:40], -v[21:22], v[23:24], 1.0
	v_fma_f64 v[23:24], v[23:24], v[39:40], v[23:24]
	s_delay_alu instid0(VALU_DEP_1) | instskip(NEXT) | instid1(VALU_DEP_1)
	v_mul_f64 v[39:40], v[41:42], v[23:24]
	v_fma_f64 v[21:22], -v[21:22], v[39:40], v[41:42]
	s_delay_alu instid0(VALU_DEP_1) | instskip(NEXT) | instid1(VALU_DEP_1)
	v_div_fmas_f64 v[21:22], v[21:22], v[23:24], v[39:40]
	v_div_fixup_f64 v[21:22], v[21:22], v[19:20], v[17:18]
	s_delay_alu instid0(VALU_DEP_1) | instskip(NEXT) | instid1(VALU_DEP_1)
	v_fma_f64 v[17:18], v[17:18], v[21:22], v[19:20]
	v_div_scale_f64 v[19:20], null, v[17:18], v[17:18], 1.0
	v_div_scale_f64 v[41:42], vcc_lo, 1.0, v[17:18], 1.0
	s_delay_alu instid0(VALU_DEP_2) | instskip(SKIP_2) | instid1(VALU_DEP_1)
	v_rcp_f64_e32 v[23:24], v[19:20]
	s_waitcnt_depctr 0xfff
	v_fma_f64 v[39:40], -v[19:20], v[23:24], 1.0
	v_fma_f64 v[23:24], v[23:24], v[39:40], v[23:24]
	s_delay_alu instid0(VALU_DEP_1) | instskip(NEXT) | instid1(VALU_DEP_1)
	v_fma_f64 v[39:40], -v[19:20], v[23:24], 1.0
	v_fma_f64 v[23:24], v[23:24], v[39:40], v[23:24]
	s_delay_alu instid0(VALU_DEP_1) | instskip(NEXT) | instid1(VALU_DEP_1)
	v_mul_f64 v[39:40], v[41:42], v[23:24]
	v_fma_f64 v[19:20], -v[19:20], v[39:40], v[41:42]
	s_delay_alu instid0(VALU_DEP_1) | instskip(SKIP_1) | instid1(VALU_DEP_2)
	v_div_fmas_f64 v[19:20], v[19:20], v[23:24], v[39:40]
	v_fma_f64 v[23:24], s[8:9], v[21:22], s[10:11]
	v_div_fixup_f64 v[17:18], v[19:20], v[17:18], 1.0
	v_fma_f64 v[19:20], s[10:11], v[21:22], -s[8:9]
	s_delay_alu instid0(VALU_DEP_2) | instskip(NEXT) | instid1(VALU_DEP_2)
	v_mul_f64 v[39:40], v[23:24], v[17:18]
	v_mul_f64 v[41:42], v[19:20], v[17:18]
	s_branch .LBB62_3
.LBB62_84:
	s_or_b32 exec_lo, exec_lo, s28
	s_mov_b32 s2, 0
.LBB62_85:
	s_delay_alu instid0(SALU_CYCLE_1)
	s_and_not1_b32 vcc_lo, exec_lo, s2
	s_cbranch_vccnz .LBB62_185
; %bb.86:
	v_cmp_lt_i64_e64 s2, s[14:15], 1
	s_delay_alu instid0(VALU_DEP_1)
	s_and_b32 vcc_lo, exec_lo, s2
	s_cbranch_vccnz .LBB62_185
; %bb.87:
	s_waitcnt lgkmcnt(0)
	v_cmp_neq_f64_e64 s2, s[4:5], 1.0
	v_cmp_neq_f64_e64 s16, s[6:7], 0
	s_load_b32 s0, s[0:1], 0xc0c
	v_dual_mov_b32 v1, 0 :: v_dual_lshlrev_b32 v6, 4, v0
	v_cmp_gt_u64_e64 s1, 0x10000, s[14:15]
	s_mov_b32 s3, 0
	s_delay_alu instid0(VALU_DEP_2) | instskip(NEXT) | instid1(VALU_DEP_3)
	v_or_b32_e32 v2, 8, v6
	v_mov_b32_e32 v3, v1
	s_delay_alu instid0(VALU_DEP_2) | instskip(NEXT) | instid1(VALU_DEP_1)
	v_add_co_u32 v48, s17, s20, v2
	v_add_co_ci_u32_e64 v49, null, s21, 0, s17
	v_add_co_u32 v50, s17, s18, v2
	s_delay_alu instid0(VALU_DEP_1)
	v_add_co_ci_u32_e64 v51, null, s19, 0, s17
	s_waitcnt lgkmcnt(0)
	s_and_b32 s24, s0, 0xffff
	v_add_co_u32 v52, s0, s22, v2
	v_add_lshl_u32 v7, v0, s24, 4
	v_add_co_ci_u32_e64 v53, null, s23, 0, s0
	v_mad_u64_u32 v[4:5], null, s24, 48, v[2:3]
	s_delay_alu instid0(VALU_DEP_3) | instskip(NEXT) | instid1(VALU_DEP_1)
	v_add_co_u32 v54, s0, s22, v7
	v_add_co_ci_u32_e64 v55, null, s23, 0, s0
	v_add_co_u32 v56, s0, s18, v7
	s_delay_alu instid0(VALU_DEP_1)
	v_add_co_ci_u32_e64 v57, null, s19, 0, s0
	v_add_co_u32 v60, vcc_lo, s20, v4
	s_or_b32 s26, s2, s16
	s_and_b32 s0, s1, exec_lo
	v_add_co_u32 v58, s0, s20, v7
	s_cselect_b32 s17, s15, 0
	s_cselect_b32 s16, s14, 0x10000
	v_add_co_ci_u32_e64 v59, null, s21, 0, s0
	s_lshl_b32 s0, s24, 5
	v_add_co_ci_u32_e32 v61, vcc_lo, s21, v5, vcc_lo
	v_add_co_u32 v2, s0, s0, v6
	s_delay_alu instid0(VALU_DEP_1) | instskip(SKIP_2) | instid1(VALU_DEP_4)
	v_add_co_ci_u32_e64 v3, null, 0, 0, s0
	v_add_co_u32 v62, vcc_lo, s18, v4
	v_add_co_ci_u32_e32 v63, vcc_lo, s19, v5, vcc_lo
	v_add_co_u32 v64, vcc_lo, s22, v2
	s_delay_alu instid0(VALU_DEP_4)
	v_add_co_ci_u32_e32 v65, vcc_lo, s23, v3, vcc_lo
	v_add_co_u32 v66, vcc_lo, s22, v4
	v_add_co_ci_u32_e32 v67, vcc_lo, s23, v5, vcc_lo
	v_add_co_u32 v4, vcc_lo, v2, s20
	;; [unrolled: 2-line block ×3, first 2 shown]
	v_add_co_ci_u32_e32 v69, vcc_lo, s19, v3, vcc_lo
	s_delay_alu instid0(VALU_DEP_4) | instskip(NEXT) | instid1(VALU_DEP_4)
	v_add_co_u32 v70, vcc_lo, v4, 8
	v_add_co_ci_u32_e32 v71, vcc_lo, 0, v5, vcc_lo
	s_lshl_b32 s2, s24, 2
	s_mul_i32 s25, s24, 3
	s_lshl_b32 s27, s24, 1
	s_lshl_b32 s20, s24, 6
	s_mov_b64 s[18:19], s[2:3]
	s_branch .LBB62_89
.LBB62_88:                              ;   in Loop: Header=BB62_89 Depth=1
	s_or_b32 exec_lo, exec_lo, s0
	v_add_co_u32 v0, vcc_lo, v0, s2
	v_add_co_ci_u32_e32 v1, vcc_lo, 0, v1, vcc_lo
	v_add_co_u32 v48, vcc_lo, v48, s20
	v_add_co_ci_u32_e32 v49, vcc_lo, 0, v49, vcc_lo
	;; [unrolled: 2-line block ×11, first 2 shown]
	v_cmp_ge_i64_e64 s0, s[18:19], s[14:15]
	v_cmp_lt_u64_e64 s1, 0xffff, s[18:19]
	v_add_co_u32 v68, vcc_lo, v68, s20
	v_add_co_ci_u32_e32 v69, vcc_lo, 0, v69, vcc_lo
	v_add_co_u32 v70, vcc_lo, v70, s20
	v_add_co_ci_u32_e32 v71, vcc_lo, 0, v71, vcc_lo
	s_or_b32 s0, s0, s1
	s_add_u32 s18, s18, s2
	s_addc_u32 s19, s19, 0
	s_and_b32 vcc_lo, exec_lo, s0
	s_cbranch_vccnz .LBB62_185
.LBB62_89:                              ; =>This Inner Loop Header: Depth=1
	v_mov_b32_e32 v28, 0
	v_mov_b32_e32 v29, 0
	v_cmp_gt_i64_e32 vcc_lo, s[14:15], v[0:1]
	v_cmp_gt_u64_e64 s0, 0x10000, v[0:1]
	s_delay_alu instid0(VALU_DEP_4) | instskip(NEXT) | instid1(VALU_DEP_4)
	v_mov_b32_e32 v4, v28
	v_dual_mov_b32 v2, v28 :: v_dual_mov_b32 v3, v29
	v_dual_mov_b32 v33, v29 :: v_dual_mov_b32 v32, v28
	v_dual_mov_b32 v31, v29 :: v_dual_mov_b32 v30, v28
	v_mov_b32_e32 v5, v29
	s_and_b32 s1, vcc_lo, s0
	s_delay_alu instid0(SALU_CYCLE_1)
	s_and_saveexec_b32 s0, s1
	s_cbranch_execz .LBB62_91
; %bb.90:                               ;   in Loop: Header=BB62_89 Depth=1
	v_add_co_u32 v2, vcc_lo, v50, s12
	v_add_co_ci_u32_e32 v3, vcc_lo, s13, v51, vcc_lo
	v_add_co_u32 v6, vcc_lo, v48, s12
	v_add_co_ci_u32_e32 v7, vcc_lo, s13, v49, vcc_lo
	global_load_b128 v[2:5], v[2:3], off offset:-8
	global_load_b128 v[30:33], v[6:7], off offset:-8
.LBB62_91:                              ;   in Loop: Header=BB62_89 Depth=1
	s_or_b32 exec_lo, exec_lo, s0
	v_add_co_u32 v34, vcc_lo, s24, v0
	v_add_co_ci_u32_e32 v35, vcc_lo, 0, v1, vcc_lo
	v_dual_mov_b32 v26, v28 :: v_dual_mov_b32 v27, v29
	v_dual_mov_b32 v8, v28 :: v_dual_mov_b32 v9, v29
	s_delay_alu instid0(VALU_DEP_3) | instskip(SKIP_2) | instid1(VALU_DEP_2)
	v_cmp_gt_i64_e32 vcc_lo, s[14:15], v[34:35]
	v_cmp_gt_u64_e64 s0, 0x10000, v[34:35]
	v_dual_mov_b32 v6, v28 :: v_dual_mov_b32 v7, v29
	s_and_b32 s1, vcc_lo, s0
	s_delay_alu instid0(SALU_CYCLE_1)
	s_and_saveexec_b32 s0, s1
	s_cbranch_execz .LBB62_93
; %bb.92:                               ;   in Loop: Header=BB62_89 Depth=1
	v_add_co_u32 v6, vcc_lo, v56, s12
	v_add_co_ci_u32_e32 v7, vcc_lo, s13, v57, vcc_lo
	v_add_co_u32 v10, vcc_lo, v58, s12
	v_add_co_ci_u32_e32 v11, vcc_lo, s13, v59, vcc_lo
	global_load_b128 v[6:9], v[6:7], off
	global_load_b128 v[26:29], v[10:11], off
.LBB62_93:                              ;   in Loop: Header=BB62_89 Depth=1
	s_or_b32 exec_lo, exec_lo, s0
	v_add_co_u32 v36, vcc_lo, s27, v0
	v_add_co_ci_u32_e32 v37, vcc_lo, 0, v1, vcc_lo
	v_mov_b32_e32 v20, 0
	v_mov_b32_e32 v21, 0
	s_delay_alu instid0(VALU_DEP_2) | instskip(NEXT) | instid1(VALU_DEP_4)
	v_mov_b32_e32 v12, v20
	v_cmp_gt_i64_e32 vcc_lo, s[14:15], v[36:37]
	v_cmp_gt_u64_e64 s0, 0x10000, v[36:37]
	s_delay_alu instid0(VALU_DEP_4) | instskip(SKIP_4) | instid1(SALU_CYCLE_1)
	v_dual_mov_b32 v10, v20 :: v_dual_mov_b32 v11, v21
	v_dual_mov_b32 v25, v21 :: v_dual_mov_b32 v24, v20
	;; [unrolled: 1-line block ×3, first 2 shown]
	v_mov_b32_e32 v13, v21
	s_and_b32 s1, vcc_lo, s0
	s_and_saveexec_b32 s0, s1
	s_cbranch_execz .LBB62_95
; %bb.94:                               ;   in Loop: Header=BB62_89 Depth=1
	v_add_co_u32 v10, vcc_lo, v68, s12
	v_add_co_ci_u32_e32 v11, vcc_lo, s13, v69, vcc_lo
	v_add_co_u32 v14, vcc_lo, v70, s12
	v_add_co_ci_u32_e32 v15, vcc_lo, s13, v71, vcc_lo
	global_load_b128 v[10:13], v[10:11], off
	global_load_b128 v[22:25], v[14:15], off offset:-8
.LBB62_95:                              ;   in Loop: Header=BB62_89 Depth=1
	s_or_b32 exec_lo, exec_lo, s0
	v_add_co_u32 v38, vcc_lo, s25, v0
	v_add_co_ci_u32_e32 v39, vcc_lo, 0, v1, vcc_lo
	v_dual_mov_b32 v18, v20 :: v_dual_mov_b32 v19, v21
	v_dual_mov_b32 v16, v20 :: v_dual_mov_b32 v17, v21
	s_delay_alu instid0(VALU_DEP_3) | instskip(SKIP_2) | instid1(VALU_DEP_2)
	v_cmp_gt_i64_e32 vcc_lo, s[14:15], v[38:39]
	v_cmp_gt_u64_e64 s0, 0x10000, v[38:39]
	v_dual_mov_b32 v14, v20 :: v_dual_mov_b32 v15, v21
	s_and_b32 s1, vcc_lo, s0
	s_delay_alu instid0(SALU_CYCLE_1)
	s_and_saveexec_b32 s0, s1
	s_cbranch_execz .LBB62_97
; %bb.96:                               ;   in Loop: Header=BB62_89 Depth=1
	v_add_co_u32 v14, vcc_lo, v62, s12
	v_add_co_ci_u32_e32 v15, vcc_lo, s13, v63, vcc_lo
	v_add_co_u32 v18, vcc_lo, v60, s12
	v_add_co_ci_u32_e32 v19, vcc_lo, s13, v61, vcc_lo
	global_load_b128 v[14:17], v[14:15], off offset:-8
	global_load_b128 v[18:21], v[18:19], off offset:-8
.LBB62_97:                              ;   in Loop: Header=BB62_89 Depth=1
	s_or_b32 exec_lo, exec_lo, s0
	s_waitcnt vmcnt(0)
	v_cmp_gt_f64_e32 vcc_lo, 0, v[30:31]
	v_cmp_gt_f64_e64 s0, 0, v[32:33]
	v_xor_b32_e32 v40, 0x80000000, v31
	v_xor_b32_e32 v41, 0x80000000, v33
	s_delay_alu instid0(VALU_DEP_2) | instskip(NEXT) | instid1(VALU_DEP_2)
	v_dual_cndmask_b32 v45, v31, v40 :: v_dual_cndmask_b32 v44, v30, v30
	v_cndmask_b32_e64 v47, v33, v41, s0
	v_cndmask_b32_e64 v46, v32, v32, s0
	s_and_b32 vcc_lo, exec_lo, s26
	s_delay_alu instid0(VALU_DEP_1)
	v_cmp_ge_f64_e64 s0, v[44:45], v[46:47]
	s_cbranch_vccz .LBB62_107
; %bb.98:                               ;   in Loop: Header=BB62_89 Depth=1
                                        ; implicit-def: $vgpr40_vgpr41
                                        ; implicit-def: $vgpr42_vgpr43
	s_delay_alu instid0(VALU_DEP_1) | instskip(NEXT) | instid1(SALU_CYCLE_1)
	s_and_saveexec_b32 s1, s0
	s_xor_b32 s3, exec_lo, s1
	s_cbranch_execz .LBB62_104
; %bb.99:                               ;   in Loop: Header=BB62_89 Depth=1
	v_cmp_neq_f64_e32 vcc_lo, 0, v[30:31]
	v_cmp_neq_f64_e64 s1, 0, v[32:33]
                                        ; implicit-def: $vgpr40_vgpr41
                                        ; implicit-def: $vgpr42_vgpr43
	s_delay_alu instid0(VALU_DEP_1) | instskip(NEXT) | instid1(SALU_CYCLE_1)
	s_or_b32 s1, s1, vcc_lo
	s_and_saveexec_b32 s21, s1
	s_delay_alu instid0(SALU_CYCLE_1)
	s_xor_b32 s1, exec_lo, s21
	s_cbranch_execz .LBB62_101
; %bb.100:                              ;   in Loop: Header=BB62_89 Depth=1
	v_div_scale_f64 v[40:41], null, v[30:31], v[30:31], v[32:33]
	v_div_scale_f64 v[74:75], vcc_lo, v[32:33], v[30:31], v[32:33]
	s_delay_alu instid0(VALU_DEP_2) | instskip(SKIP_2) | instid1(VALU_DEP_1)
	v_rcp_f64_e32 v[42:43], v[40:41]
	s_waitcnt_depctr 0xfff
	v_fma_f64 v[72:73], -v[40:41], v[42:43], 1.0
	v_fma_f64 v[42:43], v[42:43], v[72:73], v[42:43]
	s_delay_alu instid0(VALU_DEP_1) | instskip(NEXT) | instid1(VALU_DEP_1)
	v_fma_f64 v[72:73], -v[40:41], v[42:43], 1.0
	v_fma_f64 v[42:43], v[42:43], v[72:73], v[42:43]
	s_delay_alu instid0(VALU_DEP_1) | instskip(NEXT) | instid1(VALU_DEP_1)
	v_mul_f64 v[72:73], v[74:75], v[42:43]
	v_fma_f64 v[40:41], -v[40:41], v[72:73], v[74:75]
	s_delay_alu instid0(VALU_DEP_1) | instskip(NEXT) | instid1(VALU_DEP_1)
	v_div_fmas_f64 v[40:41], v[40:41], v[42:43], v[72:73]
	v_div_fixup_f64 v[40:41], v[40:41], v[30:31], v[32:33]
	s_delay_alu instid0(VALU_DEP_1) | instskip(NEXT) | instid1(VALU_DEP_1)
	v_fma_f64 v[42:43], v[32:33], v[40:41], v[30:31]
	v_div_scale_f64 v[72:73], null, v[42:43], v[42:43], 1.0
	v_div_scale_f64 v[78:79], vcc_lo, 1.0, v[42:43], 1.0
	s_delay_alu instid0(VALU_DEP_2) | instskip(SKIP_2) | instid1(VALU_DEP_1)
	v_rcp_f64_e32 v[74:75], v[72:73]
	s_waitcnt_depctr 0xfff
	v_fma_f64 v[76:77], -v[72:73], v[74:75], 1.0
	v_fma_f64 v[74:75], v[74:75], v[76:77], v[74:75]
	s_delay_alu instid0(VALU_DEP_1) | instskip(NEXT) | instid1(VALU_DEP_1)
	v_fma_f64 v[76:77], -v[72:73], v[74:75], 1.0
	v_fma_f64 v[74:75], v[74:75], v[76:77], v[74:75]
	s_delay_alu instid0(VALU_DEP_1) | instskip(NEXT) | instid1(VALU_DEP_1)
	v_mul_f64 v[76:77], v[78:79], v[74:75]
	v_fma_f64 v[72:73], -v[72:73], v[76:77], v[78:79]
	s_delay_alu instid0(VALU_DEP_1) | instskip(SKIP_2) | instid1(VALU_DEP_3)
	v_div_fmas_f64 v[72:73], v[72:73], v[74:75], v[76:77]
	v_fma_f64 v[74:75], s[10:11], v[40:41], s[8:9]
	v_fma_f64 v[40:41], -s[8:9], v[40:41], s[10:11]
	v_div_fixup_f64 v[72:73], v[72:73], v[42:43], 1.0
	s_delay_alu instid0(VALU_DEP_1) | instskip(NEXT) | instid1(VALU_DEP_3)
	v_mul_f64 v[42:43], v[74:75], v[72:73]
	v_mul_f64 v[40:41], v[40:41], v[72:73]
.LBB62_101:                             ;   in Loop: Header=BB62_89 Depth=1
	s_and_not1_saveexec_b32 s21, s1
	s_cbranch_execz .LBB62_103
; %bb.102:                              ;   in Loop: Header=BB62_89 Depth=1
	v_div_scale_f64 v[40:41], null, v[44:45], v[44:45], s[8:9]
	v_div_scale_f64 v[42:43], null, v[46:47], v[46:47], s[10:11]
	v_div_scale_f64 v[80:81], vcc_lo, s[8:9], v[44:45], s[8:9]
	s_delay_alu instid0(VALU_DEP_3) | instskip(NEXT) | instid1(VALU_DEP_2)
	v_rcp_f64_e32 v[72:73], v[40:41]
	v_rcp_f64_e32 v[74:75], v[42:43]
	s_waitcnt_depctr 0xfff
	v_fma_f64 v[76:77], -v[40:41], v[72:73], 1.0
	v_fma_f64 v[78:79], -v[42:43], v[74:75], 1.0
	s_delay_alu instid0(VALU_DEP_2) | instskip(NEXT) | instid1(VALU_DEP_2)
	v_fma_f64 v[72:73], v[72:73], v[76:77], v[72:73]
	v_fma_f64 v[74:75], v[74:75], v[78:79], v[74:75]
	s_delay_alu instid0(VALU_DEP_2) | instskip(NEXT) | instid1(VALU_DEP_2)
	v_fma_f64 v[76:77], -v[40:41], v[72:73], 1.0
	v_fma_f64 v[78:79], -v[42:43], v[74:75], 1.0
	s_delay_alu instid0(VALU_DEP_2) | instskip(SKIP_1) | instid1(VALU_DEP_3)
	v_fma_f64 v[72:73], v[72:73], v[76:77], v[72:73]
	v_div_scale_f64 v[76:77], s1, s[10:11], v[46:47], s[10:11]
	v_fma_f64 v[74:75], v[74:75], v[78:79], v[74:75]
	s_delay_alu instid0(VALU_DEP_3) | instskip(NEXT) | instid1(VALU_DEP_2)
	v_mul_f64 v[78:79], v[80:81], v[72:73]
	v_mul_f64 v[82:83], v[76:77], v[74:75]
	s_delay_alu instid0(VALU_DEP_2) | instskip(NEXT) | instid1(VALU_DEP_2)
	v_fma_f64 v[40:41], -v[40:41], v[78:79], v[80:81]
	v_fma_f64 v[42:43], -v[42:43], v[82:83], v[76:77]
	s_delay_alu instid0(VALU_DEP_2) | instskip(SKIP_1) | instid1(VALU_DEP_2)
	v_div_fmas_f64 v[40:41], v[40:41], v[72:73], v[78:79]
	s_mov_b32 vcc_lo, s1
	v_div_fmas_f64 v[72:73], v[42:43], v[74:75], v[82:83]
	s_delay_alu instid0(VALU_DEP_2) | instskip(NEXT) | instid1(VALU_DEP_2)
	v_div_fixup_f64 v[42:43], v[40:41], v[44:45], s[8:9]
	v_div_fixup_f64 v[40:41], v[72:73], v[46:47], s[10:11]
.LBB62_103:                             ;   in Loop: Header=BB62_89 Depth=1
	s_or_b32 exec_lo, exec_lo, s21
.LBB62_104:                             ;   in Loop: Header=BB62_89 Depth=1
	s_and_not1_saveexec_b32 s1, s3
	s_cbranch_execz .LBB62_106
; %bb.105:                              ;   in Loop: Header=BB62_89 Depth=1
	v_div_scale_f64 v[40:41], null, v[32:33], v[32:33], v[30:31]
	v_div_scale_f64 v[74:75], vcc_lo, v[30:31], v[32:33], v[30:31]
	s_delay_alu instid0(VALU_DEP_2) | instskip(SKIP_2) | instid1(VALU_DEP_1)
	v_rcp_f64_e32 v[42:43], v[40:41]
	s_waitcnt_depctr 0xfff
	v_fma_f64 v[72:73], -v[40:41], v[42:43], 1.0
	v_fma_f64 v[42:43], v[42:43], v[72:73], v[42:43]
	s_delay_alu instid0(VALU_DEP_1) | instskip(NEXT) | instid1(VALU_DEP_1)
	v_fma_f64 v[72:73], -v[40:41], v[42:43], 1.0
	v_fma_f64 v[42:43], v[42:43], v[72:73], v[42:43]
	s_delay_alu instid0(VALU_DEP_1) | instskip(NEXT) | instid1(VALU_DEP_1)
	v_mul_f64 v[72:73], v[74:75], v[42:43]
	v_fma_f64 v[40:41], -v[40:41], v[72:73], v[74:75]
	s_delay_alu instid0(VALU_DEP_1) | instskip(NEXT) | instid1(VALU_DEP_1)
	v_div_fmas_f64 v[40:41], v[40:41], v[42:43], v[72:73]
	v_div_fixup_f64 v[40:41], v[40:41], v[32:33], v[30:31]
	s_delay_alu instid0(VALU_DEP_1) | instskip(NEXT) | instid1(VALU_DEP_1)
	v_fma_f64 v[42:43], v[30:31], v[40:41], v[32:33]
	v_div_scale_f64 v[72:73], null, v[42:43], v[42:43], 1.0
	v_div_scale_f64 v[78:79], vcc_lo, 1.0, v[42:43], 1.0
	s_delay_alu instid0(VALU_DEP_2) | instskip(SKIP_2) | instid1(VALU_DEP_1)
	v_rcp_f64_e32 v[74:75], v[72:73]
	s_waitcnt_depctr 0xfff
	v_fma_f64 v[76:77], -v[72:73], v[74:75], 1.0
	v_fma_f64 v[74:75], v[74:75], v[76:77], v[74:75]
	s_delay_alu instid0(VALU_DEP_1) | instskip(NEXT) | instid1(VALU_DEP_1)
	v_fma_f64 v[76:77], -v[72:73], v[74:75], 1.0
	v_fma_f64 v[74:75], v[74:75], v[76:77], v[74:75]
	s_delay_alu instid0(VALU_DEP_1) | instskip(NEXT) | instid1(VALU_DEP_1)
	v_mul_f64 v[76:77], v[78:79], v[74:75]
	v_fma_f64 v[72:73], -v[72:73], v[76:77], v[78:79]
	s_delay_alu instid0(VALU_DEP_1) | instskip(SKIP_2) | instid1(VALU_DEP_3)
	v_div_fmas_f64 v[72:73], v[72:73], v[74:75], v[76:77]
	v_fma_f64 v[74:75], s[8:9], v[40:41], s[10:11]
	v_fma_f64 v[40:41], s[10:11], v[40:41], -s[8:9]
	v_div_fixup_f64 v[72:73], v[72:73], v[42:43], 1.0
	s_delay_alu instid0(VALU_DEP_1) | instskip(NEXT) | instid1(VALU_DEP_3)
	v_mul_f64 v[42:43], v[74:75], v[72:73]
	v_mul_f64 v[40:41], v[40:41], v[72:73]
.LBB62_106:                             ;   in Loop: Header=BB62_89 Depth=1
	s_or_b32 exec_lo, exec_lo, s1
	s_delay_alu instid0(VALU_DEP_1) | instskip(SKIP_1) | instid1(VALU_DEP_2)
	v_mul_f64 v[72:73], s[6:7], v[40:41]
	v_mul_f64 v[74:75], s[4:5], v[40:41]
	v_fma_f64 v[40:41], s[4:5], v[42:43], -v[72:73]
	s_delay_alu instid0(VALU_DEP_2)
	v_fma_f64 v[42:43], s[6:7], v[42:43], v[74:75]
	s_branch .LBB62_117
.LBB62_107:                             ;   in Loop: Header=BB62_89 Depth=1
                                        ; implicit-def: $vgpr42_vgpr43
                                        ; implicit-def: $vgpr40_vgpr41
	s_cbranch_execz .LBB62_117
; %bb.108:                              ;   in Loop: Header=BB62_89 Depth=1
                                        ; implicit-def: $vgpr42_vgpr43
                                        ; implicit-def: $vgpr40_vgpr41
	s_delay_alu instid0(VALU_DEP_1) | instskip(NEXT) | instid1(SALU_CYCLE_1)
	s_and_saveexec_b32 s1, s0
	s_xor_b32 s1, exec_lo, s1
	s_cbranch_execz .LBB62_114
; %bb.109:                              ;   in Loop: Header=BB62_89 Depth=1
	v_cmp_neq_f64_e32 vcc_lo, 0, v[30:31]
	v_cmp_neq_f64_e64 s0, 0, v[32:33]
                                        ; implicit-def: $vgpr42_vgpr43
                                        ; implicit-def: $vgpr40_vgpr41
	s_delay_alu instid0(VALU_DEP_1) | instskip(NEXT) | instid1(SALU_CYCLE_1)
	s_or_b32 s0, s0, vcc_lo
	s_and_saveexec_b32 s3, s0
	s_delay_alu instid0(SALU_CYCLE_1)
	s_xor_b32 s0, exec_lo, s3
	s_cbranch_execz .LBB62_111
; %bb.110:                              ;   in Loop: Header=BB62_89 Depth=1
	v_div_scale_f64 v[40:41], null, v[30:31], v[30:31], v[32:33]
	v_div_scale_f64 v[46:47], vcc_lo, v[32:33], v[30:31], v[32:33]
	s_delay_alu instid0(VALU_DEP_2) | instskip(SKIP_2) | instid1(VALU_DEP_1)
	v_rcp_f64_e32 v[42:43], v[40:41]
	s_waitcnt_depctr 0xfff
	v_fma_f64 v[44:45], -v[40:41], v[42:43], 1.0
	v_fma_f64 v[42:43], v[42:43], v[44:45], v[42:43]
	s_delay_alu instid0(VALU_DEP_1) | instskip(NEXT) | instid1(VALU_DEP_1)
	v_fma_f64 v[44:45], -v[40:41], v[42:43], 1.0
	v_fma_f64 v[42:43], v[42:43], v[44:45], v[42:43]
	s_delay_alu instid0(VALU_DEP_1) | instskip(NEXT) | instid1(VALU_DEP_1)
	v_mul_f64 v[44:45], v[46:47], v[42:43]
	v_fma_f64 v[40:41], -v[40:41], v[44:45], v[46:47]
	s_delay_alu instid0(VALU_DEP_1) | instskip(NEXT) | instid1(VALU_DEP_1)
	v_div_fmas_f64 v[40:41], v[40:41], v[42:43], v[44:45]
	v_div_fixup_f64 v[40:41], v[40:41], v[30:31], v[32:33]
	s_delay_alu instid0(VALU_DEP_1) | instskip(NEXT) | instid1(VALU_DEP_1)
	v_fma_f64 v[30:31], v[32:33], v[40:41], v[30:31]
	v_div_scale_f64 v[32:33], null, v[30:31], v[30:31], 1.0
	v_div_scale_f64 v[46:47], vcc_lo, 1.0, v[30:31], 1.0
	s_delay_alu instid0(VALU_DEP_2) | instskip(SKIP_2) | instid1(VALU_DEP_1)
	v_rcp_f64_e32 v[42:43], v[32:33]
	s_waitcnt_depctr 0xfff
	v_fma_f64 v[44:45], -v[32:33], v[42:43], 1.0
	v_fma_f64 v[42:43], v[42:43], v[44:45], v[42:43]
	s_delay_alu instid0(VALU_DEP_1) | instskip(NEXT) | instid1(VALU_DEP_1)
	v_fma_f64 v[44:45], -v[32:33], v[42:43], 1.0
	v_fma_f64 v[42:43], v[42:43], v[44:45], v[42:43]
	s_delay_alu instid0(VALU_DEP_1) | instskip(NEXT) | instid1(VALU_DEP_1)
	v_mul_f64 v[44:45], v[46:47], v[42:43]
	v_fma_f64 v[32:33], -v[32:33], v[44:45], v[46:47]
                                        ; implicit-def: $vgpr46_vgpr47
	s_delay_alu instid0(VALU_DEP_1) | instskip(SKIP_1) | instid1(VALU_DEP_2)
	v_div_fmas_f64 v[32:33], v[32:33], v[42:43], v[44:45]
	v_fma_f64 v[42:43], s[10:11], v[40:41], s[8:9]
                                        ; implicit-def: $vgpr44_vgpr45
	v_div_fixup_f64 v[30:31], v[32:33], v[30:31], 1.0
	v_fma_f64 v[32:33], -s[8:9], v[40:41], s[10:11]
	s_delay_alu instid0(VALU_DEP_2) | instskip(NEXT) | instid1(VALU_DEP_2)
	v_mul_f64 v[40:41], v[42:43], v[30:31]
	v_mul_f64 v[42:43], v[32:33], v[30:31]
.LBB62_111:                             ;   in Loop: Header=BB62_89 Depth=1
	s_and_not1_saveexec_b32 s3, s0
	s_cbranch_execz .LBB62_113
; %bb.112:                              ;   in Loop: Header=BB62_89 Depth=1
	v_div_scale_f64 v[30:31], null, v[44:45], v[44:45], s[8:9]
	v_div_scale_f64 v[32:33], null, v[46:47], v[46:47], s[10:11]
	v_div_scale_f64 v[76:77], vcc_lo, s[8:9], v[44:45], s[8:9]
	s_delay_alu instid0(VALU_DEP_3) | instskip(NEXT) | instid1(VALU_DEP_2)
	v_rcp_f64_e32 v[40:41], v[30:31]
	v_rcp_f64_e32 v[42:43], v[32:33]
	s_waitcnt_depctr 0xfff
	v_fma_f64 v[72:73], -v[30:31], v[40:41], 1.0
	v_fma_f64 v[74:75], -v[32:33], v[42:43], 1.0
	s_delay_alu instid0(VALU_DEP_2) | instskip(NEXT) | instid1(VALU_DEP_2)
	v_fma_f64 v[40:41], v[40:41], v[72:73], v[40:41]
	v_fma_f64 v[42:43], v[42:43], v[74:75], v[42:43]
	s_delay_alu instid0(VALU_DEP_2) | instskip(NEXT) | instid1(VALU_DEP_2)
	v_fma_f64 v[72:73], -v[30:31], v[40:41], 1.0
	v_fma_f64 v[74:75], -v[32:33], v[42:43], 1.0
	s_delay_alu instid0(VALU_DEP_2) | instskip(SKIP_1) | instid1(VALU_DEP_3)
	v_fma_f64 v[40:41], v[40:41], v[72:73], v[40:41]
	v_div_scale_f64 v[72:73], s0, s[10:11], v[46:47], s[10:11]
	v_fma_f64 v[42:43], v[42:43], v[74:75], v[42:43]
	s_delay_alu instid0(VALU_DEP_3) | instskip(NEXT) | instid1(VALU_DEP_2)
	v_mul_f64 v[74:75], v[76:77], v[40:41]
	v_mul_f64 v[78:79], v[72:73], v[42:43]
	s_delay_alu instid0(VALU_DEP_2) | instskip(NEXT) | instid1(VALU_DEP_2)
	v_fma_f64 v[30:31], -v[30:31], v[74:75], v[76:77]
	v_fma_f64 v[32:33], -v[32:33], v[78:79], v[72:73]
	s_delay_alu instid0(VALU_DEP_2) | instskip(SKIP_1) | instid1(VALU_DEP_2)
	v_div_fmas_f64 v[30:31], v[30:31], v[40:41], v[74:75]
	s_mov_b32 vcc_lo, s0
	v_div_fmas_f64 v[32:33], v[32:33], v[42:43], v[78:79]
	s_delay_alu instid0(VALU_DEP_2) | instskip(NEXT) | instid1(VALU_DEP_2)
	v_div_fixup_f64 v[40:41], v[30:31], v[44:45], s[8:9]
	v_div_fixup_f64 v[42:43], v[32:33], v[46:47], s[10:11]
.LBB62_113:                             ;   in Loop: Header=BB62_89 Depth=1
	s_or_b32 exec_lo, exec_lo, s3
                                        ; implicit-def: $vgpr32_vgpr33
.LBB62_114:                             ;   in Loop: Header=BB62_89 Depth=1
	s_and_not1_saveexec_b32 s0, s1
	s_cbranch_execz .LBB62_116
; %bb.115:                              ;   in Loop: Header=BB62_89 Depth=1
	v_div_scale_f64 v[40:41], null, v[32:33], v[32:33], v[30:31]
	v_div_scale_f64 v[46:47], vcc_lo, v[30:31], v[32:33], v[30:31]
	s_delay_alu instid0(VALU_DEP_2) | instskip(SKIP_2) | instid1(VALU_DEP_1)
	v_rcp_f64_e32 v[42:43], v[40:41]
	s_waitcnt_depctr 0xfff
	v_fma_f64 v[44:45], -v[40:41], v[42:43], 1.0
	v_fma_f64 v[42:43], v[42:43], v[44:45], v[42:43]
	s_delay_alu instid0(VALU_DEP_1) | instskip(NEXT) | instid1(VALU_DEP_1)
	v_fma_f64 v[44:45], -v[40:41], v[42:43], 1.0
	v_fma_f64 v[42:43], v[42:43], v[44:45], v[42:43]
	s_delay_alu instid0(VALU_DEP_1) | instskip(NEXT) | instid1(VALU_DEP_1)
	v_mul_f64 v[44:45], v[46:47], v[42:43]
	v_fma_f64 v[40:41], -v[40:41], v[44:45], v[46:47]
	s_delay_alu instid0(VALU_DEP_1) | instskip(NEXT) | instid1(VALU_DEP_1)
	v_div_fmas_f64 v[40:41], v[40:41], v[42:43], v[44:45]
	v_div_fixup_f64 v[40:41], v[40:41], v[32:33], v[30:31]
	s_delay_alu instid0(VALU_DEP_1) | instskip(NEXT) | instid1(VALU_DEP_1)
	v_fma_f64 v[30:31], v[30:31], v[40:41], v[32:33]
	v_div_scale_f64 v[32:33], null, v[30:31], v[30:31], 1.0
	v_div_scale_f64 v[46:47], vcc_lo, 1.0, v[30:31], 1.0
	s_delay_alu instid0(VALU_DEP_2) | instskip(SKIP_2) | instid1(VALU_DEP_1)
	v_rcp_f64_e32 v[42:43], v[32:33]
	s_waitcnt_depctr 0xfff
	v_fma_f64 v[44:45], -v[32:33], v[42:43], 1.0
	v_fma_f64 v[42:43], v[42:43], v[44:45], v[42:43]
	s_delay_alu instid0(VALU_DEP_1) | instskip(NEXT) | instid1(VALU_DEP_1)
	v_fma_f64 v[44:45], -v[32:33], v[42:43], 1.0
	v_fma_f64 v[42:43], v[42:43], v[44:45], v[42:43]
	s_delay_alu instid0(VALU_DEP_1) | instskip(NEXT) | instid1(VALU_DEP_1)
	v_mul_f64 v[44:45], v[46:47], v[42:43]
	v_fma_f64 v[32:33], -v[32:33], v[44:45], v[46:47]
	s_delay_alu instid0(VALU_DEP_1) | instskip(SKIP_1) | instid1(VALU_DEP_2)
	v_div_fmas_f64 v[32:33], v[32:33], v[42:43], v[44:45]
	v_fma_f64 v[42:43], s[8:9], v[40:41], s[10:11]
	v_div_fixup_f64 v[30:31], v[32:33], v[30:31], 1.0
	v_fma_f64 v[32:33], s[10:11], v[40:41], -s[8:9]
	s_delay_alu instid0(VALU_DEP_2) | instskip(NEXT) | instid1(VALU_DEP_2)
	v_mul_f64 v[40:41], v[42:43], v[30:31]
	v_mul_f64 v[42:43], v[32:33], v[30:31]
.LBB62_116:                             ;   in Loop: Header=BB62_89 Depth=1
	s_or_b32 exec_lo, exec_lo, s0
.LBB62_117:                             ;   in Loop: Header=BB62_89 Depth=1
	v_cmp_gt_f64_e32 vcc_lo, 0, v[26:27]
	v_cmp_gt_f64_e64 s0, 0, v[28:29]
	v_xor_b32_e32 v30, 0x80000000, v27
	v_xor_b32_e32 v31, 0x80000000, v29
	s_delay_alu instid0(VALU_DEP_2) | instskip(NEXT) | instid1(VALU_DEP_2)
	v_cndmask_b32_e32 v45, v27, v30, vcc_lo
	v_cndmask_b32_e64 v47, v29, v31, s0
	v_cndmask_b32_e32 v44, v26, v26, vcc_lo
	v_cndmask_b32_e64 v46, v28, v28, s0
	s_and_not1_b32 vcc_lo, exec_lo, s26
	s_delay_alu instid0(VALU_DEP_1)
	v_cmp_ge_f64_e64 s0, v[44:45], v[46:47]
	s_cbranch_vccnz .LBB62_127
; %bb.118:                              ;   in Loop: Header=BB62_89 Depth=1
                                        ; implicit-def: $vgpr30_vgpr31
                                        ; implicit-def: $vgpr32_vgpr33
	s_delay_alu instid0(VALU_DEP_1) | instskip(NEXT) | instid1(SALU_CYCLE_1)
	s_and_saveexec_b32 s1, s0
	s_xor_b32 s3, exec_lo, s1
	s_cbranch_execz .LBB62_124
; %bb.119:                              ;   in Loop: Header=BB62_89 Depth=1
	v_cmp_neq_f64_e32 vcc_lo, 0, v[26:27]
	v_cmp_neq_f64_e64 s1, 0, v[28:29]
                                        ; implicit-def: $vgpr30_vgpr31
                                        ; implicit-def: $vgpr32_vgpr33
	s_delay_alu instid0(VALU_DEP_1) | instskip(NEXT) | instid1(SALU_CYCLE_1)
	s_or_b32 s1, s1, vcc_lo
	s_and_saveexec_b32 s21, s1
	s_delay_alu instid0(SALU_CYCLE_1)
	s_xor_b32 s1, exec_lo, s21
	s_cbranch_execz .LBB62_121
; %bb.120:                              ;   in Loop: Header=BB62_89 Depth=1
	v_div_scale_f64 v[30:31], null, v[26:27], v[26:27], v[28:29]
	v_div_scale_f64 v[74:75], vcc_lo, v[28:29], v[26:27], v[28:29]
	s_delay_alu instid0(VALU_DEP_2) | instskip(SKIP_2) | instid1(VALU_DEP_1)
	v_rcp_f64_e32 v[32:33], v[30:31]
	s_waitcnt_depctr 0xfff
	v_fma_f64 v[72:73], -v[30:31], v[32:33], 1.0
	v_fma_f64 v[32:33], v[32:33], v[72:73], v[32:33]
	s_delay_alu instid0(VALU_DEP_1) | instskip(NEXT) | instid1(VALU_DEP_1)
	v_fma_f64 v[72:73], -v[30:31], v[32:33], 1.0
	v_fma_f64 v[32:33], v[32:33], v[72:73], v[32:33]
	s_delay_alu instid0(VALU_DEP_1) | instskip(NEXT) | instid1(VALU_DEP_1)
	v_mul_f64 v[72:73], v[74:75], v[32:33]
	v_fma_f64 v[30:31], -v[30:31], v[72:73], v[74:75]
	s_delay_alu instid0(VALU_DEP_1) | instskip(NEXT) | instid1(VALU_DEP_1)
	v_div_fmas_f64 v[30:31], v[30:31], v[32:33], v[72:73]
	v_div_fixup_f64 v[30:31], v[30:31], v[26:27], v[28:29]
	s_delay_alu instid0(VALU_DEP_1) | instskip(NEXT) | instid1(VALU_DEP_1)
	v_fma_f64 v[32:33], v[28:29], v[30:31], v[26:27]
	v_div_scale_f64 v[72:73], null, v[32:33], v[32:33], 1.0
	v_div_scale_f64 v[78:79], vcc_lo, 1.0, v[32:33], 1.0
	s_delay_alu instid0(VALU_DEP_2) | instskip(SKIP_2) | instid1(VALU_DEP_1)
	v_rcp_f64_e32 v[74:75], v[72:73]
	s_waitcnt_depctr 0xfff
	v_fma_f64 v[76:77], -v[72:73], v[74:75], 1.0
	v_fma_f64 v[74:75], v[74:75], v[76:77], v[74:75]
	s_delay_alu instid0(VALU_DEP_1) | instskip(NEXT) | instid1(VALU_DEP_1)
	v_fma_f64 v[76:77], -v[72:73], v[74:75], 1.0
	v_fma_f64 v[74:75], v[74:75], v[76:77], v[74:75]
	s_delay_alu instid0(VALU_DEP_1) | instskip(NEXT) | instid1(VALU_DEP_1)
	v_mul_f64 v[76:77], v[78:79], v[74:75]
	v_fma_f64 v[72:73], -v[72:73], v[76:77], v[78:79]
	s_delay_alu instid0(VALU_DEP_1) | instskip(SKIP_2) | instid1(VALU_DEP_3)
	v_div_fmas_f64 v[72:73], v[72:73], v[74:75], v[76:77]
	v_fma_f64 v[74:75], s[10:11], v[30:31], s[8:9]
	v_fma_f64 v[30:31], -s[8:9], v[30:31], s[10:11]
	v_div_fixup_f64 v[72:73], v[72:73], v[32:33], 1.0
	s_delay_alu instid0(VALU_DEP_1) | instskip(NEXT) | instid1(VALU_DEP_3)
	v_mul_f64 v[32:33], v[74:75], v[72:73]
	v_mul_f64 v[30:31], v[30:31], v[72:73]
.LBB62_121:                             ;   in Loop: Header=BB62_89 Depth=1
	s_and_not1_saveexec_b32 s21, s1
	s_cbranch_execz .LBB62_123
; %bb.122:                              ;   in Loop: Header=BB62_89 Depth=1
	v_div_scale_f64 v[30:31], null, v[44:45], v[44:45], s[8:9]
	v_div_scale_f64 v[32:33], null, v[46:47], v[46:47], s[10:11]
	v_div_scale_f64 v[80:81], vcc_lo, s[8:9], v[44:45], s[8:9]
	s_delay_alu instid0(VALU_DEP_3) | instskip(NEXT) | instid1(VALU_DEP_2)
	v_rcp_f64_e32 v[72:73], v[30:31]
	v_rcp_f64_e32 v[74:75], v[32:33]
	s_waitcnt_depctr 0xfff
	v_fma_f64 v[76:77], -v[30:31], v[72:73], 1.0
	v_fma_f64 v[78:79], -v[32:33], v[74:75], 1.0
	s_delay_alu instid0(VALU_DEP_2) | instskip(NEXT) | instid1(VALU_DEP_2)
	v_fma_f64 v[72:73], v[72:73], v[76:77], v[72:73]
	v_fma_f64 v[74:75], v[74:75], v[78:79], v[74:75]
	s_delay_alu instid0(VALU_DEP_2) | instskip(NEXT) | instid1(VALU_DEP_2)
	v_fma_f64 v[76:77], -v[30:31], v[72:73], 1.0
	v_fma_f64 v[78:79], -v[32:33], v[74:75], 1.0
	s_delay_alu instid0(VALU_DEP_2) | instskip(SKIP_1) | instid1(VALU_DEP_3)
	v_fma_f64 v[72:73], v[72:73], v[76:77], v[72:73]
	v_div_scale_f64 v[76:77], s1, s[10:11], v[46:47], s[10:11]
	v_fma_f64 v[74:75], v[74:75], v[78:79], v[74:75]
	s_delay_alu instid0(VALU_DEP_3) | instskip(NEXT) | instid1(VALU_DEP_2)
	v_mul_f64 v[78:79], v[80:81], v[72:73]
	v_mul_f64 v[82:83], v[76:77], v[74:75]
	s_delay_alu instid0(VALU_DEP_2) | instskip(NEXT) | instid1(VALU_DEP_2)
	v_fma_f64 v[30:31], -v[30:31], v[78:79], v[80:81]
	v_fma_f64 v[32:33], -v[32:33], v[82:83], v[76:77]
	s_delay_alu instid0(VALU_DEP_2) | instskip(SKIP_1) | instid1(VALU_DEP_2)
	v_div_fmas_f64 v[30:31], v[30:31], v[72:73], v[78:79]
	s_mov_b32 vcc_lo, s1
	v_div_fmas_f64 v[72:73], v[32:33], v[74:75], v[82:83]
	s_delay_alu instid0(VALU_DEP_2) | instskip(NEXT) | instid1(VALU_DEP_2)
	v_div_fixup_f64 v[32:33], v[30:31], v[44:45], s[8:9]
	v_div_fixup_f64 v[30:31], v[72:73], v[46:47], s[10:11]
.LBB62_123:                             ;   in Loop: Header=BB62_89 Depth=1
	s_or_b32 exec_lo, exec_lo, s21
.LBB62_124:                             ;   in Loop: Header=BB62_89 Depth=1
	s_and_not1_saveexec_b32 s1, s3
	s_cbranch_execz .LBB62_126
; %bb.125:                              ;   in Loop: Header=BB62_89 Depth=1
	v_div_scale_f64 v[30:31], null, v[28:29], v[28:29], v[26:27]
	v_div_scale_f64 v[74:75], vcc_lo, v[26:27], v[28:29], v[26:27]
	s_delay_alu instid0(VALU_DEP_2) | instskip(SKIP_2) | instid1(VALU_DEP_1)
	v_rcp_f64_e32 v[32:33], v[30:31]
	s_waitcnt_depctr 0xfff
	v_fma_f64 v[72:73], -v[30:31], v[32:33], 1.0
	v_fma_f64 v[32:33], v[32:33], v[72:73], v[32:33]
	s_delay_alu instid0(VALU_DEP_1) | instskip(NEXT) | instid1(VALU_DEP_1)
	v_fma_f64 v[72:73], -v[30:31], v[32:33], 1.0
	v_fma_f64 v[32:33], v[32:33], v[72:73], v[32:33]
	s_delay_alu instid0(VALU_DEP_1) | instskip(NEXT) | instid1(VALU_DEP_1)
	v_mul_f64 v[72:73], v[74:75], v[32:33]
	v_fma_f64 v[30:31], -v[30:31], v[72:73], v[74:75]
	s_delay_alu instid0(VALU_DEP_1) | instskip(NEXT) | instid1(VALU_DEP_1)
	v_div_fmas_f64 v[30:31], v[30:31], v[32:33], v[72:73]
	v_div_fixup_f64 v[30:31], v[30:31], v[28:29], v[26:27]
	s_delay_alu instid0(VALU_DEP_1) | instskip(NEXT) | instid1(VALU_DEP_1)
	v_fma_f64 v[32:33], v[26:27], v[30:31], v[28:29]
	v_div_scale_f64 v[72:73], null, v[32:33], v[32:33], 1.0
	v_div_scale_f64 v[78:79], vcc_lo, 1.0, v[32:33], 1.0
	s_delay_alu instid0(VALU_DEP_2) | instskip(SKIP_2) | instid1(VALU_DEP_1)
	v_rcp_f64_e32 v[74:75], v[72:73]
	s_waitcnt_depctr 0xfff
	v_fma_f64 v[76:77], -v[72:73], v[74:75], 1.0
	v_fma_f64 v[74:75], v[74:75], v[76:77], v[74:75]
	s_delay_alu instid0(VALU_DEP_1) | instskip(NEXT) | instid1(VALU_DEP_1)
	v_fma_f64 v[76:77], -v[72:73], v[74:75], 1.0
	v_fma_f64 v[74:75], v[74:75], v[76:77], v[74:75]
	s_delay_alu instid0(VALU_DEP_1) | instskip(NEXT) | instid1(VALU_DEP_1)
	v_mul_f64 v[76:77], v[78:79], v[74:75]
	v_fma_f64 v[72:73], -v[72:73], v[76:77], v[78:79]
	s_delay_alu instid0(VALU_DEP_1) | instskip(SKIP_2) | instid1(VALU_DEP_3)
	v_div_fmas_f64 v[72:73], v[72:73], v[74:75], v[76:77]
	v_fma_f64 v[74:75], s[8:9], v[30:31], s[10:11]
	v_fma_f64 v[30:31], s[10:11], v[30:31], -s[8:9]
	v_div_fixup_f64 v[72:73], v[72:73], v[32:33], 1.0
	s_delay_alu instid0(VALU_DEP_1) | instskip(NEXT) | instid1(VALU_DEP_3)
	v_mul_f64 v[32:33], v[74:75], v[72:73]
	v_mul_f64 v[30:31], v[30:31], v[72:73]
.LBB62_126:                             ;   in Loop: Header=BB62_89 Depth=1
	s_or_b32 exec_lo, exec_lo, s1
	s_delay_alu instid0(VALU_DEP_1) | instskip(SKIP_1) | instid1(VALU_DEP_2)
	v_mul_f64 v[72:73], s[6:7], v[30:31]
	v_mul_f64 v[74:75], s[4:5], v[30:31]
	v_fma_f64 v[30:31], s[4:5], v[32:33], -v[72:73]
	s_delay_alu instid0(VALU_DEP_2)
	v_fma_f64 v[32:33], s[6:7], v[32:33], v[74:75]
	s_branch .LBB62_137
.LBB62_127:                             ;   in Loop: Header=BB62_89 Depth=1
                                        ; implicit-def: $vgpr32_vgpr33
                                        ; implicit-def: $vgpr30_vgpr31
	s_cbranch_execz .LBB62_137
; %bb.128:                              ;   in Loop: Header=BB62_89 Depth=1
                                        ; implicit-def: $vgpr32_vgpr33
                                        ; implicit-def: $vgpr30_vgpr31
	s_delay_alu instid0(VALU_DEP_1) | instskip(NEXT) | instid1(SALU_CYCLE_1)
	s_and_saveexec_b32 s1, s0
	s_xor_b32 s1, exec_lo, s1
	s_cbranch_execz .LBB62_134
; %bb.129:                              ;   in Loop: Header=BB62_89 Depth=1
	v_cmp_neq_f64_e32 vcc_lo, 0, v[26:27]
	v_cmp_neq_f64_e64 s0, 0, v[28:29]
                                        ; implicit-def: $vgpr32_vgpr33
                                        ; implicit-def: $vgpr30_vgpr31
	s_delay_alu instid0(VALU_DEP_1) | instskip(NEXT) | instid1(SALU_CYCLE_1)
	s_or_b32 s0, s0, vcc_lo
	s_and_saveexec_b32 s3, s0
	s_delay_alu instid0(SALU_CYCLE_1)
	s_xor_b32 s0, exec_lo, s3
	s_cbranch_execz .LBB62_131
; %bb.130:                              ;   in Loop: Header=BB62_89 Depth=1
	v_div_scale_f64 v[30:31], null, v[26:27], v[26:27], v[28:29]
	v_div_scale_f64 v[46:47], vcc_lo, v[28:29], v[26:27], v[28:29]
	s_delay_alu instid0(VALU_DEP_2) | instskip(SKIP_2) | instid1(VALU_DEP_1)
	v_rcp_f64_e32 v[32:33], v[30:31]
	s_waitcnt_depctr 0xfff
	v_fma_f64 v[44:45], -v[30:31], v[32:33], 1.0
	v_fma_f64 v[32:33], v[32:33], v[44:45], v[32:33]
	s_delay_alu instid0(VALU_DEP_1) | instskip(NEXT) | instid1(VALU_DEP_1)
	v_fma_f64 v[44:45], -v[30:31], v[32:33], 1.0
	v_fma_f64 v[32:33], v[32:33], v[44:45], v[32:33]
	s_delay_alu instid0(VALU_DEP_1) | instskip(NEXT) | instid1(VALU_DEP_1)
	v_mul_f64 v[44:45], v[46:47], v[32:33]
	v_fma_f64 v[30:31], -v[30:31], v[44:45], v[46:47]
	s_delay_alu instid0(VALU_DEP_1) | instskip(NEXT) | instid1(VALU_DEP_1)
	v_div_fmas_f64 v[30:31], v[30:31], v[32:33], v[44:45]
	v_div_fixup_f64 v[30:31], v[30:31], v[26:27], v[28:29]
	s_delay_alu instid0(VALU_DEP_1) | instskip(NEXT) | instid1(VALU_DEP_1)
	v_fma_f64 v[26:27], v[28:29], v[30:31], v[26:27]
	v_div_scale_f64 v[28:29], null, v[26:27], v[26:27], 1.0
	v_div_scale_f64 v[46:47], vcc_lo, 1.0, v[26:27], 1.0
	s_delay_alu instid0(VALU_DEP_2) | instskip(SKIP_2) | instid1(VALU_DEP_1)
	v_rcp_f64_e32 v[32:33], v[28:29]
	s_waitcnt_depctr 0xfff
	v_fma_f64 v[44:45], -v[28:29], v[32:33], 1.0
	v_fma_f64 v[32:33], v[32:33], v[44:45], v[32:33]
	s_delay_alu instid0(VALU_DEP_1) | instskip(NEXT) | instid1(VALU_DEP_1)
	v_fma_f64 v[44:45], -v[28:29], v[32:33], 1.0
	v_fma_f64 v[32:33], v[32:33], v[44:45], v[32:33]
	s_delay_alu instid0(VALU_DEP_1) | instskip(NEXT) | instid1(VALU_DEP_1)
	v_mul_f64 v[44:45], v[46:47], v[32:33]
	v_fma_f64 v[28:29], -v[28:29], v[44:45], v[46:47]
                                        ; implicit-def: $vgpr46_vgpr47
	s_delay_alu instid0(VALU_DEP_1) | instskip(SKIP_1) | instid1(VALU_DEP_2)
	v_div_fmas_f64 v[28:29], v[28:29], v[32:33], v[44:45]
	v_fma_f64 v[32:33], s[10:11], v[30:31], s[8:9]
                                        ; implicit-def: $vgpr44_vgpr45
	v_div_fixup_f64 v[26:27], v[28:29], v[26:27], 1.0
	v_fma_f64 v[28:29], -s[8:9], v[30:31], s[10:11]
	s_delay_alu instid0(VALU_DEP_2) | instskip(NEXT) | instid1(VALU_DEP_2)
	v_mul_f64 v[30:31], v[32:33], v[26:27]
	v_mul_f64 v[32:33], v[28:29], v[26:27]
.LBB62_131:                             ;   in Loop: Header=BB62_89 Depth=1
	s_and_not1_saveexec_b32 s3, s0
	s_cbranch_execz .LBB62_133
; %bb.132:                              ;   in Loop: Header=BB62_89 Depth=1
	v_div_scale_f64 v[26:27], null, v[44:45], v[44:45], s[8:9]
	v_div_scale_f64 v[28:29], null, v[46:47], v[46:47], s[10:11]
	v_div_scale_f64 v[76:77], vcc_lo, s[8:9], v[44:45], s[8:9]
	s_delay_alu instid0(VALU_DEP_3) | instskip(NEXT) | instid1(VALU_DEP_2)
	v_rcp_f64_e32 v[30:31], v[26:27]
	v_rcp_f64_e32 v[32:33], v[28:29]
	s_waitcnt_depctr 0xfff
	v_fma_f64 v[72:73], -v[26:27], v[30:31], 1.0
	v_fma_f64 v[74:75], -v[28:29], v[32:33], 1.0
	s_delay_alu instid0(VALU_DEP_2) | instskip(NEXT) | instid1(VALU_DEP_2)
	v_fma_f64 v[30:31], v[30:31], v[72:73], v[30:31]
	v_fma_f64 v[32:33], v[32:33], v[74:75], v[32:33]
	s_delay_alu instid0(VALU_DEP_2) | instskip(NEXT) | instid1(VALU_DEP_2)
	v_fma_f64 v[72:73], -v[26:27], v[30:31], 1.0
	v_fma_f64 v[74:75], -v[28:29], v[32:33], 1.0
	s_delay_alu instid0(VALU_DEP_2) | instskip(SKIP_1) | instid1(VALU_DEP_3)
	v_fma_f64 v[30:31], v[30:31], v[72:73], v[30:31]
	v_div_scale_f64 v[72:73], s0, s[10:11], v[46:47], s[10:11]
	v_fma_f64 v[32:33], v[32:33], v[74:75], v[32:33]
	s_delay_alu instid0(VALU_DEP_3) | instskip(NEXT) | instid1(VALU_DEP_2)
	v_mul_f64 v[74:75], v[76:77], v[30:31]
	v_mul_f64 v[78:79], v[72:73], v[32:33]
	s_delay_alu instid0(VALU_DEP_2) | instskip(NEXT) | instid1(VALU_DEP_2)
	v_fma_f64 v[26:27], -v[26:27], v[74:75], v[76:77]
	v_fma_f64 v[28:29], -v[28:29], v[78:79], v[72:73]
	s_delay_alu instid0(VALU_DEP_2) | instskip(SKIP_1) | instid1(VALU_DEP_2)
	v_div_fmas_f64 v[26:27], v[26:27], v[30:31], v[74:75]
	s_mov_b32 vcc_lo, s0
	v_div_fmas_f64 v[28:29], v[28:29], v[32:33], v[78:79]
	s_delay_alu instid0(VALU_DEP_2) | instskip(NEXT) | instid1(VALU_DEP_2)
	v_div_fixup_f64 v[30:31], v[26:27], v[44:45], s[8:9]
	v_div_fixup_f64 v[32:33], v[28:29], v[46:47], s[10:11]
.LBB62_133:                             ;   in Loop: Header=BB62_89 Depth=1
	s_or_b32 exec_lo, exec_lo, s3
                                        ; implicit-def: $vgpr28_vgpr29
.LBB62_134:                             ;   in Loop: Header=BB62_89 Depth=1
	s_and_not1_saveexec_b32 s0, s1
	s_cbranch_execz .LBB62_136
; %bb.135:                              ;   in Loop: Header=BB62_89 Depth=1
	v_div_scale_f64 v[30:31], null, v[28:29], v[28:29], v[26:27]
	v_div_scale_f64 v[46:47], vcc_lo, v[26:27], v[28:29], v[26:27]
	s_delay_alu instid0(VALU_DEP_2) | instskip(SKIP_2) | instid1(VALU_DEP_1)
	v_rcp_f64_e32 v[32:33], v[30:31]
	s_waitcnt_depctr 0xfff
	v_fma_f64 v[44:45], -v[30:31], v[32:33], 1.0
	v_fma_f64 v[32:33], v[32:33], v[44:45], v[32:33]
	s_delay_alu instid0(VALU_DEP_1) | instskip(NEXT) | instid1(VALU_DEP_1)
	v_fma_f64 v[44:45], -v[30:31], v[32:33], 1.0
	v_fma_f64 v[32:33], v[32:33], v[44:45], v[32:33]
	s_delay_alu instid0(VALU_DEP_1) | instskip(NEXT) | instid1(VALU_DEP_1)
	v_mul_f64 v[44:45], v[46:47], v[32:33]
	v_fma_f64 v[30:31], -v[30:31], v[44:45], v[46:47]
	s_delay_alu instid0(VALU_DEP_1) | instskip(NEXT) | instid1(VALU_DEP_1)
	v_div_fmas_f64 v[30:31], v[30:31], v[32:33], v[44:45]
	v_div_fixup_f64 v[30:31], v[30:31], v[28:29], v[26:27]
	s_delay_alu instid0(VALU_DEP_1) | instskip(NEXT) | instid1(VALU_DEP_1)
	v_fma_f64 v[26:27], v[26:27], v[30:31], v[28:29]
	v_div_scale_f64 v[28:29], null, v[26:27], v[26:27], 1.0
	v_div_scale_f64 v[46:47], vcc_lo, 1.0, v[26:27], 1.0
	s_delay_alu instid0(VALU_DEP_2) | instskip(SKIP_2) | instid1(VALU_DEP_1)
	v_rcp_f64_e32 v[32:33], v[28:29]
	s_waitcnt_depctr 0xfff
	v_fma_f64 v[44:45], -v[28:29], v[32:33], 1.0
	v_fma_f64 v[32:33], v[32:33], v[44:45], v[32:33]
	s_delay_alu instid0(VALU_DEP_1) | instskip(NEXT) | instid1(VALU_DEP_1)
	v_fma_f64 v[44:45], -v[28:29], v[32:33], 1.0
	v_fma_f64 v[32:33], v[32:33], v[44:45], v[32:33]
	s_delay_alu instid0(VALU_DEP_1) | instskip(NEXT) | instid1(VALU_DEP_1)
	v_mul_f64 v[44:45], v[46:47], v[32:33]
	v_fma_f64 v[28:29], -v[28:29], v[44:45], v[46:47]
	s_delay_alu instid0(VALU_DEP_1) | instskip(SKIP_1) | instid1(VALU_DEP_2)
	v_div_fmas_f64 v[28:29], v[28:29], v[32:33], v[44:45]
	v_fma_f64 v[32:33], s[8:9], v[30:31], s[10:11]
	v_div_fixup_f64 v[26:27], v[28:29], v[26:27], 1.0
	v_fma_f64 v[28:29], s[10:11], v[30:31], -s[8:9]
	s_delay_alu instid0(VALU_DEP_2) | instskip(NEXT) | instid1(VALU_DEP_2)
	v_mul_f64 v[30:31], v[32:33], v[26:27]
	v_mul_f64 v[32:33], v[28:29], v[26:27]
.LBB62_136:                             ;   in Loop: Header=BB62_89 Depth=1
	s_or_b32 exec_lo, exec_lo, s0
.LBB62_137:                             ;   in Loop: Header=BB62_89 Depth=1
	v_cmp_gt_f64_e32 vcc_lo, 0, v[22:23]
	v_cmp_gt_f64_e64 s0, 0, v[24:25]
	v_xor_b32_e32 v26, 0x80000000, v23
	v_xor_b32_e32 v27, 0x80000000, v25
	s_delay_alu instid0(VALU_DEP_2) | instskip(NEXT) | instid1(VALU_DEP_2)
	v_cndmask_b32_e32 v45, v23, v26, vcc_lo
	v_cndmask_b32_e64 v47, v25, v27, s0
	v_cndmask_b32_e32 v44, v22, v22, vcc_lo
	v_cndmask_b32_e64 v46, v24, v24, s0
	s_and_not1_b32 vcc_lo, exec_lo, s26
	s_delay_alu instid0(VALU_DEP_1)
	v_cmp_ge_f64_e64 s0, v[44:45], v[46:47]
	s_cbranch_vccnz .LBB62_147
; %bb.138:                              ;   in Loop: Header=BB62_89 Depth=1
                                        ; implicit-def: $vgpr26_vgpr27
                                        ; implicit-def: $vgpr28_vgpr29
	s_delay_alu instid0(VALU_DEP_1) | instskip(NEXT) | instid1(SALU_CYCLE_1)
	s_and_saveexec_b32 s1, s0
	s_xor_b32 s3, exec_lo, s1
	s_cbranch_execz .LBB62_144
; %bb.139:                              ;   in Loop: Header=BB62_89 Depth=1
	v_cmp_neq_f64_e32 vcc_lo, 0, v[22:23]
	v_cmp_neq_f64_e64 s1, 0, v[24:25]
                                        ; implicit-def: $vgpr26_vgpr27
                                        ; implicit-def: $vgpr28_vgpr29
	s_delay_alu instid0(VALU_DEP_1) | instskip(NEXT) | instid1(SALU_CYCLE_1)
	s_or_b32 s1, s1, vcc_lo
	s_and_saveexec_b32 s21, s1
	s_delay_alu instid0(SALU_CYCLE_1)
	s_xor_b32 s1, exec_lo, s21
	s_cbranch_execz .LBB62_141
; %bb.140:                              ;   in Loop: Header=BB62_89 Depth=1
	v_div_scale_f64 v[26:27], null, v[22:23], v[22:23], v[24:25]
	v_div_scale_f64 v[74:75], vcc_lo, v[24:25], v[22:23], v[24:25]
	s_delay_alu instid0(VALU_DEP_2) | instskip(SKIP_2) | instid1(VALU_DEP_1)
	v_rcp_f64_e32 v[28:29], v[26:27]
	s_waitcnt_depctr 0xfff
	v_fma_f64 v[72:73], -v[26:27], v[28:29], 1.0
	v_fma_f64 v[28:29], v[28:29], v[72:73], v[28:29]
	s_delay_alu instid0(VALU_DEP_1) | instskip(NEXT) | instid1(VALU_DEP_1)
	v_fma_f64 v[72:73], -v[26:27], v[28:29], 1.0
	v_fma_f64 v[28:29], v[28:29], v[72:73], v[28:29]
	s_delay_alu instid0(VALU_DEP_1) | instskip(NEXT) | instid1(VALU_DEP_1)
	v_mul_f64 v[72:73], v[74:75], v[28:29]
	v_fma_f64 v[26:27], -v[26:27], v[72:73], v[74:75]
	s_delay_alu instid0(VALU_DEP_1) | instskip(NEXT) | instid1(VALU_DEP_1)
	v_div_fmas_f64 v[26:27], v[26:27], v[28:29], v[72:73]
	v_div_fixup_f64 v[26:27], v[26:27], v[22:23], v[24:25]
	s_delay_alu instid0(VALU_DEP_1) | instskip(NEXT) | instid1(VALU_DEP_1)
	v_fma_f64 v[28:29], v[24:25], v[26:27], v[22:23]
	v_div_scale_f64 v[72:73], null, v[28:29], v[28:29], 1.0
	v_div_scale_f64 v[78:79], vcc_lo, 1.0, v[28:29], 1.0
	s_delay_alu instid0(VALU_DEP_2) | instskip(SKIP_2) | instid1(VALU_DEP_1)
	v_rcp_f64_e32 v[74:75], v[72:73]
	s_waitcnt_depctr 0xfff
	v_fma_f64 v[76:77], -v[72:73], v[74:75], 1.0
	v_fma_f64 v[74:75], v[74:75], v[76:77], v[74:75]
	s_delay_alu instid0(VALU_DEP_1) | instskip(NEXT) | instid1(VALU_DEP_1)
	v_fma_f64 v[76:77], -v[72:73], v[74:75], 1.0
	v_fma_f64 v[74:75], v[74:75], v[76:77], v[74:75]
	s_delay_alu instid0(VALU_DEP_1) | instskip(NEXT) | instid1(VALU_DEP_1)
	v_mul_f64 v[76:77], v[78:79], v[74:75]
	v_fma_f64 v[72:73], -v[72:73], v[76:77], v[78:79]
	s_delay_alu instid0(VALU_DEP_1) | instskip(SKIP_2) | instid1(VALU_DEP_3)
	v_div_fmas_f64 v[72:73], v[72:73], v[74:75], v[76:77]
	v_fma_f64 v[74:75], s[10:11], v[26:27], s[8:9]
	v_fma_f64 v[26:27], -s[8:9], v[26:27], s[10:11]
	v_div_fixup_f64 v[72:73], v[72:73], v[28:29], 1.0
	s_delay_alu instid0(VALU_DEP_1) | instskip(NEXT) | instid1(VALU_DEP_3)
	v_mul_f64 v[28:29], v[74:75], v[72:73]
	v_mul_f64 v[26:27], v[26:27], v[72:73]
.LBB62_141:                             ;   in Loop: Header=BB62_89 Depth=1
	s_and_not1_saveexec_b32 s21, s1
	s_cbranch_execz .LBB62_143
; %bb.142:                              ;   in Loop: Header=BB62_89 Depth=1
	v_div_scale_f64 v[26:27], null, v[44:45], v[44:45], s[8:9]
	v_div_scale_f64 v[28:29], null, v[46:47], v[46:47], s[10:11]
	v_div_scale_f64 v[80:81], vcc_lo, s[8:9], v[44:45], s[8:9]
	s_delay_alu instid0(VALU_DEP_3) | instskip(NEXT) | instid1(VALU_DEP_2)
	v_rcp_f64_e32 v[72:73], v[26:27]
	v_rcp_f64_e32 v[74:75], v[28:29]
	s_waitcnt_depctr 0xfff
	v_fma_f64 v[76:77], -v[26:27], v[72:73], 1.0
	v_fma_f64 v[78:79], -v[28:29], v[74:75], 1.0
	s_delay_alu instid0(VALU_DEP_2) | instskip(NEXT) | instid1(VALU_DEP_2)
	v_fma_f64 v[72:73], v[72:73], v[76:77], v[72:73]
	v_fma_f64 v[74:75], v[74:75], v[78:79], v[74:75]
	s_delay_alu instid0(VALU_DEP_2) | instskip(NEXT) | instid1(VALU_DEP_2)
	v_fma_f64 v[76:77], -v[26:27], v[72:73], 1.0
	v_fma_f64 v[78:79], -v[28:29], v[74:75], 1.0
	s_delay_alu instid0(VALU_DEP_2) | instskip(SKIP_1) | instid1(VALU_DEP_3)
	v_fma_f64 v[72:73], v[72:73], v[76:77], v[72:73]
	v_div_scale_f64 v[76:77], s1, s[10:11], v[46:47], s[10:11]
	v_fma_f64 v[74:75], v[74:75], v[78:79], v[74:75]
	s_delay_alu instid0(VALU_DEP_3) | instskip(NEXT) | instid1(VALU_DEP_2)
	v_mul_f64 v[78:79], v[80:81], v[72:73]
	v_mul_f64 v[82:83], v[76:77], v[74:75]
	s_delay_alu instid0(VALU_DEP_2) | instskip(NEXT) | instid1(VALU_DEP_2)
	v_fma_f64 v[26:27], -v[26:27], v[78:79], v[80:81]
	v_fma_f64 v[28:29], -v[28:29], v[82:83], v[76:77]
	s_delay_alu instid0(VALU_DEP_2) | instskip(SKIP_1) | instid1(VALU_DEP_2)
	v_div_fmas_f64 v[26:27], v[26:27], v[72:73], v[78:79]
	s_mov_b32 vcc_lo, s1
	v_div_fmas_f64 v[72:73], v[28:29], v[74:75], v[82:83]
	s_delay_alu instid0(VALU_DEP_2) | instskip(NEXT) | instid1(VALU_DEP_2)
	v_div_fixup_f64 v[28:29], v[26:27], v[44:45], s[8:9]
	v_div_fixup_f64 v[26:27], v[72:73], v[46:47], s[10:11]
.LBB62_143:                             ;   in Loop: Header=BB62_89 Depth=1
	s_or_b32 exec_lo, exec_lo, s21
.LBB62_144:                             ;   in Loop: Header=BB62_89 Depth=1
	s_and_not1_saveexec_b32 s1, s3
	s_cbranch_execz .LBB62_146
; %bb.145:                              ;   in Loop: Header=BB62_89 Depth=1
	v_div_scale_f64 v[26:27], null, v[24:25], v[24:25], v[22:23]
	v_div_scale_f64 v[74:75], vcc_lo, v[22:23], v[24:25], v[22:23]
	s_delay_alu instid0(VALU_DEP_2) | instskip(SKIP_2) | instid1(VALU_DEP_1)
	v_rcp_f64_e32 v[28:29], v[26:27]
	s_waitcnt_depctr 0xfff
	v_fma_f64 v[72:73], -v[26:27], v[28:29], 1.0
	v_fma_f64 v[28:29], v[28:29], v[72:73], v[28:29]
	s_delay_alu instid0(VALU_DEP_1) | instskip(NEXT) | instid1(VALU_DEP_1)
	v_fma_f64 v[72:73], -v[26:27], v[28:29], 1.0
	v_fma_f64 v[28:29], v[28:29], v[72:73], v[28:29]
	s_delay_alu instid0(VALU_DEP_1) | instskip(NEXT) | instid1(VALU_DEP_1)
	v_mul_f64 v[72:73], v[74:75], v[28:29]
	v_fma_f64 v[26:27], -v[26:27], v[72:73], v[74:75]
	s_delay_alu instid0(VALU_DEP_1) | instskip(NEXT) | instid1(VALU_DEP_1)
	v_div_fmas_f64 v[26:27], v[26:27], v[28:29], v[72:73]
	v_div_fixup_f64 v[26:27], v[26:27], v[24:25], v[22:23]
	s_delay_alu instid0(VALU_DEP_1) | instskip(NEXT) | instid1(VALU_DEP_1)
	v_fma_f64 v[28:29], v[22:23], v[26:27], v[24:25]
	v_div_scale_f64 v[72:73], null, v[28:29], v[28:29], 1.0
	v_div_scale_f64 v[78:79], vcc_lo, 1.0, v[28:29], 1.0
	s_delay_alu instid0(VALU_DEP_2) | instskip(SKIP_2) | instid1(VALU_DEP_1)
	v_rcp_f64_e32 v[74:75], v[72:73]
	s_waitcnt_depctr 0xfff
	v_fma_f64 v[76:77], -v[72:73], v[74:75], 1.0
	v_fma_f64 v[74:75], v[74:75], v[76:77], v[74:75]
	s_delay_alu instid0(VALU_DEP_1) | instskip(NEXT) | instid1(VALU_DEP_1)
	v_fma_f64 v[76:77], -v[72:73], v[74:75], 1.0
	v_fma_f64 v[74:75], v[74:75], v[76:77], v[74:75]
	s_delay_alu instid0(VALU_DEP_1) | instskip(NEXT) | instid1(VALU_DEP_1)
	v_mul_f64 v[76:77], v[78:79], v[74:75]
	v_fma_f64 v[72:73], -v[72:73], v[76:77], v[78:79]
	s_delay_alu instid0(VALU_DEP_1) | instskip(SKIP_2) | instid1(VALU_DEP_3)
	v_div_fmas_f64 v[72:73], v[72:73], v[74:75], v[76:77]
	v_fma_f64 v[74:75], s[8:9], v[26:27], s[10:11]
	v_fma_f64 v[26:27], s[10:11], v[26:27], -s[8:9]
	v_div_fixup_f64 v[72:73], v[72:73], v[28:29], 1.0
	s_delay_alu instid0(VALU_DEP_1) | instskip(NEXT) | instid1(VALU_DEP_3)
	v_mul_f64 v[28:29], v[74:75], v[72:73]
	v_mul_f64 v[26:27], v[26:27], v[72:73]
.LBB62_146:                             ;   in Loop: Header=BB62_89 Depth=1
	s_or_b32 exec_lo, exec_lo, s1
	s_delay_alu instid0(VALU_DEP_1) | instskip(SKIP_1) | instid1(VALU_DEP_2)
	v_mul_f64 v[72:73], s[6:7], v[26:27]
	v_mul_f64 v[74:75], s[4:5], v[26:27]
	v_fma_f64 v[26:27], s[4:5], v[28:29], -v[72:73]
	s_delay_alu instid0(VALU_DEP_2)
	v_fma_f64 v[28:29], s[6:7], v[28:29], v[74:75]
	s_branch .LBB62_157
.LBB62_147:                             ;   in Loop: Header=BB62_89 Depth=1
                                        ; implicit-def: $vgpr28_vgpr29
                                        ; implicit-def: $vgpr26_vgpr27
	s_cbranch_execz .LBB62_157
; %bb.148:                              ;   in Loop: Header=BB62_89 Depth=1
                                        ; implicit-def: $vgpr28_vgpr29
                                        ; implicit-def: $vgpr26_vgpr27
	s_delay_alu instid0(VALU_DEP_1) | instskip(NEXT) | instid1(SALU_CYCLE_1)
	s_and_saveexec_b32 s1, s0
	s_xor_b32 s1, exec_lo, s1
	s_cbranch_execz .LBB62_154
; %bb.149:                              ;   in Loop: Header=BB62_89 Depth=1
	v_cmp_neq_f64_e32 vcc_lo, 0, v[22:23]
	v_cmp_neq_f64_e64 s0, 0, v[24:25]
                                        ; implicit-def: $vgpr28_vgpr29
                                        ; implicit-def: $vgpr26_vgpr27
	s_delay_alu instid0(VALU_DEP_1) | instskip(NEXT) | instid1(SALU_CYCLE_1)
	s_or_b32 s0, s0, vcc_lo
	s_and_saveexec_b32 s3, s0
	s_delay_alu instid0(SALU_CYCLE_1)
	s_xor_b32 s0, exec_lo, s3
	s_cbranch_execz .LBB62_151
; %bb.150:                              ;   in Loop: Header=BB62_89 Depth=1
	v_div_scale_f64 v[26:27], null, v[22:23], v[22:23], v[24:25]
	v_div_scale_f64 v[46:47], vcc_lo, v[24:25], v[22:23], v[24:25]
	s_delay_alu instid0(VALU_DEP_2) | instskip(SKIP_2) | instid1(VALU_DEP_1)
	v_rcp_f64_e32 v[28:29], v[26:27]
	s_waitcnt_depctr 0xfff
	v_fma_f64 v[44:45], -v[26:27], v[28:29], 1.0
	v_fma_f64 v[28:29], v[28:29], v[44:45], v[28:29]
	s_delay_alu instid0(VALU_DEP_1) | instskip(NEXT) | instid1(VALU_DEP_1)
	v_fma_f64 v[44:45], -v[26:27], v[28:29], 1.0
	v_fma_f64 v[28:29], v[28:29], v[44:45], v[28:29]
	s_delay_alu instid0(VALU_DEP_1) | instskip(NEXT) | instid1(VALU_DEP_1)
	v_mul_f64 v[44:45], v[46:47], v[28:29]
	v_fma_f64 v[26:27], -v[26:27], v[44:45], v[46:47]
	s_delay_alu instid0(VALU_DEP_1) | instskip(NEXT) | instid1(VALU_DEP_1)
	v_div_fmas_f64 v[26:27], v[26:27], v[28:29], v[44:45]
	v_div_fixup_f64 v[26:27], v[26:27], v[22:23], v[24:25]
	s_delay_alu instid0(VALU_DEP_1) | instskip(NEXT) | instid1(VALU_DEP_1)
	v_fma_f64 v[22:23], v[24:25], v[26:27], v[22:23]
	v_div_scale_f64 v[24:25], null, v[22:23], v[22:23], 1.0
	v_div_scale_f64 v[46:47], vcc_lo, 1.0, v[22:23], 1.0
	s_delay_alu instid0(VALU_DEP_2) | instskip(SKIP_2) | instid1(VALU_DEP_1)
	v_rcp_f64_e32 v[28:29], v[24:25]
	s_waitcnt_depctr 0xfff
	v_fma_f64 v[44:45], -v[24:25], v[28:29], 1.0
	v_fma_f64 v[28:29], v[28:29], v[44:45], v[28:29]
	s_delay_alu instid0(VALU_DEP_1) | instskip(NEXT) | instid1(VALU_DEP_1)
	v_fma_f64 v[44:45], -v[24:25], v[28:29], 1.0
	v_fma_f64 v[28:29], v[28:29], v[44:45], v[28:29]
	s_delay_alu instid0(VALU_DEP_1) | instskip(NEXT) | instid1(VALU_DEP_1)
	v_mul_f64 v[44:45], v[46:47], v[28:29]
	v_fma_f64 v[24:25], -v[24:25], v[44:45], v[46:47]
                                        ; implicit-def: $vgpr46_vgpr47
	s_delay_alu instid0(VALU_DEP_1) | instskip(SKIP_1) | instid1(VALU_DEP_2)
	v_div_fmas_f64 v[24:25], v[24:25], v[28:29], v[44:45]
	v_fma_f64 v[28:29], s[10:11], v[26:27], s[8:9]
                                        ; implicit-def: $vgpr44_vgpr45
	v_div_fixup_f64 v[22:23], v[24:25], v[22:23], 1.0
	v_fma_f64 v[24:25], -s[8:9], v[26:27], s[10:11]
	s_delay_alu instid0(VALU_DEP_2) | instskip(NEXT) | instid1(VALU_DEP_2)
	v_mul_f64 v[26:27], v[28:29], v[22:23]
	v_mul_f64 v[28:29], v[24:25], v[22:23]
.LBB62_151:                             ;   in Loop: Header=BB62_89 Depth=1
	s_and_not1_saveexec_b32 s3, s0
	s_cbranch_execz .LBB62_153
; %bb.152:                              ;   in Loop: Header=BB62_89 Depth=1
	v_div_scale_f64 v[22:23], null, v[44:45], v[44:45], s[8:9]
	v_div_scale_f64 v[24:25], null, v[46:47], v[46:47], s[10:11]
	v_div_scale_f64 v[76:77], vcc_lo, s[8:9], v[44:45], s[8:9]
	s_delay_alu instid0(VALU_DEP_3) | instskip(NEXT) | instid1(VALU_DEP_2)
	v_rcp_f64_e32 v[26:27], v[22:23]
	v_rcp_f64_e32 v[28:29], v[24:25]
	s_waitcnt_depctr 0xfff
	v_fma_f64 v[72:73], -v[22:23], v[26:27], 1.0
	v_fma_f64 v[74:75], -v[24:25], v[28:29], 1.0
	s_delay_alu instid0(VALU_DEP_2) | instskip(NEXT) | instid1(VALU_DEP_2)
	v_fma_f64 v[26:27], v[26:27], v[72:73], v[26:27]
	v_fma_f64 v[28:29], v[28:29], v[74:75], v[28:29]
	s_delay_alu instid0(VALU_DEP_2) | instskip(NEXT) | instid1(VALU_DEP_2)
	v_fma_f64 v[72:73], -v[22:23], v[26:27], 1.0
	v_fma_f64 v[74:75], -v[24:25], v[28:29], 1.0
	s_delay_alu instid0(VALU_DEP_2) | instskip(SKIP_1) | instid1(VALU_DEP_3)
	v_fma_f64 v[26:27], v[26:27], v[72:73], v[26:27]
	v_div_scale_f64 v[72:73], s0, s[10:11], v[46:47], s[10:11]
	v_fma_f64 v[28:29], v[28:29], v[74:75], v[28:29]
	s_delay_alu instid0(VALU_DEP_3) | instskip(NEXT) | instid1(VALU_DEP_2)
	v_mul_f64 v[74:75], v[76:77], v[26:27]
	v_mul_f64 v[78:79], v[72:73], v[28:29]
	s_delay_alu instid0(VALU_DEP_2) | instskip(NEXT) | instid1(VALU_DEP_2)
	v_fma_f64 v[22:23], -v[22:23], v[74:75], v[76:77]
	v_fma_f64 v[24:25], -v[24:25], v[78:79], v[72:73]
	s_delay_alu instid0(VALU_DEP_2) | instskip(SKIP_1) | instid1(VALU_DEP_2)
	v_div_fmas_f64 v[22:23], v[22:23], v[26:27], v[74:75]
	s_mov_b32 vcc_lo, s0
	v_div_fmas_f64 v[24:25], v[24:25], v[28:29], v[78:79]
	s_delay_alu instid0(VALU_DEP_2) | instskip(NEXT) | instid1(VALU_DEP_2)
	v_div_fixup_f64 v[26:27], v[22:23], v[44:45], s[8:9]
	v_div_fixup_f64 v[28:29], v[24:25], v[46:47], s[10:11]
.LBB62_153:                             ;   in Loop: Header=BB62_89 Depth=1
	s_or_b32 exec_lo, exec_lo, s3
                                        ; implicit-def: $vgpr24_vgpr25
.LBB62_154:                             ;   in Loop: Header=BB62_89 Depth=1
	s_and_not1_saveexec_b32 s0, s1
	s_cbranch_execz .LBB62_156
; %bb.155:                              ;   in Loop: Header=BB62_89 Depth=1
	v_div_scale_f64 v[26:27], null, v[24:25], v[24:25], v[22:23]
	v_div_scale_f64 v[46:47], vcc_lo, v[22:23], v[24:25], v[22:23]
	s_delay_alu instid0(VALU_DEP_2) | instskip(SKIP_2) | instid1(VALU_DEP_1)
	v_rcp_f64_e32 v[28:29], v[26:27]
	s_waitcnt_depctr 0xfff
	v_fma_f64 v[44:45], -v[26:27], v[28:29], 1.0
	v_fma_f64 v[28:29], v[28:29], v[44:45], v[28:29]
	s_delay_alu instid0(VALU_DEP_1) | instskip(NEXT) | instid1(VALU_DEP_1)
	v_fma_f64 v[44:45], -v[26:27], v[28:29], 1.0
	v_fma_f64 v[28:29], v[28:29], v[44:45], v[28:29]
	s_delay_alu instid0(VALU_DEP_1) | instskip(NEXT) | instid1(VALU_DEP_1)
	v_mul_f64 v[44:45], v[46:47], v[28:29]
	v_fma_f64 v[26:27], -v[26:27], v[44:45], v[46:47]
	s_delay_alu instid0(VALU_DEP_1) | instskip(NEXT) | instid1(VALU_DEP_1)
	v_div_fmas_f64 v[26:27], v[26:27], v[28:29], v[44:45]
	v_div_fixup_f64 v[26:27], v[26:27], v[24:25], v[22:23]
	s_delay_alu instid0(VALU_DEP_1) | instskip(NEXT) | instid1(VALU_DEP_1)
	v_fma_f64 v[22:23], v[22:23], v[26:27], v[24:25]
	v_div_scale_f64 v[24:25], null, v[22:23], v[22:23], 1.0
	v_div_scale_f64 v[46:47], vcc_lo, 1.0, v[22:23], 1.0
	s_delay_alu instid0(VALU_DEP_2) | instskip(SKIP_2) | instid1(VALU_DEP_1)
	v_rcp_f64_e32 v[28:29], v[24:25]
	s_waitcnt_depctr 0xfff
	v_fma_f64 v[44:45], -v[24:25], v[28:29], 1.0
	v_fma_f64 v[28:29], v[28:29], v[44:45], v[28:29]
	s_delay_alu instid0(VALU_DEP_1) | instskip(NEXT) | instid1(VALU_DEP_1)
	v_fma_f64 v[44:45], -v[24:25], v[28:29], 1.0
	v_fma_f64 v[28:29], v[28:29], v[44:45], v[28:29]
	s_delay_alu instid0(VALU_DEP_1) | instskip(NEXT) | instid1(VALU_DEP_1)
	v_mul_f64 v[44:45], v[46:47], v[28:29]
	v_fma_f64 v[24:25], -v[24:25], v[44:45], v[46:47]
	s_delay_alu instid0(VALU_DEP_1) | instskip(SKIP_1) | instid1(VALU_DEP_2)
	v_div_fmas_f64 v[24:25], v[24:25], v[28:29], v[44:45]
	v_fma_f64 v[28:29], s[8:9], v[26:27], s[10:11]
	v_div_fixup_f64 v[22:23], v[24:25], v[22:23], 1.0
	v_fma_f64 v[24:25], s[10:11], v[26:27], -s[8:9]
	s_delay_alu instid0(VALU_DEP_2) | instskip(NEXT) | instid1(VALU_DEP_2)
	v_mul_f64 v[26:27], v[28:29], v[22:23]
	v_mul_f64 v[28:29], v[24:25], v[22:23]
.LBB62_156:                             ;   in Loop: Header=BB62_89 Depth=1
	s_or_b32 exec_lo, exec_lo, s0
.LBB62_157:                             ;   in Loop: Header=BB62_89 Depth=1
	v_cmp_gt_f64_e32 vcc_lo, 0, v[18:19]
	v_cmp_gt_f64_e64 s0, 0, v[20:21]
	v_xor_b32_e32 v22, 0x80000000, v19
	v_xor_b32_e32 v24, 0x80000000, v21
	s_delay_alu instid0(VALU_DEP_2) | instskip(NEXT) | instid1(VALU_DEP_2)
	v_cndmask_b32_e32 v23, v19, v22, vcc_lo
	v_cndmask_b32_e64 v25, v21, v24, s0
	v_cndmask_b32_e32 v22, v18, v18, vcc_lo
	v_cndmask_b32_e64 v24, v20, v20, s0
	s_and_not1_b32 vcc_lo, exec_lo, s26
	s_delay_alu instid0(VALU_DEP_1)
	v_cmp_ge_f64_e64 s0, v[22:23], v[24:25]
	s_cbranch_vccnz .LBB62_167
; %bb.158:                              ;   in Loop: Header=BB62_89 Depth=1
                                        ; implicit-def: $vgpr44_vgpr45
                                        ; implicit-def: $vgpr46_vgpr47
	s_delay_alu instid0(VALU_DEP_1) | instskip(NEXT) | instid1(SALU_CYCLE_1)
	s_and_saveexec_b32 s1, s0
	s_xor_b32 s3, exec_lo, s1
	s_cbranch_execz .LBB62_164
; %bb.159:                              ;   in Loop: Header=BB62_89 Depth=1
	v_cmp_neq_f64_e32 vcc_lo, 0, v[18:19]
	v_cmp_neq_f64_e64 s1, 0, v[20:21]
                                        ; implicit-def: $vgpr44_vgpr45
                                        ; implicit-def: $vgpr46_vgpr47
	s_delay_alu instid0(VALU_DEP_1) | instskip(NEXT) | instid1(SALU_CYCLE_1)
	s_or_b32 s1, s1, vcc_lo
	s_and_saveexec_b32 s21, s1
	s_delay_alu instid0(SALU_CYCLE_1)
	s_xor_b32 s1, exec_lo, s21
	s_cbranch_execz .LBB62_161
; %bb.160:                              ;   in Loop: Header=BB62_89 Depth=1
	v_div_scale_f64 v[44:45], null, v[18:19], v[18:19], v[20:21]
	v_div_scale_f64 v[74:75], vcc_lo, v[20:21], v[18:19], v[20:21]
	s_delay_alu instid0(VALU_DEP_2) | instskip(SKIP_2) | instid1(VALU_DEP_1)
	v_rcp_f64_e32 v[46:47], v[44:45]
	s_waitcnt_depctr 0xfff
	v_fma_f64 v[72:73], -v[44:45], v[46:47], 1.0
	v_fma_f64 v[46:47], v[46:47], v[72:73], v[46:47]
	s_delay_alu instid0(VALU_DEP_1) | instskip(NEXT) | instid1(VALU_DEP_1)
	v_fma_f64 v[72:73], -v[44:45], v[46:47], 1.0
	v_fma_f64 v[46:47], v[46:47], v[72:73], v[46:47]
	s_delay_alu instid0(VALU_DEP_1) | instskip(NEXT) | instid1(VALU_DEP_1)
	v_mul_f64 v[72:73], v[74:75], v[46:47]
	v_fma_f64 v[44:45], -v[44:45], v[72:73], v[74:75]
	s_delay_alu instid0(VALU_DEP_1) | instskip(NEXT) | instid1(VALU_DEP_1)
	v_div_fmas_f64 v[44:45], v[44:45], v[46:47], v[72:73]
	v_div_fixup_f64 v[44:45], v[44:45], v[18:19], v[20:21]
	s_delay_alu instid0(VALU_DEP_1) | instskip(NEXT) | instid1(VALU_DEP_1)
	v_fma_f64 v[46:47], v[20:21], v[44:45], v[18:19]
	v_div_scale_f64 v[72:73], null, v[46:47], v[46:47], 1.0
	v_div_scale_f64 v[78:79], vcc_lo, 1.0, v[46:47], 1.0
	s_delay_alu instid0(VALU_DEP_2) | instskip(SKIP_2) | instid1(VALU_DEP_1)
	v_rcp_f64_e32 v[74:75], v[72:73]
	s_waitcnt_depctr 0xfff
	v_fma_f64 v[76:77], -v[72:73], v[74:75], 1.0
	v_fma_f64 v[74:75], v[74:75], v[76:77], v[74:75]
	s_delay_alu instid0(VALU_DEP_1) | instskip(NEXT) | instid1(VALU_DEP_1)
	v_fma_f64 v[76:77], -v[72:73], v[74:75], 1.0
	v_fma_f64 v[74:75], v[74:75], v[76:77], v[74:75]
	s_delay_alu instid0(VALU_DEP_1) | instskip(NEXT) | instid1(VALU_DEP_1)
	v_mul_f64 v[76:77], v[78:79], v[74:75]
	v_fma_f64 v[72:73], -v[72:73], v[76:77], v[78:79]
	s_delay_alu instid0(VALU_DEP_1) | instskip(SKIP_2) | instid1(VALU_DEP_3)
	v_div_fmas_f64 v[72:73], v[72:73], v[74:75], v[76:77]
	v_fma_f64 v[74:75], s[10:11], v[44:45], s[8:9]
	v_fma_f64 v[44:45], -s[8:9], v[44:45], s[10:11]
	v_div_fixup_f64 v[72:73], v[72:73], v[46:47], 1.0
	s_delay_alu instid0(VALU_DEP_1) | instskip(NEXT) | instid1(VALU_DEP_3)
	v_mul_f64 v[46:47], v[74:75], v[72:73]
	v_mul_f64 v[44:45], v[44:45], v[72:73]
.LBB62_161:                             ;   in Loop: Header=BB62_89 Depth=1
	s_and_not1_saveexec_b32 s21, s1
	s_cbranch_execz .LBB62_163
; %bb.162:                              ;   in Loop: Header=BB62_89 Depth=1
	v_div_scale_f64 v[44:45], null, v[22:23], v[22:23], s[8:9]
	v_div_scale_f64 v[46:47], null, v[24:25], v[24:25], s[10:11]
	v_div_scale_f64 v[80:81], vcc_lo, s[8:9], v[22:23], s[8:9]
	s_delay_alu instid0(VALU_DEP_3) | instskip(NEXT) | instid1(VALU_DEP_2)
	v_rcp_f64_e32 v[72:73], v[44:45]
	v_rcp_f64_e32 v[74:75], v[46:47]
	s_waitcnt_depctr 0xfff
	v_fma_f64 v[76:77], -v[44:45], v[72:73], 1.0
	v_fma_f64 v[78:79], -v[46:47], v[74:75], 1.0
	s_delay_alu instid0(VALU_DEP_2) | instskip(NEXT) | instid1(VALU_DEP_2)
	v_fma_f64 v[72:73], v[72:73], v[76:77], v[72:73]
	v_fma_f64 v[74:75], v[74:75], v[78:79], v[74:75]
	s_delay_alu instid0(VALU_DEP_2) | instskip(NEXT) | instid1(VALU_DEP_2)
	v_fma_f64 v[76:77], -v[44:45], v[72:73], 1.0
	v_fma_f64 v[78:79], -v[46:47], v[74:75], 1.0
	s_delay_alu instid0(VALU_DEP_2) | instskip(SKIP_1) | instid1(VALU_DEP_3)
	v_fma_f64 v[72:73], v[72:73], v[76:77], v[72:73]
	v_div_scale_f64 v[76:77], s1, s[10:11], v[24:25], s[10:11]
	v_fma_f64 v[74:75], v[74:75], v[78:79], v[74:75]
	s_delay_alu instid0(VALU_DEP_3) | instskip(NEXT) | instid1(VALU_DEP_2)
	v_mul_f64 v[78:79], v[80:81], v[72:73]
	v_mul_f64 v[82:83], v[76:77], v[74:75]
	s_delay_alu instid0(VALU_DEP_2) | instskip(NEXT) | instid1(VALU_DEP_2)
	v_fma_f64 v[44:45], -v[44:45], v[78:79], v[80:81]
	v_fma_f64 v[46:47], -v[46:47], v[82:83], v[76:77]
	s_delay_alu instid0(VALU_DEP_2) | instskip(SKIP_1) | instid1(VALU_DEP_2)
	v_div_fmas_f64 v[44:45], v[44:45], v[72:73], v[78:79]
	s_mov_b32 vcc_lo, s1
	v_div_fmas_f64 v[72:73], v[46:47], v[74:75], v[82:83]
	s_delay_alu instid0(VALU_DEP_2) | instskip(NEXT) | instid1(VALU_DEP_2)
	v_div_fixup_f64 v[46:47], v[44:45], v[22:23], s[8:9]
	v_div_fixup_f64 v[44:45], v[72:73], v[24:25], s[10:11]
.LBB62_163:                             ;   in Loop: Header=BB62_89 Depth=1
	s_or_b32 exec_lo, exec_lo, s21
.LBB62_164:                             ;   in Loop: Header=BB62_89 Depth=1
	s_and_not1_saveexec_b32 s1, s3
	s_cbranch_execz .LBB62_166
; %bb.165:                              ;   in Loop: Header=BB62_89 Depth=1
	v_div_scale_f64 v[44:45], null, v[20:21], v[20:21], v[18:19]
	v_div_scale_f64 v[74:75], vcc_lo, v[18:19], v[20:21], v[18:19]
	s_delay_alu instid0(VALU_DEP_2) | instskip(SKIP_2) | instid1(VALU_DEP_1)
	v_rcp_f64_e32 v[46:47], v[44:45]
	s_waitcnt_depctr 0xfff
	v_fma_f64 v[72:73], -v[44:45], v[46:47], 1.0
	v_fma_f64 v[46:47], v[46:47], v[72:73], v[46:47]
	s_delay_alu instid0(VALU_DEP_1) | instskip(NEXT) | instid1(VALU_DEP_1)
	v_fma_f64 v[72:73], -v[44:45], v[46:47], 1.0
	v_fma_f64 v[46:47], v[46:47], v[72:73], v[46:47]
	s_delay_alu instid0(VALU_DEP_1) | instskip(NEXT) | instid1(VALU_DEP_1)
	v_mul_f64 v[72:73], v[74:75], v[46:47]
	v_fma_f64 v[44:45], -v[44:45], v[72:73], v[74:75]
	s_delay_alu instid0(VALU_DEP_1) | instskip(NEXT) | instid1(VALU_DEP_1)
	v_div_fmas_f64 v[44:45], v[44:45], v[46:47], v[72:73]
	v_div_fixup_f64 v[44:45], v[44:45], v[20:21], v[18:19]
	s_delay_alu instid0(VALU_DEP_1) | instskip(NEXT) | instid1(VALU_DEP_1)
	v_fma_f64 v[46:47], v[18:19], v[44:45], v[20:21]
	v_div_scale_f64 v[72:73], null, v[46:47], v[46:47], 1.0
	v_div_scale_f64 v[78:79], vcc_lo, 1.0, v[46:47], 1.0
	s_delay_alu instid0(VALU_DEP_2) | instskip(SKIP_2) | instid1(VALU_DEP_1)
	v_rcp_f64_e32 v[74:75], v[72:73]
	s_waitcnt_depctr 0xfff
	v_fma_f64 v[76:77], -v[72:73], v[74:75], 1.0
	v_fma_f64 v[74:75], v[74:75], v[76:77], v[74:75]
	s_delay_alu instid0(VALU_DEP_1) | instskip(NEXT) | instid1(VALU_DEP_1)
	v_fma_f64 v[76:77], -v[72:73], v[74:75], 1.0
	v_fma_f64 v[74:75], v[74:75], v[76:77], v[74:75]
	s_delay_alu instid0(VALU_DEP_1) | instskip(NEXT) | instid1(VALU_DEP_1)
	v_mul_f64 v[76:77], v[78:79], v[74:75]
	v_fma_f64 v[72:73], -v[72:73], v[76:77], v[78:79]
	s_delay_alu instid0(VALU_DEP_1) | instskip(SKIP_2) | instid1(VALU_DEP_3)
	v_div_fmas_f64 v[72:73], v[72:73], v[74:75], v[76:77]
	v_fma_f64 v[74:75], s[8:9], v[44:45], s[10:11]
	v_fma_f64 v[44:45], s[10:11], v[44:45], -s[8:9]
	v_div_fixup_f64 v[72:73], v[72:73], v[46:47], 1.0
	s_delay_alu instid0(VALU_DEP_1) | instskip(NEXT) | instid1(VALU_DEP_3)
	v_mul_f64 v[46:47], v[74:75], v[72:73]
	v_mul_f64 v[44:45], v[44:45], v[72:73]
.LBB62_166:                             ;   in Loop: Header=BB62_89 Depth=1
	s_or_b32 exec_lo, exec_lo, s1
	s_delay_alu instid0(VALU_DEP_1) | instskip(SKIP_1) | instid1(VALU_DEP_2)
	v_mul_f64 v[72:73], s[6:7], v[44:45]
	v_mul_f64 v[74:75], s[4:5], v[44:45]
	v_fma_f64 v[44:45], s[4:5], v[46:47], -v[72:73]
	s_delay_alu instid0(VALU_DEP_2)
	v_fma_f64 v[46:47], s[6:7], v[46:47], v[74:75]
	s_branch .LBB62_177
.LBB62_167:                             ;   in Loop: Header=BB62_89 Depth=1
                                        ; implicit-def: $vgpr46_vgpr47
                                        ; implicit-def: $vgpr44_vgpr45
	s_cbranch_execz .LBB62_177
; %bb.168:                              ;   in Loop: Header=BB62_89 Depth=1
                                        ; implicit-def: $vgpr46_vgpr47
                                        ; implicit-def: $vgpr44_vgpr45
	s_delay_alu instid0(VALU_DEP_1) | instskip(NEXT) | instid1(SALU_CYCLE_1)
	s_and_saveexec_b32 s1, s0
	s_xor_b32 s1, exec_lo, s1
	s_cbranch_execz .LBB62_174
; %bb.169:                              ;   in Loop: Header=BB62_89 Depth=1
	v_cmp_neq_f64_e32 vcc_lo, 0, v[18:19]
	v_cmp_neq_f64_e64 s0, 0, v[20:21]
                                        ; implicit-def: $vgpr46_vgpr47
                                        ; implicit-def: $vgpr44_vgpr45
	s_delay_alu instid0(VALU_DEP_1) | instskip(NEXT) | instid1(SALU_CYCLE_1)
	s_or_b32 s0, s0, vcc_lo
	s_and_saveexec_b32 s3, s0
	s_delay_alu instid0(SALU_CYCLE_1)
	s_xor_b32 s0, exec_lo, s3
	s_cbranch_execz .LBB62_171
; %bb.170:                              ;   in Loop: Header=BB62_89 Depth=1
	v_div_scale_f64 v[22:23], null, v[18:19], v[18:19], v[20:21]
	v_div_scale_f64 v[46:47], vcc_lo, v[20:21], v[18:19], v[20:21]
	s_delay_alu instid0(VALU_DEP_2) | instskip(SKIP_2) | instid1(VALU_DEP_1)
	v_rcp_f64_e32 v[24:25], v[22:23]
	s_waitcnt_depctr 0xfff
	v_fma_f64 v[44:45], -v[22:23], v[24:25], 1.0
	v_fma_f64 v[24:25], v[24:25], v[44:45], v[24:25]
	s_delay_alu instid0(VALU_DEP_1) | instskip(NEXT) | instid1(VALU_DEP_1)
	v_fma_f64 v[44:45], -v[22:23], v[24:25], 1.0
	v_fma_f64 v[24:25], v[24:25], v[44:45], v[24:25]
	s_delay_alu instid0(VALU_DEP_1) | instskip(NEXT) | instid1(VALU_DEP_1)
	v_mul_f64 v[44:45], v[46:47], v[24:25]
	v_fma_f64 v[22:23], -v[22:23], v[44:45], v[46:47]
	s_delay_alu instid0(VALU_DEP_1) | instskip(NEXT) | instid1(VALU_DEP_1)
	v_div_fmas_f64 v[22:23], v[22:23], v[24:25], v[44:45]
	v_div_fixup_f64 v[22:23], v[22:23], v[18:19], v[20:21]
	s_delay_alu instid0(VALU_DEP_1) | instskip(NEXT) | instid1(VALU_DEP_1)
	v_fma_f64 v[18:19], v[20:21], v[22:23], v[18:19]
	v_div_scale_f64 v[20:21], null, v[18:19], v[18:19], 1.0
	v_div_scale_f64 v[46:47], vcc_lo, 1.0, v[18:19], 1.0
	s_delay_alu instid0(VALU_DEP_2) | instskip(SKIP_2) | instid1(VALU_DEP_1)
	v_rcp_f64_e32 v[24:25], v[20:21]
	s_waitcnt_depctr 0xfff
	v_fma_f64 v[44:45], -v[20:21], v[24:25], 1.0
	v_fma_f64 v[24:25], v[24:25], v[44:45], v[24:25]
	s_delay_alu instid0(VALU_DEP_1) | instskip(NEXT) | instid1(VALU_DEP_1)
	v_fma_f64 v[44:45], -v[20:21], v[24:25], 1.0
	v_fma_f64 v[24:25], v[24:25], v[44:45], v[24:25]
	s_delay_alu instid0(VALU_DEP_1) | instskip(NEXT) | instid1(VALU_DEP_1)
	v_mul_f64 v[44:45], v[46:47], v[24:25]
	v_fma_f64 v[20:21], -v[20:21], v[44:45], v[46:47]
	s_delay_alu instid0(VALU_DEP_1) | instskip(SKIP_1) | instid1(VALU_DEP_2)
	v_div_fmas_f64 v[20:21], v[20:21], v[24:25], v[44:45]
	v_fma_f64 v[24:25], s[10:11], v[22:23], s[8:9]
	v_div_fixup_f64 v[18:19], v[20:21], v[18:19], 1.0
	v_fma_f64 v[20:21], -s[8:9], v[22:23], s[10:11]
                                        ; implicit-def: $vgpr22_vgpr23
	s_delay_alu instid0(VALU_DEP_2) | instskip(NEXT) | instid1(VALU_DEP_2)
	v_mul_f64 v[44:45], v[24:25], v[18:19]
	v_mul_f64 v[46:47], v[20:21], v[18:19]
                                        ; implicit-def: $vgpr24_vgpr25
.LBB62_171:                             ;   in Loop: Header=BB62_89 Depth=1
	s_and_not1_saveexec_b32 s3, s0
	s_cbranch_execz .LBB62_173
; %bb.172:                              ;   in Loop: Header=BB62_89 Depth=1
	v_div_scale_f64 v[18:19], null, v[22:23], v[22:23], s[8:9]
	v_div_scale_f64 v[20:21], null, v[24:25], v[24:25], s[10:11]
	v_div_scale_f64 v[76:77], vcc_lo, s[8:9], v[22:23], s[8:9]
	s_delay_alu instid0(VALU_DEP_3) | instskip(NEXT) | instid1(VALU_DEP_2)
	v_rcp_f64_e32 v[44:45], v[18:19]
	v_rcp_f64_e32 v[46:47], v[20:21]
	s_waitcnt_depctr 0xfff
	v_fma_f64 v[72:73], -v[18:19], v[44:45], 1.0
	v_fma_f64 v[74:75], -v[20:21], v[46:47], 1.0
	s_delay_alu instid0(VALU_DEP_2) | instskip(NEXT) | instid1(VALU_DEP_2)
	v_fma_f64 v[44:45], v[44:45], v[72:73], v[44:45]
	v_fma_f64 v[46:47], v[46:47], v[74:75], v[46:47]
	s_delay_alu instid0(VALU_DEP_2) | instskip(NEXT) | instid1(VALU_DEP_2)
	v_fma_f64 v[72:73], -v[18:19], v[44:45], 1.0
	v_fma_f64 v[74:75], -v[20:21], v[46:47], 1.0
	s_delay_alu instid0(VALU_DEP_2) | instskip(SKIP_1) | instid1(VALU_DEP_3)
	v_fma_f64 v[44:45], v[44:45], v[72:73], v[44:45]
	v_div_scale_f64 v[72:73], s0, s[10:11], v[24:25], s[10:11]
	v_fma_f64 v[46:47], v[46:47], v[74:75], v[46:47]
	s_delay_alu instid0(VALU_DEP_3) | instskip(NEXT) | instid1(VALU_DEP_2)
	v_mul_f64 v[74:75], v[76:77], v[44:45]
	v_mul_f64 v[78:79], v[72:73], v[46:47]
	s_delay_alu instid0(VALU_DEP_2) | instskip(NEXT) | instid1(VALU_DEP_2)
	v_fma_f64 v[18:19], -v[18:19], v[74:75], v[76:77]
	v_fma_f64 v[20:21], -v[20:21], v[78:79], v[72:73]
	s_delay_alu instid0(VALU_DEP_2) | instskip(SKIP_1) | instid1(VALU_DEP_2)
	v_div_fmas_f64 v[18:19], v[18:19], v[44:45], v[74:75]
	s_mov_b32 vcc_lo, s0
	v_div_fmas_f64 v[20:21], v[20:21], v[46:47], v[78:79]
	s_delay_alu instid0(VALU_DEP_2) | instskip(NEXT) | instid1(VALU_DEP_2)
	v_div_fixup_f64 v[44:45], v[18:19], v[22:23], s[8:9]
	v_div_fixup_f64 v[46:47], v[20:21], v[24:25], s[10:11]
.LBB62_173:                             ;   in Loop: Header=BB62_89 Depth=1
	s_or_b32 exec_lo, exec_lo, s3
                                        ; implicit-def: $vgpr20_vgpr21
.LBB62_174:                             ;   in Loop: Header=BB62_89 Depth=1
	s_and_not1_saveexec_b32 s0, s1
	s_cbranch_execz .LBB62_176
; %bb.175:                              ;   in Loop: Header=BB62_89 Depth=1
	v_div_scale_f64 v[22:23], null, v[20:21], v[20:21], v[18:19]
	v_div_scale_f64 v[46:47], vcc_lo, v[18:19], v[20:21], v[18:19]
	s_delay_alu instid0(VALU_DEP_2) | instskip(SKIP_2) | instid1(VALU_DEP_1)
	v_rcp_f64_e32 v[24:25], v[22:23]
	s_waitcnt_depctr 0xfff
	v_fma_f64 v[44:45], -v[22:23], v[24:25], 1.0
	v_fma_f64 v[24:25], v[24:25], v[44:45], v[24:25]
	s_delay_alu instid0(VALU_DEP_1) | instskip(NEXT) | instid1(VALU_DEP_1)
	v_fma_f64 v[44:45], -v[22:23], v[24:25], 1.0
	v_fma_f64 v[24:25], v[24:25], v[44:45], v[24:25]
	s_delay_alu instid0(VALU_DEP_1) | instskip(NEXT) | instid1(VALU_DEP_1)
	v_mul_f64 v[44:45], v[46:47], v[24:25]
	v_fma_f64 v[22:23], -v[22:23], v[44:45], v[46:47]
	s_delay_alu instid0(VALU_DEP_1) | instskip(NEXT) | instid1(VALU_DEP_1)
	v_div_fmas_f64 v[22:23], v[22:23], v[24:25], v[44:45]
	v_div_fixup_f64 v[22:23], v[22:23], v[20:21], v[18:19]
	s_delay_alu instid0(VALU_DEP_1) | instskip(NEXT) | instid1(VALU_DEP_1)
	v_fma_f64 v[18:19], v[18:19], v[22:23], v[20:21]
	v_div_scale_f64 v[20:21], null, v[18:19], v[18:19], 1.0
	v_div_scale_f64 v[46:47], vcc_lo, 1.0, v[18:19], 1.0
	s_delay_alu instid0(VALU_DEP_2) | instskip(SKIP_2) | instid1(VALU_DEP_1)
	v_rcp_f64_e32 v[24:25], v[20:21]
	s_waitcnt_depctr 0xfff
	v_fma_f64 v[44:45], -v[20:21], v[24:25], 1.0
	v_fma_f64 v[24:25], v[24:25], v[44:45], v[24:25]
	s_delay_alu instid0(VALU_DEP_1) | instskip(NEXT) | instid1(VALU_DEP_1)
	v_fma_f64 v[44:45], -v[20:21], v[24:25], 1.0
	v_fma_f64 v[24:25], v[24:25], v[44:45], v[24:25]
	s_delay_alu instid0(VALU_DEP_1) | instskip(NEXT) | instid1(VALU_DEP_1)
	v_mul_f64 v[44:45], v[46:47], v[24:25]
	v_fma_f64 v[20:21], -v[20:21], v[44:45], v[46:47]
	s_delay_alu instid0(VALU_DEP_1) | instskip(SKIP_1) | instid1(VALU_DEP_2)
	v_div_fmas_f64 v[20:21], v[20:21], v[24:25], v[44:45]
	v_fma_f64 v[24:25], s[8:9], v[22:23], s[10:11]
	v_div_fixup_f64 v[18:19], v[20:21], v[18:19], 1.0
	v_fma_f64 v[20:21], s[10:11], v[22:23], -s[8:9]
	s_delay_alu instid0(VALU_DEP_2) | instskip(NEXT) | instid1(VALU_DEP_2)
	v_mul_f64 v[44:45], v[24:25], v[18:19]
	v_mul_f64 v[46:47], v[20:21], v[18:19]
.LBB62_176:                             ;   in Loop: Header=BB62_89 Depth=1
	s_or_b32 exec_lo, exec_lo, s0
.LBB62_177:                             ;   in Loop: Header=BB62_89 Depth=1
	s_delay_alu instid0(SALU_CYCLE_1)
	s_mov_b32 s0, exec_lo
	v_cmpx_gt_u64_e64 s[16:17], v[0:1]
	s_xor_b32 s0, exec_lo, s0
	s_cbranch_execz .LBB62_179
; %bb.178:                              ;   in Loop: Header=BB62_89 Depth=1
	v_add_f64 v[4:5], v[4:5], v[42:43]
	v_add_f64 v[2:3], v[2:3], v[40:41]
	v_add_co_u32 v18, vcc_lo, v52, s12
	v_add_co_ci_u32_e32 v19, vcc_lo, s13, v53, vcc_lo
	global_store_b128 v[18:19], v[2:5], off offset:-8
.LBB62_179:                             ;   in Loop: Header=BB62_89 Depth=1
	s_or_b32 exec_lo, exec_lo, s0
	s_delay_alu instid0(SALU_CYCLE_1)
	s_mov_b32 s0, exec_lo
	v_cmpx_gt_u64_e64 s[16:17], v[34:35]
	s_cbranch_execnz .LBB62_182
; %bb.180:                              ;   in Loop: Header=BB62_89 Depth=1
	s_or_b32 exec_lo, exec_lo, s0
	s_delay_alu instid0(SALU_CYCLE_1)
	s_mov_b32 s0, exec_lo
	v_cmpx_gt_u64_e64 s[16:17], v[36:37]
	s_cbranch_execnz .LBB62_183
.LBB62_181:                             ;   in Loop: Header=BB62_89 Depth=1
	s_or_b32 exec_lo, exec_lo, s0
	s_delay_alu instid0(SALU_CYCLE_1)
	s_mov_b32 s0, exec_lo
	v_cmpx_gt_u64_e64 s[16:17], v[38:39]
	s_cbranch_execz .LBB62_88
	s_branch .LBB62_184
.LBB62_182:                             ;   in Loop: Header=BB62_89 Depth=1
	v_add_f64 v[4:5], v[8:9], v[32:33]
	v_add_f64 v[2:3], v[6:7], v[30:31]
	v_add_co_u32 v6, vcc_lo, v54, s12
	v_add_co_ci_u32_e32 v7, vcc_lo, s13, v55, vcc_lo
	global_store_b128 v[6:7], v[2:5], off
	s_or_b32 exec_lo, exec_lo, s0
	s_delay_alu instid0(SALU_CYCLE_1)
	s_mov_b32 s0, exec_lo
	v_cmpx_gt_u64_e64 s[16:17], v[36:37]
	s_cbranch_execz .LBB62_181
.LBB62_183:                             ;   in Loop: Header=BB62_89 Depth=1
	v_add_f64 v[4:5], v[12:13], v[28:29]
	v_add_f64 v[2:3], v[10:11], v[26:27]
	v_add_co_u32 v6, vcc_lo, v64, s12
	v_add_co_ci_u32_e32 v7, vcc_lo, s13, v65, vcc_lo
	global_store_b128 v[6:7], v[2:5], off
	s_or_b32 exec_lo, exec_lo, s0
	s_delay_alu instid0(SALU_CYCLE_1)
	s_mov_b32 s0, exec_lo
	v_cmpx_gt_u64_e64 s[16:17], v[38:39]
	s_cbranch_execz .LBB62_88
.LBB62_184:                             ;   in Loop: Header=BB62_89 Depth=1
	v_add_f64 v[4:5], v[16:17], v[46:47]
	v_add_f64 v[2:3], v[14:15], v[44:45]
	v_add_co_u32 v6, vcc_lo, v66, s12
	v_add_co_ci_u32_e32 v7, vcc_lo, s13, v67, vcc_lo
	global_store_b128 v[6:7], v[2:5], off offset:-8
	s_branch .LBB62_88
.LBB62_185:
	s_nop 0
	s_sendmsg sendmsg(MSG_DEALLOC_VGPRS)
	s_endpgm
	.section	.rodata,"a",@progbits
	.p2align	6, 0x0
	.amdhsa_kernel _ZN2at6native12_GLOBAL__N_125multi_tensor_apply_kernelINS1_18TensorListMetadataILi4EEENS1_32PointwiseOpScalar0dTensorFunctorIN3c107complexIdEELi4ELi2ELi3EEEJSt7dividesIS8_ES8_EEEvT_T0_DpT1_
		.amdhsa_group_segment_fixed_size 0
		.amdhsa_private_segment_fixed_size 0
		.amdhsa_kernarg_size 3328
		.amdhsa_user_sgpr_count 15
		.amdhsa_user_sgpr_dispatch_ptr 0
		.amdhsa_user_sgpr_queue_ptr 0
		.amdhsa_user_sgpr_kernarg_segment_ptr 1
		.amdhsa_user_sgpr_dispatch_id 0
		.amdhsa_user_sgpr_private_segment_size 0
		.amdhsa_wavefront_size32 1
		.amdhsa_uses_dynamic_stack 0
		.amdhsa_enable_private_segment 0
		.amdhsa_system_sgpr_workgroup_id_x 1
		.amdhsa_system_sgpr_workgroup_id_y 0
		.amdhsa_system_sgpr_workgroup_id_z 0
		.amdhsa_system_sgpr_workgroup_info 0
		.amdhsa_system_vgpr_workitem_id 0
		.amdhsa_next_free_vgpr 84
		.amdhsa_next_free_sgpr 36
		.amdhsa_reserve_vcc 1
		.amdhsa_float_round_mode_32 0
		.amdhsa_float_round_mode_16_64 0
		.amdhsa_float_denorm_mode_32 3
		.amdhsa_float_denorm_mode_16_64 3
		.amdhsa_dx10_clamp 1
		.amdhsa_ieee_mode 1
		.amdhsa_fp16_overflow 0
		.amdhsa_workgroup_processor_mode 1
		.amdhsa_memory_ordered 1
		.amdhsa_forward_progress 0
		.amdhsa_shared_vgpr_count 0
		.amdhsa_exception_fp_ieee_invalid_op 0
		.amdhsa_exception_fp_denorm_src 0
		.amdhsa_exception_fp_ieee_div_zero 0
		.amdhsa_exception_fp_ieee_overflow 0
		.amdhsa_exception_fp_ieee_underflow 0
		.amdhsa_exception_fp_ieee_inexact 0
		.amdhsa_exception_int_div_zero 0
	.end_amdhsa_kernel
	.section	.text._ZN2at6native12_GLOBAL__N_125multi_tensor_apply_kernelINS1_18TensorListMetadataILi4EEENS1_32PointwiseOpScalar0dTensorFunctorIN3c107complexIdEELi4ELi2ELi3EEEJSt7dividesIS8_ES8_EEEvT_T0_DpT1_,"axG",@progbits,_ZN2at6native12_GLOBAL__N_125multi_tensor_apply_kernelINS1_18TensorListMetadataILi4EEENS1_32PointwiseOpScalar0dTensorFunctorIN3c107complexIdEELi4ELi2ELi3EEEJSt7dividesIS8_ES8_EEEvT_T0_DpT1_,comdat
.Lfunc_end62:
	.size	_ZN2at6native12_GLOBAL__N_125multi_tensor_apply_kernelINS1_18TensorListMetadataILi4EEENS1_32PointwiseOpScalar0dTensorFunctorIN3c107complexIdEELi4ELi2ELi3EEEJSt7dividesIS8_ES8_EEEvT_T0_DpT1_, .Lfunc_end62-_ZN2at6native12_GLOBAL__N_125multi_tensor_apply_kernelINS1_18TensorListMetadataILi4EEENS1_32PointwiseOpScalar0dTensorFunctorIN3c107complexIdEELi4ELi2ELi3EEEJSt7dividesIS8_ES8_EEEvT_T0_DpT1_
                                        ; -- End function
	.section	.AMDGPU.csdata,"",@progbits
; Kernel info:
; codeLenInByte = 15776
; NumSgprs: 38
; NumVgprs: 84
; ScratchSize: 0
; MemoryBound: 1
; FloatMode: 240
; IeeeMode: 1
; LDSByteSize: 0 bytes/workgroup (compile time only)
; SGPRBlocks: 4
; VGPRBlocks: 10
; NumSGPRsForWavesPerEU: 38
; NumVGPRsForWavesPerEU: 84
; Occupancy: 16
; WaveLimiterHint : 0
; COMPUTE_PGM_RSRC2:SCRATCH_EN: 0
; COMPUTE_PGM_RSRC2:USER_SGPR: 15
; COMPUTE_PGM_RSRC2:TRAP_HANDLER: 0
; COMPUTE_PGM_RSRC2:TGID_X_EN: 1
; COMPUTE_PGM_RSRC2:TGID_Y_EN: 0
; COMPUTE_PGM_RSRC2:TGID_Z_EN: 0
; COMPUTE_PGM_RSRC2:TIDIG_COMP_CNT: 0
	.section	.text._ZN2at6native12_GLOBAL__N_125multi_tensor_apply_kernelINS1_18TensorListMetadataILi4EEENS1_32PointwiseOpScalar0dTensorFunctorIN3c107complexIfEELi4ELi2ELi3EEEJSt7dividesIS8_ES8_EEEvT_T0_DpT1_,"axG",@progbits,_ZN2at6native12_GLOBAL__N_125multi_tensor_apply_kernelINS1_18TensorListMetadataILi4EEENS1_32PointwiseOpScalar0dTensorFunctorIN3c107complexIfEELi4ELi2ELi3EEEJSt7dividesIS8_ES8_EEEvT_T0_DpT1_,comdat
	.globl	_ZN2at6native12_GLOBAL__N_125multi_tensor_apply_kernelINS1_18TensorListMetadataILi4EEENS1_32PointwiseOpScalar0dTensorFunctorIN3c107complexIfEELi4ELi2ELi3EEEJSt7dividesIS8_ES8_EEEvT_T0_DpT1_ ; -- Begin function _ZN2at6native12_GLOBAL__N_125multi_tensor_apply_kernelINS1_18TensorListMetadataILi4EEENS1_32PointwiseOpScalar0dTensorFunctorIN3c107complexIfEELi4ELi2ELi3EEEJSt7dividesIS8_ES8_EEEvT_T0_DpT1_
	.p2align	8
	.type	_ZN2at6native12_GLOBAL__N_125multi_tensor_apply_kernelINS1_18TensorListMetadataILi4EEENS1_32PointwiseOpScalar0dTensorFunctorIN3c107complexIfEELi4ELi2ELi3EEEJSt7dividesIS8_ES8_EEEvT_T0_DpT1_,@function
_ZN2at6native12_GLOBAL__N_125multi_tensor_apply_kernelINS1_18TensorListMetadataILi4EEENS1_32PointwiseOpScalar0dTensorFunctorIN3c107complexIfEELi4ELi2ELi3EEEJSt7dividesIS8_ES8_EEEvT_T0_DpT1_: ; @_ZN2at6native12_GLOBAL__N_125multi_tensor_apply_kernelINS1_18TensorListMetadataILi4EEENS1_32PointwiseOpScalar0dTensorFunctorIN3c107complexIfEELi4ELi2ELi3EEEJSt7dividesIS8_ES8_EEEvT_T0_DpT1_
; %bb.0:
	v_mov_b32_e32 v1, s15
	s_add_u32 s2, s0, s15
	s_mul_hi_u32 s3, s15, 3
	s_mul_i32 s15, s15, 3
	s_addc_u32 s4, s1, 0
	global_load_u8 v1, v1, s[0:1] offset:1440
	s_add_u32 s2, s2, s15
	s_addc_u32 s3, s4, s3
	s_mov_b32 s27, 0
	s_load_b32 s2, s[2:3], 0x6e0
	s_mov_b32 s29, s27
	s_waitcnt lgkmcnt(0)
	s_ashr_i32 s3, s2, 31
	s_delay_alu instid0(SALU_CYCLE_1) | instskip(SKIP_2) | instid1(VALU_DEP_1)
	s_lshl_b64 s[4:5], s[2:3], 19
	s_waitcnt vmcnt(0)
	v_lshlrev_b32_e32 v1, 3, v1
	v_readfirstlane_b32 s6, v1
	s_clause 0x4
	s_load_b64 s[14:15], s[0:1], s6 offset:0x0
	s_load_b64 s[10:11], s[0:1], s6 offset:0x120
	s_load_b64 s[16:17], s[0:1], s6 offset:0x240
	s_load_b64 s[18:19], s[0:1], s6 offset:0x360
	s_load_b64 s[24:25], s[0:1], s6 offset:0x480
	s_waitcnt lgkmcnt(0)
	s_add_u32 s12, s14, s4
	s_addc_u32 s13, s15, s5
	s_add_u32 s7, s10, s4
	s_load_b64 s[10:11], s[10:11], 0x0
	s_and_b32 s26, s7, 31
	s_add_u32 s20, s16, s4
	s_addc_u32 s21, s17, s5
	s_add_u32 s22, s18, s4
	s_addc_u32 s23, s19, s5
	s_or_b32 s6, s22, s20
	s_delay_alu instid0(SALU_CYCLE_1) | instskip(NEXT) | instid1(SALU_CYCLE_1)
	s_and_b32 s6, s6, 31
	s_cmp_lg_u32 s6, 0
	s_load_b64 s[6:7], s[0:1], 0xbf0
	s_cselect_b32 s8, -1, 0
	s_lshl_b64 s[2:3], s[2:3], 16
	s_and_b32 s28, s12, 31
	s_cmp_lg_u64 s[26:27], 0
	s_cselect_b32 s9, -1, 0
	s_delay_alu instid0(SALU_CYCLE_1) | instskip(SKIP_3) | instid1(SALU_CYCLE_1)
	s_or_b32 s30, s8, s9
	s_sub_u32 s8, s24, s2
	s_subb_u32 s9, s25, s3
	s_and_b32 s26, s24, 3
	s_or_b64 s[2:3], s[28:29], s[26:27]
	s_delay_alu instid0(SALU_CYCLE_1) | instskip(SKIP_1) | instid1(SALU_CYCLE_1)
	s_cmp_lg_u64 s[2:3], 0
	s_cselect_b32 s2, -1, 0
	s_or_b32 s2, s30, s2
	s_delay_alu instid0(SALU_CYCLE_1)
	s_and_not1_b32 vcc_lo, exec_lo, s2
	s_mov_b32 s2, -1
	s_cbranch_vccz .LBB63_85
; %bb.1:
	v_dual_mov_b32 v18, 0 :: v_dual_lshlrev_b32 v17, 2, v0
	s_mov_b32 s24, exec_lo
	s_delay_alu instid0(VALU_DEP_1)
	v_cmpx_gt_i64_e64 s[8:9], v[17:18]
	s_cbranch_execz .LBB63_84
; %bb.2:
	s_load_b32 s2, s[0:1], 0xc04
	s_waitcnt lgkmcnt(0)
	s_and_b32 s3, s7, 0x7fffffff
	v_lshlrev_b32_e32 v19, 5, v0
	s_cmp_lg_u32 s3, 0
	v_cmp_neq_f32_e64 s3, s6, 1.0
	s_cselect_b32 s26, -1, 0
	s_mov_b32 s25, 0
	s_delay_alu instid0(VALU_DEP_1) | instskip(SKIP_1) | instid1(SALU_CYCLE_1)
	s_or_b32 s26, s3, s26
	s_and_b32 s2, s2, 0xffff
	v_add_lshl_u32 v17, v0, s2, 2
	s_lshl_b32 s27, s2, 2
	s_lshl_b32 s28, s2, 5
	s_branch .LBB63_5
.LBB63_3:                               ;   in Loop: Header=BB63_5 Depth=1
	s_or_b32 exec_lo, exec_lo, s2
.LBB63_4:                               ;   in Loop: Header=BB63_5 Depth=1
	v_cmp_le_i64_e32 vcc_lo, s[8:9], v[17:18]
	v_cmp_lt_u64_e64 s2, 0xffff, v[17:18]
	v_add_co_u32 v9, s3, s22, v19
	s_delay_alu instid0(VALU_DEP_1) | instskip(SKIP_2) | instid1(VALU_DEP_4)
	v_add_co_ci_u32_e64 v10, null, s23, 0, s3
	s_waitcnt vmcnt(0)
	v_dual_add_f32 v7, v7, v23 :: v_dual_add_f32 v8, v8, v22
	s_or_b32 s2, vcc_lo, s2
	s_add_u32 s12, s12, s28
	s_addc_u32 s13, s13, 0
	s_add_u32 s22, s22, s28
	v_add_co_u32 v17, vcc_lo, v17, s27
	s_addc_u32 s23, s23, 0
	s_add_u32 s20, s20, s28
	v_dual_add_f32 v5, v5, v21 :: v_dual_add_f32 v6, v6, v20
	v_add_co_ci_u32_e32 v18, vcc_lo, 0, v18, vcc_lo
	s_addc_u32 s21, s21, 0
	v_dual_add_f32 v1, v1, v14 :: v_dual_add_f32 v2, v2, v13
	v_dual_add_f32 v3, v3, v16 :: v_dual_add_f32 v4, v4, v15
	s_and_b32 s2, exec_lo, s2
	s_clause 0x1
	global_store_b128 v[9:10], v[5:8], off
	global_store_b128 v[9:10], v[1:4], off offset:16
	s_or_b32 s25, s2, s25
	s_delay_alu instid0(SALU_CYCLE_1)
	s_and_not1_b32 exec_lo, exec_lo, s25
	s_cbranch_execz .LBB63_84
.LBB63_5:                               ; =>This Inner Loop Header: Depth=1
	v_add_co_u32 v1, s2, s20, v19
	s_delay_alu instid0(VALU_DEP_1) | instskip(SKIP_1) | instid1(VALU_DEP_1)
	v_add_co_ci_u32_e64 v2, null, s21, 0, s2
	v_add_co_u32 v5, s2, s12, v19
	v_add_co_ci_u32_e64 v6, null, s13, 0, s2
	s_clause 0x1
	global_load_b128 v[13:16], v[1:2], off
	global_load_b128 v[9:12], v[1:2], off offset:16
	s_clause 0x1
	global_load_b128 v[1:4], v[5:6], off offset:16
	global_load_b128 v[5:8], v[5:6], off
	s_waitcnt vmcnt(3)
	v_cmp_gt_f32_e32 vcc_lo, 0, v13
	v_cndmask_b32_e64 v22, v13, -v13, vcc_lo
	v_cmp_gt_f32_e32 vcc_lo, 0, v14
	v_cndmask_b32_e64 v23, v14, -v14, vcc_lo
	s_and_b32 vcc_lo, exec_lo, s26
	s_delay_alu instid0(VALU_DEP_1)
	v_cmp_ge_f32_e64 s2, v22, v23
	s_cbranch_vccz .LBB63_15
; %bb.6:                                ;   in Loop: Header=BB63_5 Depth=1
                                        ; implicit-def: $vgpr20
                                        ; implicit-def: $vgpr24
	s_delay_alu instid0(VALU_DEP_1) | instskip(NEXT) | instid1(SALU_CYCLE_1)
	s_and_saveexec_b32 s3, s2
	s_xor_b32 s29, exec_lo, s3
	s_cbranch_execz .LBB63_12
; %bb.7:                                ;   in Loop: Header=BB63_5 Depth=1
	v_cmp_neq_f32_e32 vcc_lo, 0, v13
	v_cmp_neq_f32_e64 s3, 0, v14
                                        ; implicit-def: $vgpr20
                                        ; implicit-def: $vgpr24
	s_delay_alu instid0(VALU_DEP_1) | instskip(NEXT) | instid1(SALU_CYCLE_1)
	s_or_b32 s3, vcc_lo, s3
	s_and_saveexec_b32 s30, s3
	s_delay_alu instid0(SALU_CYCLE_1)
	s_xor_b32 s3, exec_lo, s30
	s_cbranch_execz .LBB63_9
; %bb.8:                                ;   in Loop: Header=BB63_5 Depth=1
	v_div_scale_f32 v20, null, v13, v13, v14
	v_div_scale_f32 v25, vcc_lo, v14, v13, v14
	s_delay_alu instid0(VALU_DEP_2) | instskip(SKIP_2) | instid1(VALU_DEP_1)
	v_rcp_f32_e32 v21, v20
	s_waitcnt_depctr 0xfff
	v_fma_f32 v24, -v20, v21, 1.0
	v_fmac_f32_e32 v21, v24, v21
	s_delay_alu instid0(VALU_DEP_1) | instskip(NEXT) | instid1(VALU_DEP_1)
	v_mul_f32_e32 v24, v25, v21
	v_fma_f32 v26, -v20, v24, v25
	s_delay_alu instid0(VALU_DEP_1) | instskip(NEXT) | instid1(VALU_DEP_1)
	v_fmac_f32_e32 v24, v26, v21
	v_fma_f32 v20, -v20, v24, v25
	s_delay_alu instid0(VALU_DEP_1) | instskip(NEXT) | instid1(VALU_DEP_1)
	v_div_fmas_f32 v20, v20, v21, v24
	v_div_fixup_f32 v20, v20, v13, v14
	s_delay_alu instid0(VALU_DEP_1) | instskip(NEXT) | instid1(VALU_DEP_1)
	v_fma_f32 v21, v14, v20, v13
	v_div_scale_f32 v24, null, v21, v21, 1.0
	v_div_scale_f32 v27, vcc_lo, 1.0, v21, 1.0
	s_delay_alu instid0(VALU_DEP_2) | instskip(SKIP_2) | instid1(VALU_DEP_1)
	v_rcp_f32_e32 v25, v24
	s_waitcnt_depctr 0xfff
	v_fma_f32 v26, -v24, v25, 1.0
	v_fmac_f32_e32 v25, v26, v25
	s_delay_alu instid0(VALU_DEP_1) | instskip(NEXT) | instid1(VALU_DEP_1)
	v_mul_f32_e32 v26, v27, v25
	v_fma_f32 v28, -v24, v26, v27
	s_delay_alu instid0(VALU_DEP_1) | instskip(NEXT) | instid1(VALU_DEP_1)
	v_fmac_f32_e32 v26, v28, v25
	v_fma_f32 v24, -v24, v26, v27
	s_delay_alu instid0(VALU_DEP_1) | instskip(SKIP_2) | instid1(VALU_DEP_3)
	v_div_fmas_f32 v24, v24, v25, v26
	v_fma_f32 v25, v20, s11, s10
	v_fma_f32 v20, -v20, s10, s11
	v_div_fixup_f32 v21, v24, v21, 1.0
	s_delay_alu instid0(VALU_DEP_1) | instskip(NEXT) | instid1(VALU_DEP_3)
	v_mul_f32_e32 v24, v25, v21
	v_mul_f32_e32 v20, v20, v21
.LBB63_9:                               ;   in Loop: Header=BB63_5 Depth=1
	s_and_not1_saveexec_b32 s30, s3
	s_cbranch_execz .LBB63_11
; %bb.10:                               ;   in Loop: Header=BB63_5 Depth=1
	v_div_scale_f32 v20, null, v22, v22, s10
	v_div_scale_f32 v21, null, v23, v23, s11
	v_div_scale_f32 v28, vcc_lo, s10, v22, s10
	s_delay_alu instid0(VALU_DEP_3) | instskip(NEXT) | instid1(VALU_DEP_2)
	v_rcp_f32_e32 v24, v20
	v_rcp_f32_e32 v25, v21
	s_waitcnt_depctr 0xfff
	v_fma_f32 v26, -v20, v24, 1.0
	v_fma_f32 v27, -v21, v25, 1.0
	s_delay_alu instid0(VALU_DEP_1) | instskip(SKIP_1) | instid1(VALU_DEP_2)
	v_dual_fmac_f32 v24, v26, v24 :: v_dual_fmac_f32 v25, v27, v25
	v_div_scale_f32 v26, s3, s11, v23, s11
	v_mul_f32_e32 v27, v28, v24
	s_delay_alu instid0(VALU_DEP_2) | instskip(NEXT) | instid1(VALU_DEP_2)
	v_mul_f32_e32 v29, v26, v25
	v_fma_f32 v30, -v20, v27, v28
	s_delay_alu instid0(VALU_DEP_2) | instskip(NEXT) | instid1(VALU_DEP_2)
	v_fma_f32 v31, -v21, v29, v26
	v_fmac_f32_e32 v27, v30, v24
	s_delay_alu instid0(VALU_DEP_2) | instskip(NEXT) | instid1(VALU_DEP_2)
	v_fmac_f32_e32 v29, v31, v25
	v_fma_f32 v20, -v20, v27, v28
	s_delay_alu instid0(VALU_DEP_2) | instskip(NEXT) | instid1(VALU_DEP_2)
	v_fma_f32 v21, -v21, v29, v26
	v_div_fmas_f32 v20, v20, v24, v27
	s_mov_b32 vcc_lo, s3
	s_delay_alu instid0(VALU_DEP_2) | instskip(NEXT) | instid1(VALU_DEP_2)
	v_div_fmas_f32 v21, v21, v25, v29
	v_div_fixup_f32 v24, v20, v22, s10
	s_delay_alu instid0(VALU_DEP_2)
	v_div_fixup_f32 v20, v21, v23, s11
.LBB63_11:                              ;   in Loop: Header=BB63_5 Depth=1
	s_or_b32 exec_lo, exec_lo, s30
.LBB63_12:                              ;   in Loop: Header=BB63_5 Depth=1
	s_and_not1_saveexec_b32 s3, s29
	s_cbranch_execz .LBB63_14
; %bb.13:                               ;   in Loop: Header=BB63_5 Depth=1
	v_div_scale_f32 v20, null, v14, v14, v13
	v_div_scale_f32 v25, vcc_lo, v13, v14, v13
	s_delay_alu instid0(VALU_DEP_2) | instskip(SKIP_2) | instid1(VALU_DEP_1)
	v_rcp_f32_e32 v21, v20
	s_waitcnt_depctr 0xfff
	v_fma_f32 v24, -v20, v21, 1.0
	v_fmac_f32_e32 v21, v24, v21
	s_delay_alu instid0(VALU_DEP_1) | instskip(NEXT) | instid1(VALU_DEP_1)
	v_mul_f32_e32 v24, v25, v21
	v_fma_f32 v26, -v20, v24, v25
	s_delay_alu instid0(VALU_DEP_1) | instskip(NEXT) | instid1(VALU_DEP_1)
	v_fmac_f32_e32 v24, v26, v21
	v_fma_f32 v20, -v20, v24, v25
	s_delay_alu instid0(VALU_DEP_1) | instskip(NEXT) | instid1(VALU_DEP_1)
	v_div_fmas_f32 v20, v20, v21, v24
	v_div_fixup_f32 v20, v20, v14, v13
	s_delay_alu instid0(VALU_DEP_1) | instskip(NEXT) | instid1(VALU_DEP_1)
	v_fma_f32 v21, v13, v20, v14
	v_div_scale_f32 v24, null, v21, v21, 1.0
	v_div_scale_f32 v27, vcc_lo, 1.0, v21, 1.0
	s_delay_alu instid0(VALU_DEP_2) | instskip(SKIP_2) | instid1(VALU_DEP_1)
	v_rcp_f32_e32 v25, v24
	s_waitcnt_depctr 0xfff
	v_fma_f32 v26, -v24, v25, 1.0
	v_fmac_f32_e32 v25, v26, v25
	s_delay_alu instid0(VALU_DEP_1) | instskip(NEXT) | instid1(VALU_DEP_1)
	v_mul_f32_e32 v26, v27, v25
	v_fma_f32 v28, -v24, v26, v27
	s_delay_alu instid0(VALU_DEP_1) | instskip(NEXT) | instid1(VALU_DEP_1)
	v_fmac_f32_e32 v26, v28, v25
	v_fma_f32 v24, -v24, v26, v27
	s_delay_alu instid0(VALU_DEP_1) | instskip(SKIP_2) | instid1(VALU_DEP_3)
	v_div_fmas_f32 v24, v24, v25, v26
	v_fma_f32 v25, v20, s10, s11
	v_fma_f32 v20, v20, s11, -s10
	v_div_fixup_f32 v21, v24, v21, 1.0
	s_delay_alu instid0(VALU_DEP_1) | instskip(NEXT) | instid1(VALU_DEP_3)
	v_mul_f32_e32 v24, v25, v21
	v_mul_f32_e32 v20, v20, v21
.LBB63_14:                              ;   in Loop: Header=BB63_5 Depth=1
	s_or_b32 exec_lo, exec_lo, s3
	s_delay_alu instid0(VALU_DEP_1) | instskip(SKIP_1) | instid1(VALU_DEP_2)
	v_mul_f32_e32 v21, s7, v20
	v_mul_f32_e32 v20, s6, v20
	v_fma_f32 v21, v24, s6, -v21
	s_delay_alu instid0(VALU_DEP_2)
	v_fmac_f32_e32 v20, s7, v24
	s_branch .LBB63_25
.LBB63_15:                              ;   in Loop: Header=BB63_5 Depth=1
                                        ; implicit-def: $vgpr20
                                        ; implicit-def: $vgpr21
	s_cbranch_execz .LBB63_25
; %bb.16:                               ;   in Loop: Header=BB63_5 Depth=1
                                        ; implicit-def: $vgpr20
                                        ; implicit-def: $vgpr21
	s_delay_alu instid0(VALU_DEP_1) | instskip(NEXT) | instid1(SALU_CYCLE_1)
	s_and_saveexec_b32 s3, s2
	s_xor_b32 s3, exec_lo, s3
	s_cbranch_execz .LBB63_22
; %bb.17:                               ;   in Loop: Header=BB63_5 Depth=1
	v_cmp_neq_f32_e32 vcc_lo, 0, v13
	v_cmp_neq_f32_e64 s2, 0, v14
                                        ; implicit-def: $vgpr20
                                        ; implicit-def: $vgpr21
	s_delay_alu instid0(VALU_DEP_1) | instskip(NEXT) | instid1(SALU_CYCLE_1)
	s_or_b32 s2, vcc_lo, s2
	s_and_saveexec_b32 s29, s2
	s_delay_alu instid0(SALU_CYCLE_1)
	s_xor_b32 s2, exec_lo, s29
	s_cbranch_execz .LBB63_19
; %bb.18:                               ;   in Loop: Header=BB63_5 Depth=1
	v_div_scale_f32 v20, null, v13, v13, v14
	v_div_scale_f32 v23, vcc_lo, v14, v13, v14
	s_delay_alu instid0(VALU_DEP_2) | instskip(SKIP_2) | instid1(VALU_DEP_1)
	v_rcp_f32_e32 v21, v20
	s_waitcnt_depctr 0xfff
	v_fma_f32 v22, -v20, v21, 1.0
	v_fmac_f32_e32 v21, v22, v21
	s_delay_alu instid0(VALU_DEP_1) | instskip(NEXT) | instid1(VALU_DEP_1)
	v_mul_f32_e32 v22, v23, v21
	v_fma_f32 v24, -v20, v22, v23
	s_delay_alu instid0(VALU_DEP_1) | instskip(NEXT) | instid1(VALU_DEP_1)
	v_fmac_f32_e32 v22, v24, v21
	v_fma_f32 v20, -v20, v22, v23
	s_delay_alu instid0(VALU_DEP_1) | instskip(NEXT) | instid1(VALU_DEP_1)
	v_div_fmas_f32 v20, v20, v21, v22
	v_div_fixup_f32 v20, v20, v13, v14
	s_delay_alu instid0(VALU_DEP_1) | instskip(NEXT) | instid1(VALU_DEP_1)
	v_fma_f32 v21, v14, v20, v13
	v_div_scale_f32 v22, null, v21, v21, 1.0
	v_div_scale_f32 v25, vcc_lo, 1.0, v21, 1.0
	s_delay_alu instid0(VALU_DEP_2) | instskip(SKIP_2) | instid1(VALU_DEP_1)
	v_rcp_f32_e32 v23, v22
	s_waitcnt_depctr 0xfff
	v_fma_f32 v24, -v22, v23, 1.0
	v_fmac_f32_e32 v23, v24, v23
	s_delay_alu instid0(VALU_DEP_1) | instskip(NEXT) | instid1(VALU_DEP_1)
	v_mul_f32_e32 v24, v25, v23
	v_fma_f32 v26, -v22, v24, v25
	s_delay_alu instid0(VALU_DEP_1) | instskip(NEXT) | instid1(VALU_DEP_1)
	v_fmac_f32_e32 v24, v26, v23
	v_fma_f32 v22, -v22, v24, v25
	s_delay_alu instid0(VALU_DEP_1) | instskip(SKIP_2) | instid1(VALU_DEP_3)
	v_div_fmas_f32 v22, v22, v23, v24
	v_fma_f32 v23, v20, s11, s10
	v_fma_f32 v20, -v20, s10, s11
	v_div_fixup_f32 v22, v22, v21, 1.0
	s_delay_alu instid0(VALU_DEP_1) | instskip(NEXT) | instid1(VALU_DEP_3)
	v_mul_f32_e32 v21, v23, v22
	v_mul_f32_e32 v20, v20, v22
                                        ; implicit-def: $vgpr22
                                        ; implicit-def: $vgpr23
.LBB63_19:                              ;   in Loop: Header=BB63_5 Depth=1
	s_and_not1_saveexec_b32 s29, s2
	s_cbranch_execz .LBB63_21
; %bb.20:                               ;   in Loop: Header=BB63_5 Depth=1
	v_div_scale_f32 v20, null, v22, v22, s10
	v_div_scale_f32 v21, null, v23, v23, s11
	v_div_scale_f32 v28, vcc_lo, s10, v22, s10
	s_delay_alu instid0(VALU_DEP_3) | instskip(NEXT) | instid1(VALU_DEP_2)
	v_rcp_f32_e32 v24, v20
	v_rcp_f32_e32 v25, v21
	s_waitcnt_depctr 0xfff
	v_fma_f32 v26, -v20, v24, 1.0
	v_fma_f32 v27, -v21, v25, 1.0
	s_delay_alu instid0(VALU_DEP_1) | instskip(SKIP_1) | instid1(VALU_DEP_2)
	v_dual_fmac_f32 v24, v26, v24 :: v_dual_fmac_f32 v25, v27, v25
	v_div_scale_f32 v26, s2, s11, v23, s11
	v_mul_f32_e32 v27, v28, v24
	s_delay_alu instid0(VALU_DEP_2) | instskip(NEXT) | instid1(VALU_DEP_2)
	v_mul_f32_e32 v29, v26, v25
	v_fma_f32 v30, -v20, v27, v28
	s_delay_alu instid0(VALU_DEP_2) | instskip(NEXT) | instid1(VALU_DEP_2)
	v_fma_f32 v31, -v21, v29, v26
	v_fmac_f32_e32 v27, v30, v24
	s_delay_alu instid0(VALU_DEP_2) | instskip(NEXT) | instid1(VALU_DEP_2)
	v_fmac_f32_e32 v29, v31, v25
	v_fma_f32 v20, -v20, v27, v28
	s_delay_alu instid0(VALU_DEP_2) | instskip(NEXT) | instid1(VALU_DEP_2)
	v_fma_f32 v21, -v21, v29, v26
	v_div_fmas_f32 v20, v20, v24, v27
	s_mov_b32 vcc_lo, s2
	s_delay_alu instid0(VALU_DEP_2) | instskip(NEXT) | instid1(VALU_DEP_2)
	v_div_fmas_f32 v24, v21, v25, v29
	v_div_fixup_f32 v21, v20, v22, s10
	s_delay_alu instid0(VALU_DEP_2)
	v_div_fixup_f32 v20, v24, v23, s11
.LBB63_21:                              ;   in Loop: Header=BB63_5 Depth=1
	s_or_b32 exec_lo, exec_lo, s29
.LBB63_22:                              ;   in Loop: Header=BB63_5 Depth=1
	s_and_not1_saveexec_b32 s2, s3
	s_cbranch_execz .LBB63_24
; %bb.23:                               ;   in Loop: Header=BB63_5 Depth=1
	v_div_scale_f32 v20, null, v14, v14, v13
	v_div_scale_f32 v23, vcc_lo, v13, v14, v13
	s_delay_alu instid0(VALU_DEP_2) | instskip(SKIP_2) | instid1(VALU_DEP_1)
	v_rcp_f32_e32 v21, v20
	s_waitcnt_depctr 0xfff
	v_fma_f32 v22, -v20, v21, 1.0
	v_fmac_f32_e32 v21, v22, v21
	s_delay_alu instid0(VALU_DEP_1) | instskip(NEXT) | instid1(VALU_DEP_1)
	v_mul_f32_e32 v22, v23, v21
	v_fma_f32 v24, -v20, v22, v23
	s_delay_alu instid0(VALU_DEP_1) | instskip(NEXT) | instid1(VALU_DEP_1)
	v_fmac_f32_e32 v22, v24, v21
	v_fma_f32 v20, -v20, v22, v23
	s_delay_alu instid0(VALU_DEP_1) | instskip(NEXT) | instid1(VALU_DEP_1)
	v_div_fmas_f32 v20, v20, v21, v22
	v_div_fixup_f32 v20, v20, v14, v13
	s_delay_alu instid0(VALU_DEP_1) | instskip(NEXT) | instid1(VALU_DEP_1)
	v_fma_f32 v13, v13, v20, v14
	v_div_scale_f32 v14, null, v13, v13, 1.0
	v_div_scale_f32 v23, vcc_lo, 1.0, v13, 1.0
	s_delay_alu instid0(VALU_DEP_2) | instskip(SKIP_2) | instid1(VALU_DEP_1)
	v_rcp_f32_e32 v21, v14
	s_waitcnt_depctr 0xfff
	v_fma_f32 v22, -v14, v21, 1.0
	v_fmac_f32_e32 v21, v22, v21
	s_delay_alu instid0(VALU_DEP_1) | instskip(NEXT) | instid1(VALU_DEP_1)
	v_mul_f32_e32 v22, v23, v21
	v_fma_f32 v24, -v14, v22, v23
	s_delay_alu instid0(VALU_DEP_1) | instskip(NEXT) | instid1(VALU_DEP_1)
	v_fmac_f32_e32 v22, v24, v21
	v_fma_f32 v14, -v14, v22, v23
	s_delay_alu instid0(VALU_DEP_1) | instskip(SKIP_1) | instid1(VALU_DEP_2)
	v_div_fmas_f32 v14, v14, v21, v22
	v_fma_f32 v21, v20, s10, s11
	v_div_fixup_f32 v13, v14, v13, 1.0
	v_fma_f32 v14, v20, s11, -s10
	s_delay_alu instid0(VALU_DEP_2) | instskip(NEXT) | instid1(VALU_DEP_2)
	v_mul_f32_e32 v21, v21, v13
	v_mul_f32_e32 v20, v14, v13
.LBB63_24:                              ;   in Loop: Header=BB63_5 Depth=1
	s_or_b32 exec_lo, exec_lo, s2
.LBB63_25:                              ;   in Loop: Header=BB63_5 Depth=1
	v_cmp_gt_f32_e32 vcc_lo, 0, v15
	v_cndmask_b32_e64 v13, v15, -v15, vcc_lo
	v_cmp_gt_f32_e32 vcc_lo, 0, v16
	v_cndmask_b32_e64 v14, v16, -v16, vcc_lo
	s_and_not1_b32 vcc_lo, exec_lo, s26
	s_delay_alu instid0(VALU_DEP_1)
	v_cmp_ge_f32_e64 s2, v13, v14
	s_cbranch_vccnz .LBB63_35
; %bb.26:                               ;   in Loop: Header=BB63_5 Depth=1
                                        ; implicit-def: $vgpr22
                                        ; implicit-def: $vgpr24
	s_delay_alu instid0(VALU_DEP_1) | instskip(NEXT) | instid1(SALU_CYCLE_1)
	s_and_saveexec_b32 s3, s2
	s_xor_b32 s29, exec_lo, s3
	s_cbranch_execz .LBB63_32
; %bb.27:                               ;   in Loop: Header=BB63_5 Depth=1
	v_cmp_neq_f32_e32 vcc_lo, 0, v15
	v_cmp_neq_f32_e64 s3, 0, v16
                                        ; implicit-def: $vgpr22
                                        ; implicit-def: $vgpr24
	s_delay_alu instid0(VALU_DEP_1) | instskip(NEXT) | instid1(SALU_CYCLE_1)
	s_or_b32 s3, vcc_lo, s3
	s_and_saveexec_b32 s30, s3
	s_delay_alu instid0(SALU_CYCLE_1)
	s_xor_b32 s3, exec_lo, s30
	s_cbranch_execz .LBB63_29
; %bb.28:                               ;   in Loop: Header=BB63_5 Depth=1
	v_div_scale_f32 v22, null, v15, v15, v16
	v_div_scale_f32 v25, vcc_lo, v16, v15, v16
	s_delay_alu instid0(VALU_DEP_2) | instskip(SKIP_2) | instid1(VALU_DEP_1)
	v_rcp_f32_e32 v23, v22
	s_waitcnt_depctr 0xfff
	v_fma_f32 v24, -v22, v23, 1.0
	v_fmac_f32_e32 v23, v24, v23
	s_delay_alu instid0(VALU_DEP_1) | instskip(NEXT) | instid1(VALU_DEP_1)
	v_mul_f32_e32 v24, v25, v23
	v_fma_f32 v26, -v22, v24, v25
	s_delay_alu instid0(VALU_DEP_1) | instskip(NEXT) | instid1(VALU_DEP_1)
	v_fmac_f32_e32 v24, v26, v23
	v_fma_f32 v22, -v22, v24, v25
	s_delay_alu instid0(VALU_DEP_1) | instskip(NEXT) | instid1(VALU_DEP_1)
	v_div_fmas_f32 v22, v22, v23, v24
	v_div_fixup_f32 v22, v22, v15, v16
	s_delay_alu instid0(VALU_DEP_1) | instskip(NEXT) | instid1(VALU_DEP_1)
	v_fma_f32 v23, v16, v22, v15
	v_div_scale_f32 v24, null, v23, v23, 1.0
	v_div_scale_f32 v27, vcc_lo, 1.0, v23, 1.0
	s_delay_alu instid0(VALU_DEP_2) | instskip(SKIP_2) | instid1(VALU_DEP_1)
	v_rcp_f32_e32 v25, v24
	s_waitcnt_depctr 0xfff
	v_fma_f32 v26, -v24, v25, 1.0
	v_fmac_f32_e32 v25, v26, v25
	s_delay_alu instid0(VALU_DEP_1) | instskip(NEXT) | instid1(VALU_DEP_1)
	v_mul_f32_e32 v26, v27, v25
	v_fma_f32 v28, -v24, v26, v27
	s_delay_alu instid0(VALU_DEP_1) | instskip(NEXT) | instid1(VALU_DEP_1)
	v_fmac_f32_e32 v26, v28, v25
	v_fma_f32 v24, -v24, v26, v27
	s_delay_alu instid0(VALU_DEP_1) | instskip(SKIP_2) | instid1(VALU_DEP_3)
	v_div_fmas_f32 v24, v24, v25, v26
	v_fma_f32 v25, v22, s11, s10
	v_fma_f32 v22, -v22, s10, s11
	v_div_fixup_f32 v23, v24, v23, 1.0
	s_delay_alu instid0(VALU_DEP_1) | instskip(NEXT) | instid1(VALU_DEP_3)
	v_mul_f32_e32 v24, v25, v23
	v_mul_f32_e32 v22, v22, v23
.LBB63_29:                              ;   in Loop: Header=BB63_5 Depth=1
	s_and_not1_saveexec_b32 s30, s3
	s_cbranch_execz .LBB63_31
; %bb.30:                               ;   in Loop: Header=BB63_5 Depth=1
	v_div_scale_f32 v22, null, v13, v13, s10
	v_div_scale_f32 v23, null, v14, v14, s11
	v_div_scale_f32 v28, vcc_lo, s10, v13, s10
	s_delay_alu instid0(VALU_DEP_3) | instskip(NEXT) | instid1(VALU_DEP_2)
	v_rcp_f32_e32 v24, v22
	v_rcp_f32_e32 v25, v23
	s_waitcnt_depctr 0xfff
	v_fma_f32 v26, -v22, v24, 1.0
	v_fma_f32 v27, -v23, v25, 1.0
	s_delay_alu instid0(VALU_DEP_1) | instskip(SKIP_1) | instid1(VALU_DEP_2)
	v_dual_fmac_f32 v24, v26, v24 :: v_dual_fmac_f32 v25, v27, v25
	v_div_scale_f32 v26, s3, s11, v14, s11
	v_mul_f32_e32 v27, v28, v24
	s_delay_alu instid0(VALU_DEP_2) | instskip(NEXT) | instid1(VALU_DEP_2)
	v_mul_f32_e32 v29, v26, v25
	v_fma_f32 v30, -v22, v27, v28
	s_delay_alu instid0(VALU_DEP_2) | instskip(NEXT) | instid1(VALU_DEP_2)
	v_fma_f32 v31, -v23, v29, v26
	v_fmac_f32_e32 v27, v30, v24
	s_delay_alu instid0(VALU_DEP_2) | instskip(NEXT) | instid1(VALU_DEP_2)
	v_fmac_f32_e32 v29, v31, v25
	v_fma_f32 v22, -v22, v27, v28
	s_delay_alu instid0(VALU_DEP_2) | instskip(NEXT) | instid1(VALU_DEP_2)
	v_fma_f32 v23, -v23, v29, v26
	v_div_fmas_f32 v22, v22, v24, v27
	s_mov_b32 vcc_lo, s3
	s_delay_alu instid0(VALU_DEP_2) | instskip(NEXT) | instid1(VALU_DEP_2)
	v_div_fmas_f32 v23, v23, v25, v29
	v_div_fixup_f32 v24, v22, v13, s10
	s_delay_alu instid0(VALU_DEP_2)
	v_div_fixup_f32 v22, v23, v14, s11
.LBB63_31:                              ;   in Loop: Header=BB63_5 Depth=1
	s_or_b32 exec_lo, exec_lo, s30
.LBB63_32:                              ;   in Loop: Header=BB63_5 Depth=1
	s_and_not1_saveexec_b32 s3, s29
	s_cbranch_execz .LBB63_34
; %bb.33:                               ;   in Loop: Header=BB63_5 Depth=1
	v_div_scale_f32 v22, null, v16, v16, v15
	v_div_scale_f32 v25, vcc_lo, v15, v16, v15
	s_delay_alu instid0(VALU_DEP_2) | instskip(SKIP_2) | instid1(VALU_DEP_1)
	v_rcp_f32_e32 v23, v22
	s_waitcnt_depctr 0xfff
	v_fma_f32 v24, -v22, v23, 1.0
	v_fmac_f32_e32 v23, v24, v23
	s_delay_alu instid0(VALU_DEP_1) | instskip(NEXT) | instid1(VALU_DEP_1)
	v_mul_f32_e32 v24, v25, v23
	v_fma_f32 v26, -v22, v24, v25
	s_delay_alu instid0(VALU_DEP_1) | instskip(NEXT) | instid1(VALU_DEP_1)
	v_fmac_f32_e32 v24, v26, v23
	v_fma_f32 v22, -v22, v24, v25
	s_delay_alu instid0(VALU_DEP_1) | instskip(NEXT) | instid1(VALU_DEP_1)
	v_div_fmas_f32 v22, v22, v23, v24
	v_div_fixup_f32 v22, v22, v16, v15
	s_delay_alu instid0(VALU_DEP_1) | instskip(NEXT) | instid1(VALU_DEP_1)
	v_fma_f32 v23, v15, v22, v16
	v_div_scale_f32 v24, null, v23, v23, 1.0
	v_div_scale_f32 v27, vcc_lo, 1.0, v23, 1.0
	s_delay_alu instid0(VALU_DEP_2) | instskip(SKIP_2) | instid1(VALU_DEP_1)
	v_rcp_f32_e32 v25, v24
	s_waitcnt_depctr 0xfff
	v_fma_f32 v26, -v24, v25, 1.0
	v_fmac_f32_e32 v25, v26, v25
	s_delay_alu instid0(VALU_DEP_1) | instskip(NEXT) | instid1(VALU_DEP_1)
	v_mul_f32_e32 v26, v27, v25
	v_fma_f32 v28, -v24, v26, v27
	s_delay_alu instid0(VALU_DEP_1) | instskip(NEXT) | instid1(VALU_DEP_1)
	v_fmac_f32_e32 v26, v28, v25
	v_fma_f32 v24, -v24, v26, v27
	s_delay_alu instid0(VALU_DEP_1) | instskip(SKIP_2) | instid1(VALU_DEP_3)
	v_div_fmas_f32 v24, v24, v25, v26
	v_fma_f32 v25, v22, s10, s11
	v_fma_f32 v22, v22, s11, -s10
	v_div_fixup_f32 v23, v24, v23, 1.0
	s_delay_alu instid0(VALU_DEP_1) | instskip(NEXT) | instid1(VALU_DEP_3)
	v_mul_f32_e32 v24, v25, v23
	v_mul_f32_e32 v22, v22, v23
.LBB63_34:                              ;   in Loop: Header=BB63_5 Depth=1
	s_or_b32 exec_lo, exec_lo, s3
	s_delay_alu instid0(VALU_DEP_1) | instskip(SKIP_1) | instid1(VALU_DEP_1)
	v_mul_f32_e32 v23, s7, v22
	v_mul_f32_e32 v22, s6, v22
	v_fmac_f32_e32 v22, s7, v24
	s_delay_alu instid0(VALU_DEP_3)
	v_fma_f32 v23, v24, s6, -v23
	s_branch .LBB63_45
.LBB63_35:                              ;   in Loop: Header=BB63_5 Depth=1
                                        ; implicit-def: $vgpr22
                                        ; implicit-def: $vgpr23
	s_cbranch_execz .LBB63_45
; %bb.36:                               ;   in Loop: Header=BB63_5 Depth=1
                                        ; implicit-def: $vgpr22
                                        ; implicit-def: $vgpr23
	s_delay_alu instid0(VALU_DEP_1) | instskip(NEXT) | instid1(SALU_CYCLE_1)
	s_and_saveexec_b32 s3, s2
	s_xor_b32 s3, exec_lo, s3
	s_cbranch_execz .LBB63_42
; %bb.37:                               ;   in Loop: Header=BB63_5 Depth=1
	v_cmp_neq_f32_e32 vcc_lo, 0, v15
	v_cmp_neq_f32_e64 s2, 0, v16
                                        ; implicit-def: $vgpr22
                                        ; implicit-def: $vgpr23
	s_delay_alu instid0(VALU_DEP_1) | instskip(NEXT) | instid1(SALU_CYCLE_1)
	s_or_b32 s2, vcc_lo, s2
	s_and_saveexec_b32 s29, s2
	s_delay_alu instid0(SALU_CYCLE_1)
	s_xor_b32 s2, exec_lo, s29
	s_cbranch_execz .LBB63_39
; %bb.38:                               ;   in Loop: Header=BB63_5 Depth=1
	v_div_scale_f32 v13, null, v15, v15, v16
	v_div_scale_f32 v23, vcc_lo, v16, v15, v16
	s_delay_alu instid0(VALU_DEP_2) | instskip(SKIP_2) | instid1(VALU_DEP_1)
	v_rcp_f32_e32 v14, v13
	s_waitcnt_depctr 0xfff
	v_fma_f32 v22, -v13, v14, 1.0
	v_fmac_f32_e32 v14, v22, v14
	s_delay_alu instid0(VALU_DEP_1) | instskip(NEXT) | instid1(VALU_DEP_1)
	v_mul_f32_e32 v22, v23, v14
	v_fma_f32 v24, -v13, v22, v23
	s_delay_alu instid0(VALU_DEP_1) | instskip(NEXT) | instid1(VALU_DEP_1)
	v_fmac_f32_e32 v22, v24, v14
	v_fma_f32 v13, -v13, v22, v23
	s_delay_alu instid0(VALU_DEP_1) | instskip(NEXT) | instid1(VALU_DEP_1)
	v_div_fmas_f32 v13, v13, v14, v22
	v_div_fixup_f32 v13, v13, v15, v16
	s_delay_alu instid0(VALU_DEP_1) | instskip(NEXT) | instid1(VALU_DEP_1)
	v_fmac_f32_e32 v15, v16, v13
	v_div_scale_f32 v14, null, v15, v15, 1.0
	v_div_scale_f32 v23, vcc_lo, 1.0, v15, 1.0
	s_delay_alu instid0(VALU_DEP_2) | instskip(SKIP_2) | instid1(VALU_DEP_1)
	v_rcp_f32_e32 v16, v14
	s_waitcnt_depctr 0xfff
	v_fma_f32 v22, -v14, v16, 1.0
	v_fmac_f32_e32 v16, v22, v16
	s_delay_alu instid0(VALU_DEP_1) | instskip(NEXT) | instid1(VALU_DEP_1)
	v_mul_f32_e32 v22, v23, v16
	v_fma_f32 v24, -v14, v22, v23
	s_delay_alu instid0(VALU_DEP_1) | instskip(NEXT) | instid1(VALU_DEP_1)
	v_fmac_f32_e32 v22, v24, v16
	v_fma_f32 v14, -v14, v22, v23
	s_delay_alu instid0(VALU_DEP_1) | instskip(SKIP_2) | instid1(VALU_DEP_3)
	v_div_fmas_f32 v14, v14, v16, v22
	v_fma_f32 v16, v13, s11, s10
	v_fma_f32 v13, -v13, s10, s11
	v_div_fixup_f32 v14, v14, v15, 1.0
	s_delay_alu instid0(VALU_DEP_1) | instskip(NEXT) | instid1(VALU_DEP_3)
	v_mul_f32_e32 v23, v16, v14
	v_mul_f32_e32 v22, v13, v14
                                        ; implicit-def: $vgpr13
                                        ; implicit-def: $vgpr14
.LBB63_39:                              ;   in Loop: Header=BB63_5 Depth=1
	s_and_not1_saveexec_b32 s29, s2
	s_cbranch_execz .LBB63_41
; %bb.40:                               ;   in Loop: Header=BB63_5 Depth=1
	v_div_scale_f32 v15, null, v13, v13, s10
	v_div_scale_f32 v16, null, v14, v14, s11
	v_div_scale_f32 v26, vcc_lo, s10, v13, s10
	s_delay_alu instid0(VALU_DEP_3) | instskip(NEXT) | instid1(VALU_DEP_2)
	v_rcp_f32_e32 v22, v15
	v_rcp_f32_e32 v23, v16
	s_waitcnt_depctr 0xfff
	v_fma_f32 v24, -v15, v22, 1.0
	v_fma_f32 v25, -v16, v23, 1.0
	s_delay_alu instid0(VALU_DEP_1) | instskip(SKIP_1) | instid1(VALU_DEP_2)
	v_dual_fmac_f32 v22, v24, v22 :: v_dual_fmac_f32 v23, v25, v23
	v_div_scale_f32 v24, s2, s11, v14, s11
	v_mul_f32_e32 v25, v26, v22
	s_delay_alu instid0(VALU_DEP_2) | instskip(NEXT) | instid1(VALU_DEP_2)
	v_mul_f32_e32 v27, v24, v23
	v_fma_f32 v28, -v15, v25, v26
	s_delay_alu instid0(VALU_DEP_2) | instskip(NEXT) | instid1(VALU_DEP_2)
	v_fma_f32 v29, -v16, v27, v24
	v_fmac_f32_e32 v25, v28, v22
	s_delay_alu instid0(VALU_DEP_2) | instskip(NEXT) | instid1(VALU_DEP_2)
	v_fmac_f32_e32 v27, v29, v23
	v_fma_f32 v15, -v15, v25, v26
	s_delay_alu instid0(VALU_DEP_2) | instskip(NEXT) | instid1(VALU_DEP_2)
	v_fma_f32 v16, -v16, v27, v24
	v_div_fmas_f32 v15, v15, v22, v25
	s_mov_b32 vcc_lo, s2
	s_delay_alu instid0(VALU_DEP_2) | instskip(NEXT) | instid1(VALU_DEP_2)
	v_div_fmas_f32 v16, v16, v23, v27
	v_div_fixup_f32 v23, v15, v13, s10
	s_delay_alu instid0(VALU_DEP_2)
	v_div_fixup_f32 v22, v16, v14, s11
.LBB63_41:                              ;   in Loop: Header=BB63_5 Depth=1
	s_or_b32 exec_lo, exec_lo, s29
                                        ; implicit-def: $vgpr13_vgpr14_vgpr15_vgpr16
.LBB63_42:                              ;   in Loop: Header=BB63_5 Depth=1
	s_and_not1_saveexec_b32 s2, s3
	s_cbranch_execz .LBB63_44
; %bb.43:                               ;   in Loop: Header=BB63_5 Depth=1
	v_div_scale_f32 v13, null, v16, v16, v15
	v_div_scale_f32 v23, vcc_lo, v15, v16, v15
	s_delay_alu instid0(VALU_DEP_2) | instskip(SKIP_2) | instid1(VALU_DEP_1)
	v_rcp_f32_e32 v14, v13
	s_waitcnt_depctr 0xfff
	v_fma_f32 v22, -v13, v14, 1.0
	v_fmac_f32_e32 v14, v22, v14
	s_delay_alu instid0(VALU_DEP_1) | instskip(NEXT) | instid1(VALU_DEP_1)
	v_mul_f32_e32 v22, v23, v14
	v_fma_f32 v24, -v13, v22, v23
	s_delay_alu instid0(VALU_DEP_1) | instskip(NEXT) | instid1(VALU_DEP_1)
	v_fmac_f32_e32 v22, v24, v14
	v_fma_f32 v13, -v13, v22, v23
	s_delay_alu instid0(VALU_DEP_1) | instskip(NEXT) | instid1(VALU_DEP_1)
	v_div_fmas_f32 v13, v13, v14, v22
	v_div_fixup_f32 v13, v13, v16, v15
	s_delay_alu instid0(VALU_DEP_1) | instskip(NEXT) | instid1(VALU_DEP_1)
	v_fmac_f32_e32 v16, v15, v13
	v_div_scale_f32 v14, null, v16, v16, 1.0
	s_delay_alu instid0(VALU_DEP_1) | instskip(SKIP_2) | instid1(VALU_DEP_1)
	v_rcp_f32_e32 v15, v14
	s_waitcnt_depctr 0xfff
	v_fma_f32 v22, -v14, v15, 1.0
	v_fmac_f32_e32 v15, v22, v15
	v_div_scale_f32 v23, vcc_lo, 1.0, v16, 1.0
	s_delay_alu instid0(VALU_DEP_1) | instskip(NEXT) | instid1(VALU_DEP_1)
	v_mul_f32_e32 v22, v23, v15
	v_fma_f32 v24, -v14, v22, v23
	s_delay_alu instid0(VALU_DEP_1) | instskip(NEXT) | instid1(VALU_DEP_1)
	v_fmac_f32_e32 v22, v24, v15
	v_fma_f32 v14, -v14, v22, v23
	s_delay_alu instid0(VALU_DEP_1) | instskip(SKIP_2) | instid1(VALU_DEP_3)
	v_div_fmas_f32 v14, v14, v15, v22
	v_fma_f32 v15, v13, s10, s11
	v_fma_f32 v13, v13, s11, -s10
	v_div_fixup_f32 v14, v14, v16, 1.0
	s_delay_alu instid0(VALU_DEP_1) | instskip(NEXT) | instid1(VALU_DEP_3)
	v_mul_f32_e32 v23, v15, v14
	v_mul_f32_e32 v22, v13, v14
.LBB63_44:                              ;   in Loop: Header=BB63_5 Depth=1
	s_or_b32 exec_lo, exec_lo, s2
.LBB63_45:                              ;   in Loop: Header=BB63_5 Depth=1
	s_waitcnt vmcnt(2)
	v_cmp_gt_f32_e32 vcc_lo, 0, v9
	v_cndmask_b32_e64 v15, v9, -v9, vcc_lo
	v_cmp_gt_f32_e32 vcc_lo, 0, v10
	v_cndmask_b32_e64 v16, v10, -v10, vcc_lo
	s_and_not1_b32 vcc_lo, exec_lo, s26
	s_delay_alu instid0(VALU_DEP_1)
	v_cmp_ge_f32_e64 s2, v15, v16
	s_cbranch_vccnz .LBB63_55
; %bb.46:                               ;   in Loop: Header=BB63_5 Depth=1
                                        ; implicit-def: $vgpr13
                                        ; implicit-def: $vgpr24
	s_delay_alu instid0(VALU_DEP_1) | instskip(NEXT) | instid1(SALU_CYCLE_1)
	s_and_saveexec_b32 s3, s2
	s_xor_b32 s29, exec_lo, s3
	s_cbranch_execz .LBB63_52
; %bb.47:                               ;   in Loop: Header=BB63_5 Depth=1
	v_cmp_neq_f32_e32 vcc_lo, 0, v9
	v_cmp_neq_f32_e64 s3, 0, v10
                                        ; implicit-def: $vgpr13
                                        ; implicit-def: $vgpr24
	s_delay_alu instid0(VALU_DEP_1) | instskip(NEXT) | instid1(SALU_CYCLE_1)
	s_or_b32 s3, vcc_lo, s3
	s_and_saveexec_b32 s30, s3
	s_delay_alu instid0(SALU_CYCLE_1)
	s_xor_b32 s3, exec_lo, s30
	s_cbranch_execz .LBB63_49
; %bb.48:                               ;   in Loop: Header=BB63_5 Depth=1
	v_div_scale_f32 v13, null, v9, v9, v10
	v_div_scale_f32 v25, vcc_lo, v10, v9, v10
	s_delay_alu instid0(VALU_DEP_2) | instskip(SKIP_2) | instid1(VALU_DEP_1)
	v_rcp_f32_e32 v14, v13
	s_waitcnt_depctr 0xfff
	v_fma_f32 v24, -v13, v14, 1.0
	v_fmac_f32_e32 v14, v24, v14
	s_delay_alu instid0(VALU_DEP_1) | instskip(NEXT) | instid1(VALU_DEP_1)
	v_mul_f32_e32 v24, v25, v14
	v_fma_f32 v26, -v13, v24, v25
	s_delay_alu instid0(VALU_DEP_1) | instskip(NEXT) | instid1(VALU_DEP_1)
	v_fmac_f32_e32 v24, v26, v14
	v_fma_f32 v13, -v13, v24, v25
	s_delay_alu instid0(VALU_DEP_1) | instskip(NEXT) | instid1(VALU_DEP_1)
	v_div_fmas_f32 v13, v13, v14, v24
	v_div_fixup_f32 v13, v13, v9, v10
	s_delay_alu instid0(VALU_DEP_1) | instskip(NEXT) | instid1(VALU_DEP_1)
	v_fma_f32 v14, v10, v13, v9
	v_div_scale_f32 v24, null, v14, v14, 1.0
	v_div_scale_f32 v27, vcc_lo, 1.0, v14, 1.0
	s_delay_alu instid0(VALU_DEP_2) | instskip(SKIP_2) | instid1(VALU_DEP_1)
	v_rcp_f32_e32 v25, v24
	s_waitcnt_depctr 0xfff
	v_fma_f32 v26, -v24, v25, 1.0
	v_fmac_f32_e32 v25, v26, v25
	s_delay_alu instid0(VALU_DEP_1) | instskip(NEXT) | instid1(VALU_DEP_1)
	v_mul_f32_e32 v26, v27, v25
	v_fma_f32 v28, -v24, v26, v27
	s_delay_alu instid0(VALU_DEP_1) | instskip(NEXT) | instid1(VALU_DEP_1)
	v_fmac_f32_e32 v26, v28, v25
	v_fma_f32 v24, -v24, v26, v27
	s_delay_alu instid0(VALU_DEP_1) | instskip(SKIP_2) | instid1(VALU_DEP_3)
	v_div_fmas_f32 v24, v24, v25, v26
	v_fma_f32 v25, v13, s11, s10
	v_fma_f32 v13, -v13, s10, s11
	v_div_fixup_f32 v14, v24, v14, 1.0
	s_delay_alu instid0(VALU_DEP_1) | instskip(NEXT) | instid1(VALU_DEP_4)
	v_mul_f32_e32 v13, v13, v14
	v_mul_f32_e32 v24, v25, v14
.LBB63_49:                              ;   in Loop: Header=BB63_5 Depth=1
	s_and_not1_saveexec_b32 s30, s3
	s_cbranch_execz .LBB63_51
; %bb.50:                               ;   in Loop: Header=BB63_5 Depth=1
	v_div_scale_f32 v13, null, v15, v15, s10
	v_div_scale_f32 v14, null, v16, v16, s11
	v_div_scale_f32 v28, vcc_lo, s10, v15, s10
	s_delay_alu instid0(VALU_DEP_3) | instskip(NEXT) | instid1(VALU_DEP_2)
	v_rcp_f32_e32 v24, v13
	v_rcp_f32_e32 v25, v14
	s_waitcnt_depctr 0xfff
	v_fma_f32 v26, -v13, v24, 1.0
	v_fma_f32 v27, -v14, v25, 1.0
	s_delay_alu instid0(VALU_DEP_1) | instskip(SKIP_1) | instid1(VALU_DEP_2)
	v_dual_fmac_f32 v24, v26, v24 :: v_dual_fmac_f32 v25, v27, v25
	v_div_scale_f32 v26, s3, s11, v16, s11
	v_mul_f32_e32 v27, v28, v24
	s_delay_alu instid0(VALU_DEP_2) | instskip(NEXT) | instid1(VALU_DEP_2)
	v_mul_f32_e32 v29, v26, v25
	v_fma_f32 v30, -v13, v27, v28
	s_delay_alu instid0(VALU_DEP_2) | instskip(NEXT) | instid1(VALU_DEP_2)
	v_fma_f32 v31, -v14, v29, v26
	v_fmac_f32_e32 v27, v30, v24
	s_delay_alu instid0(VALU_DEP_2) | instskip(NEXT) | instid1(VALU_DEP_2)
	v_fmac_f32_e32 v29, v31, v25
	v_fma_f32 v13, -v13, v27, v28
	s_delay_alu instid0(VALU_DEP_2) | instskip(NEXT) | instid1(VALU_DEP_2)
	v_fma_f32 v14, -v14, v29, v26
	v_div_fmas_f32 v13, v13, v24, v27
	s_mov_b32 vcc_lo, s3
	s_delay_alu instid0(VALU_DEP_2) | instskip(NEXT) | instid1(VALU_DEP_2)
	v_div_fmas_f32 v14, v14, v25, v29
	v_div_fixup_f32 v24, v13, v15, s10
	s_delay_alu instid0(VALU_DEP_2)
	v_div_fixup_f32 v13, v14, v16, s11
.LBB63_51:                              ;   in Loop: Header=BB63_5 Depth=1
	s_or_b32 exec_lo, exec_lo, s30
.LBB63_52:                              ;   in Loop: Header=BB63_5 Depth=1
	s_and_not1_saveexec_b32 s3, s29
	s_cbranch_execz .LBB63_54
; %bb.53:                               ;   in Loop: Header=BB63_5 Depth=1
	v_div_scale_f32 v13, null, v10, v10, v9
	v_div_scale_f32 v25, vcc_lo, v9, v10, v9
	s_delay_alu instid0(VALU_DEP_2) | instskip(SKIP_2) | instid1(VALU_DEP_1)
	v_rcp_f32_e32 v14, v13
	s_waitcnt_depctr 0xfff
	v_fma_f32 v24, -v13, v14, 1.0
	v_fmac_f32_e32 v14, v24, v14
	s_delay_alu instid0(VALU_DEP_1) | instskip(NEXT) | instid1(VALU_DEP_1)
	v_mul_f32_e32 v24, v25, v14
	v_fma_f32 v26, -v13, v24, v25
	s_delay_alu instid0(VALU_DEP_1) | instskip(NEXT) | instid1(VALU_DEP_1)
	v_fmac_f32_e32 v24, v26, v14
	v_fma_f32 v13, -v13, v24, v25
	s_delay_alu instid0(VALU_DEP_1) | instskip(NEXT) | instid1(VALU_DEP_1)
	v_div_fmas_f32 v13, v13, v14, v24
	v_div_fixup_f32 v13, v13, v10, v9
	s_delay_alu instid0(VALU_DEP_1) | instskip(NEXT) | instid1(VALU_DEP_1)
	v_fma_f32 v14, v9, v13, v10
	v_div_scale_f32 v24, null, v14, v14, 1.0
	v_div_scale_f32 v27, vcc_lo, 1.0, v14, 1.0
	s_delay_alu instid0(VALU_DEP_2) | instskip(SKIP_2) | instid1(VALU_DEP_1)
	v_rcp_f32_e32 v25, v24
	s_waitcnt_depctr 0xfff
	v_fma_f32 v26, -v24, v25, 1.0
	v_fmac_f32_e32 v25, v26, v25
	s_delay_alu instid0(VALU_DEP_1) | instskip(NEXT) | instid1(VALU_DEP_1)
	v_mul_f32_e32 v26, v27, v25
	v_fma_f32 v28, -v24, v26, v27
	s_delay_alu instid0(VALU_DEP_1) | instskip(NEXT) | instid1(VALU_DEP_1)
	v_fmac_f32_e32 v26, v28, v25
	v_fma_f32 v24, -v24, v26, v27
	s_delay_alu instid0(VALU_DEP_1) | instskip(SKIP_2) | instid1(VALU_DEP_3)
	v_div_fmas_f32 v24, v24, v25, v26
	v_fma_f32 v25, v13, s10, s11
	v_fma_f32 v13, v13, s11, -s10
	v_div_fixup_f32 v14, v24, v14, 1.0
	s_delay_alu instid0(VALU_DEP_1) | instskip(NEXT) | instid1(VALU_DEP_4)
	v_mul_f32_e32 v13, v13, v14
	v_mul_f32_e32 v24, v25, v14
.LBB63_54:                              ;   in Loop: Header=BB63_5 Depth=1
	s_or_b32 exec_lo, exec_lo, s3
	s_delay_alu instid0(VALU_DEP_1) | instskip(SKIP_1) | instid1(VALU_DEP_1)
	v_mul_f32_e32 v14, s7, v13
	v_mul_f32_e32 v13, s6, v13
	v_fmac_f32_e32 v13, s7, v24
	s_delay_alu instid0(VALU_DEP_3)
	v_fma_f32 v14, v24, s6, -v14
	s_branch .LBB63_65
.LBB63_55:                              ;   in Loop: Header=BB63_5 Depth=1
                                        ; implicit-def: $vgpr13
                                        ; implicit-def: $vgpr14
	s_cbranch_execz .LBB63_65
; %bb.56:                               ;   in Loop: Header=BB63_5 Depth=1
                                        ; implicit-def: $vgpr13
                                        ; implicit-def: $vgpr14
	s_delay_alu instid0(VALU_DEP_1) | instskip(NEXT) | instid1(SALU_CYCLE_1)
	s_and_saveexec_b32 s3, s2
	s_xor_b32 s3, exec_lo, s3
	s_cbranch_execz .LBB63_62
; %bb.57:                               ;   in Loop: Header=BB63_5 Depth=1
	v_cmp_neq_f32_e32 vcc_lo, 0, v9
	v_cmp_neq_f32_e64 s2, 0, v10
                                        ; implicit-def: $vgpr13
                                        ; implicit-def: $vgpr14
	s_delay_alu instid0(VALU_DEP_1) | instskip(NEXT) | instid1(SALU_CYCLE_1)
	s_or_b32 s2, vcc_lo, s2
	s_and_saveexec_b32 s29, s2
	s_delay_alu instid0(SALU_CYCLE_1)
	s_xor_b32 s2, exec_lo, s29
	s_cbranch_execz .LBB63_59
; %bb.58:                               ;   in Loop: Header=BB63_5 Depth=1
	v_div_scale_f32 v13, null, v9, v9, v10
	v_div_scale_f32 v16, vcc_lo, v10, v9, v10
	s_delay_alu instid0(VALU_DEP_2) | instskip(SKIP_2) | instid1(VALU_DEP_1)
	v_rcp_f32_e32 v14, v13
	s_waitcnt_depctr 0xfff
	v_fma_f32 v15, -v13, v14, 1.0
	v_fmac_f32_e32 v14, v15, v14
	s_delay_alu instid0(VALU_DEP_1) | instskip(NEXT) | instid1(VALU_DEP_1)
	v_mul_f32_e32 v15, v16, v14
	v_fma_f32 v24, -v13, v15, v16
	s_delay_alu instid0(VALU_DEP_1) | instskip(NEXT) | instid1(VALU_DEP_1)
	v_fmac_f32_e32 v15, v24, v14
	v_fma_f32 v13, -v13, v15, v16
	s_delay_alu instid0(VALU_DEP_1) | instskip(NEXT) | instid1(VALU_DEP_1)
	v_div_fmas_f32 v13, v13, v14, v15
	v_div_fixup_f32 v13, v13, v9, v10
	s_delay_alu instid0(VALU_DEP_1) | instskip(NEXT) | instid1(VALU_DEP_1)
	v_fma_f32 v14, v10, v13, v9
	v_div_scale_f32 v15, null, v14, v14, 1.0
	v_div_scale_f32 v25, vcc_lo, 1.0, v14, 1.0
	s_delay_alu instid0(VALU_DEP_2) | instskip(SKIP_2) | instid1(VALU_DEP_1)
	v_rcp_f32_e32 v16, v15
	s_waitcnt_depctr 0xfff
	v_fma_f32 v24, -v15, v16, 1.0
	v_fmac_f32_e32 v16, v24, v16
	s_delay_alu instid0(VALU_DEP_1) | instskip(NEXT) | instid1(VALU_DEP_1)
	v_mul_f32_e32 v24, v25, v16
	v_fma_f32 v26, -v15, v24, v25
	s_delay_alu instid0(VALU_DEP_1) | instskip(NEXT) | instid1(VALU_DEP_1)
	v_fmac_f32_e32 v24, v26, v16
	v_fma_f32 v15, -v15, v24, v25
	s_delay_alu instid0(VALU_DEP_1) | instskip(SKIP_2) | instid1(VALU_DEP_3)
	v_div_fmas_f32 v15, v15, v16, v24
	v_fma_f32 v16, v13, s11, s10
	v_fma_f32 v13, -v13, s10, s11
	v_div_fixup_f32 v15, v15, v14, 1.0
	s_delay_alu instid0(VALU_DEP_1) | instskip(NEXT) | instid1(VALU_DEP_3)
	v_mul_f32_e32 v14, v16, v15
	v_mul_f32_e32 v13, v13, v15
                                        ; implicit-def: $vgpr15
                                        ; implicit-def: $vgpr16
.LBB63_59:                              ;   in Loop: Header=BB63_5 Depth=1
	s_and_not1_saveexec_b32 s29, s2
	s_cbranch_execz .LBB63_61
; %bb.60:                               ;   in Loop: Header=BB63_5 Depth=1
	v_div_scale_f32 v13, null, v15, v15, s10
	v_div_scale_f32 v14, null, v16, v16, s11
	v_div_scale_f32 v28, vcc_lo, s10, v15, s10
	s_delay_alu instid0(VALU_DEP_3) | instskip(NEXT) | instid1(VALU_DEP_2)
	v_rcp_f32_e32 v24, v13
	v_rcp_f32_e32 v25, v14
	s_waitcnt_depctr 0xfff
	v_fma_f32 v26, -v13, v24, 1.0
	v_fma_f32 v27, -v14, v25, 1.0
	s_delay_alu instid0(VALU_DEP_1) | instskip(SKIP_1) | instid1(VALU_DEP_2)
	v_dual_fmac_f32 v24, v26, v24 :: v_dual_fmac_f32 v25, v27, v25
	v_div_scale_f32 v26, s2, s11, v16, s11
	v_mul_f32_e32 v27, v28, v24
	s_delay_alu instid0(VALU_DEP_2) | instskip(NEXT) | instid1(VALU_DEP_2)
	v_mul_f32_e32 v29, v26, v25
	v_fma_f32 v30, -v13, v27, v28
	s_delay_alu instid0(VALU_DEP_2) | instskip(NEXT) | instid1(VALU_DEP_2)
	v_fma_f32 v31, -v14, v29, v26
	v_fmac_f32_e32 v27, v30, v24
	s_delay_alu instid0(VALU_DEP_2) | instskip(NEXT) | instid1(VALU_DEP_2)
	v_fmac_f32_e32 v29, v31, v25
	v_fma_f32 v13, -v13, v27, v28
	s_delay_alu instid0(VALU_DEP_2) | instskip(NEXT) | instid1(VALU_DEP_2)
	v_fma_f32 v14, -v14, v29, v26
	v_div_fmas_f32 v13, v13, v24, v27
	s_mov_b32 vcc_lo, s2
	s_delay_alu instid0(VALU_DEP_2) | instskip(NEXT) | instid1(VALU_DEP_2)
	v_div_fmas_f32 v24, v14, v25, v29
	v_div_fixup_f32 v14, v13, v15, s10
	s_delay_alu instid0(VALU_DEP_2)
	v_div_fixup_f32 v13, v24, v16, s11
.LBB63_61:                              ;   in Loop: Header=BB63_5 Depth=1
	s_or_b32 exec_lo, exec_lo, s29
.LBB63_62:                              ;   in Loop: Header=BB63_5 Depth=1
	s_and_not1_saveexec_b32 s2, s3
	s_cbranch_execz .LBB63_64
; %bb.63:                               ;   in Loop: Header=BB63_5 Depth=1
	v_div_scale_f32 v13, null, v10, v10, v9
	v_div_scale_f32 v16, vcc_lo, v9, v10, v9
	s_delay_alu instid0(VALU_DEP_2) | instskip(SKIP_2) | instid1(VALU_DEP_1)
	v_rcp_f32_e32 v14, v13
	s_waitcnt_depctr 0xfff
	v_fma_f32 v15, -v13, v14, 1.0
	v_fmac_f32_e32 v14, v15, v14
	s_delay_alu instid0(VALU_DEP_1) | instskip(NEXT) | instid1(VALU_DEP_1)
	v_mul_f32_e32 v15, v16, v14
	v_fma_f32 v24, -v13, v15, v16
	s_delay_alu instid0(VALU_DEP_1) | instskip(NEXT) | instid1(VALU_DEP_1)
	v_fmac_f32_e32 v15, v24, v14
	v_fma_f32 v13, -v13, v15, v16
	s_delay_alu instid0(VALU_DEP_1) | instskip(NEXT) | instid1(VALU_DEP_1)
	v_div_fmas_f32 v13, v13, v14, v15
	v_div_fixup_f32 v13, v13, v10, v9
	s_delay_alu instid0(VALU_DEP_1) | instskip(NEXT) | instid1(VALU_DEP_1)
	v_fma_f32 v9, v9, v13, v10
	v_div_scale_f32 v10, null, v9, v9, 1.0
	v_div_scale_f32 v16, vcc_lo, 1.0, v9, 1.0
	s_delay_alu instid0(VALU_DEP_2) | instskip(SKIP_2) | instid1(VALU_DEP_1)
	v_rcp_f32_e32 v14, v10
	s_waitcnt_depctr 0xfff
	v_fma_f32 v15, -v10, v14, 1.0
	v_fmac_f32_e32 v14, v15, v14
	s_delay_alu instid0(VALU_DEP_1) | instskip(NEXT) | instid1(VALU_DEP_1)
	v_mul_f32_e32 v15, v16, v14
	v_fma_f32 v24, -v10, v15, v16
	s_delay_alu instid0(VALU_DEP_1) | instskip(NEXT) | instid1(VALU_DEP_1)
	v_fmac_f32_e32 v15, v24, v14
	v_fma_f32 v10, -v10, v15, v16
	s_delay_alu instid0(VALU_DEP_1) | instskip(SKIP_1) | instid1(VALU_DEP_2)
	v_div_fmas_f32 v10, v10, v14, v15
	v_fma_f32 v14, v13, s10, s11
	v_div_fixup_f32 v9, v10, v9, 1.0
	v_fma_f32 v10, v13, s11, -s10
	s_delay_alu instid0(VALU_DEP_2) | instskip(NEXT) | instid1(VALU_DEP_2)
	v_mul_f32_e32 v14, v14, v9
	v_mul_f32_e32 v13, v10, v9
.LBB63_64:                              ;   in Loop: Header=BB63_5 Depth=1
	s_or_b32 exec_lo, exec_lo, s2
.LBB63_65:                              ;   in Loop: Header=BB63_5 Depth=1
	v_cmp_gt_f32_e32 vcc_lo, 0, v11
	v_cndmask_b32_e64 v9, v11, -v11, vcc_lo
	v_cmp_gt_f32_e32 vcc_lo, 0, v12
	v_cndmask_b32_e64 v10, v12, -v12, vcc_lo
	s_and_not1_b32 vcc_lo, exec_lo, s26
	s_delay_alu instid0(VALU_DEP_1)
	v_cmp_ge_f32_e64 s2, v9, v10
	s_cbranch_vccnz .LBB63_75
; %bb.66:                               ;   in Loop: Header=BB63_5 Depth=1
                                        ; implicit-def: $vgpr15
                                        ; implicit-def: $vgpr24
	s_delay_alu instid0(VALU_DEP_1) | instskip(NEXT) | instid1(SALU_CYCLE_1)
	s_and_saveexec_b32 s3, s2
	s_xor_b32 s29, exec_lo, s3
	s_cbranch_execz .LBB63_72
; %bb.67:                               ;   in Loop: Header=BB63_5 Depth=1
	v_cmp_neq_f32_e32 vcc_lo, 0, v11
	v_cmp_neq_f32_e64 s3, 0, v12
                                        ; implicit-def: $vgpr15
                                        ; implicit-def: $vgpr24
	s_delay_alu instid0(VALU_DEP_1) | instskip(NEXT) | instid1(SALU_CYCLE_1)
	s_or_b32 s3, vcc_lo, s3
	s_and_saveexec_b32 s30, s3
	s_delay_alu instid0(SALU_CYCLE_1)
	s_xor_b32 s3, exec_lo, s30
	s_cbranch_execz .LBB63_69
; %bb.68:                               ;   in Loop: Header=BB63_5 Depth=1
	v_div_scale_f32 v15, null, v11, v11, v12
	v_div_scale_f32 v25, vcc_lo, v12, v11, v12
	s_delay_alu instid0(VALU_DEP_2) | instskip(SKIP_2) | instid1(VALU_DEP_1)
	v_rcp_f32_e32 v16, v15
	s_waitcnt_depctr 0xfff
	v_fma_f32 v24, -v15, v16, 1.0
	v_fmac_f32_e32 v16, v24, v16
	s_delay_alu instid0(VALU_DEP_1) | instskip(NEXT) | instid1(VALU_DEP_1)
	v_mul_f32_e32 v24, v25, v16
	v_fma_f32 v26, -v15, v24, v25
	s_delay_alu instid0(VALU_DEP_1) | instskip(NEXT) | instid1(VALU_DEP_1)
	v_fmac_f32_e32 v24, v26, v16
	v_fma_f32 v15, -v15, v24, v25
	s_delay_alu instid0(VALU_DEP_1) | instskip(NEXT) | instid1(VALU_DEP_1)
	v_div_fmas_f32 v15, v15, v16, v24
	v_div_fixup_f32 v15, v15, v11, v12
	s_delay_alu instid0(VALU_DEP_1) | instskip(NEXT) | instid1(VALU_DEP_1)
	v_fma_f32 v16, v12, v15, v11
	v_div_scale_f32 v24, null, v16, v16, 1.0
	v_div_scale_f32 v27, vcc_lo, 1.0, v16, 1.0
	s_delay_alu instid0(VALU_DEP_2) | instskip(SKIP_2) | instid1(VALU_DEP_1)
	v_rcp_f32_e32 v25, v24
	s_waitcnt_depctr 0xfff
	v_fma_f32 v26, -v24, v25, 1.0
	v_fmac_f32_e32 v25, v26, v25
	s_delay_alu instid0(VALU_DEP_1) | instskip(NEXT) | instid1(VALU_DEP_1)
	v_mul_f32_e32 v26, v27, v25
	v_fma_f32 v28, -v24, v26, v27
	s_delay_alu instid0(VALU_DEP_1) | instskip(NEXT) | instid1(VALU_DEP_1)
	v_fmac_f32_e32 v26, v28, v25
	v_fma_f32 v24, -v24, v26, v27
	s_delay_alu instid0(VALU_DEP_1) | instskip(SKIP_2) | instid1(VALU_DEP_3)
	v_div_fmas_f32 v24, v24, v25, v26
	v_fma_f32 v25, v15, s11, s10
	v_fma_f32 v15, -v15, s10, s11
	v_div_fixup_f32 v16, v24, v16, 1.0
	s_delay_alu instid0(VALU_DEP_1) | instskip(NEXT) | instid1(VALU_DEP_4)
	v_mul_f32_e32 v15, v15, v16
	v_mul_f32_e32 v24, v25, v16
.LBB63_69:                              ;   in Loop: Header=BB63_5 Depth=1
	s_and_not1_saveexec_b32 s30, s3
	s_cbranch_execz .LBB63_71
; %bb.70:                               ;   in Loop: Header=BB63_5 Depth=1
	v_div_scale_f32 v15, null, v9, v9, s10
	v_div_scale_f32 v16, null, v10, v10, s11
	v_div_scale_f32 v28, vcc_lo, s10, v9, s10
	s_delay_alu instid0(VALU_DEP_3) | instskip(NEXT) | instid1(VALU_DEP_2)
	v_rcp_f32_e32 v24, v15
	v_rcp_f32_e32 v25, v16
	s_waitcnt_depctr 0xfff
	v_fma_f32 v26, -v15, v24, 1.0
	v_fma_f32 v27, -v16, v25, 1.0
	s_delay_alu instid0(VALU_DEP_1) | instskip(SKIP_1) | instid1(VALU_DEP_2)
	v_dual_fmac_f32 v24, v26, v24 :: v_dual_fmac_f32 v25, v27, v25
	v_div_scale_f32 v26, s3, s11, v10, s11
	v_mul_f32_e32 v27, v28, v24
	s_delay_alu instid0(VALU_DEP_2) | instskip(NEXT) | instid1(VALU_DEP_2)
	v_mul_f32_e32 v29, v26, v25
	v_fma_f32 v30, -v15, v27, v28
	s_delay_alu instid0(VALU_DEP_2) | instskip(NEXT) | instid1(VALU_DEP_2)
	v_fma_f32 v31, -v16, v29, v26
	v_fmac_f32_e32 v27, v30, v24
	s_delay_alu instid0(VALU_DEP_2) | instskip(NEXT) | instid1(VALU_DEP_2)
	v_fmac_f32_e32 v29, v31, v25
	v_fma_f32 v15, -v15, v27, v28
	s_delay_alu instid0(VALU_DEP_2) | instskip(NEXT) | instid1(VALU_DEP_2)
	v_fma_f32 v16, -v16, v29, v26
	v_div_fmas_f32 v15, v15, v24, v27
	s_mov_b32 vcc_lo, s3
	s_delay_alu instid0(VALU_DEP_2) | instskip(NEXT) | instid1(VALU_DEP_2)
	v_div_fmas_f32 v16, v16, v25, v29
	v_div_fixup_f32 v24, v15, v9, s10
	s_delay_alu instid0(VALU_DEP_2)
	v_div_fixup_f32 v15, v16, v10, s11
.LBB63_71:                              ;   in Loop: Header=BB63_5 Depth=1
	s_or_b32 exec_lo, exec_lo, s30
.LBB63_72:                              ;   in Loop: Header=BB63_5 Depth=1
	s_and_not1_saveexec_b32 s3, s29
	s_cbranch_execz .LBB63_74
; %bb.73:                               ;   in Loop: Header=BB63_5 Depth=1
	v_div_scale_f32 v15, null, v12, v12, v11
	v_div_scale_f32 v25, vcc_lo, v11, v12, v11
	s_delay_alu instid0(VALU_DEP_2) | instskip(SKIP_2) | instid1(VALU_DEP_1)
	v_rcp_f32_e32 v16, v15
	s_waitcnt_depctr 0xfff
	v_fma_f32 v24, -v15, v16, 1.0
	v_fmac_f32_e32 v16, v24, v16
	s_delay_alu instid0(VALU_DEP_1) | instskip(NEXT) | instid1(VALU_DEP_1)
	v_mul_f32_e32 v24, v25, v16
	v_fma_f32 v26, -v15, v24, v25
	s_delay_alu instid0(VALU_DEP_1) | instskip(NEXT) | instid1(VALU_DEP_1)
	v_fmac_f32_e32 v24, v26, v16
	v_fma_f32 v15, -v15, v24, v25
	s_delay_alu instid0(VALU_DEP_1) | instskip(NEXT) | instid1(VALU_DEP_1)
	v_div_fmas_f32 v15, v15, v16, v24
	v_div_fixup_f32 v15, v15, v12, v11
	s_delay_alu instid0(VALU_DEP_1) | instskip(NEXT) | instid1(VALU_DEP_1)
	v_fma_f32 v16, v11, v15, v12
	v_div_scale_f32 v24, null, v16, v16, 1.0
	v_div_scale_f32 v27, vcc_lo, 1.0, v16, 1.0
	s_delay_alu instid0(VALU_DEP_2) | instskip(SKIP_2) | instid1(VALU_DEP_1)
	v_rcp_f32_e32 v25, v24
	s_waitcnt_depctr 0xfff
	v_fma_f32 v26, -v24, v25, 1.0
	v_fmac_f32_e32 v25, v26, v25
	s_delay_alu instid0(VALU_DEP_1) | instskip(NEXT) | instid1(VALU_DEP_1)
	v_mul_f32_e32 v26, v27, v25
	v_fma_f32 v28, -v24, v26, v27
	s_delay_alu instid0(VALU_DEP_1) | instskip(NEXT) | instid1(VALU_DEP_1)
	v_fmac_f32_e32 v26, v28, v25
	v_fma_f32 v24, -v24, v26, v27
	s_delay_alu instid0(VALU_DEP_1) | instskip(SKIP_2) | instid1(VALU_DEP_3)
	v_div_fmas_f32 v24, v24, v25, v26
	v_fma_f32 v25, v15, s10, s11
	v_fma_f32 v15, v15, s11, -s10
	v_div_fixup_f32 v16, v24, v16, 1.0
	s_delay_alu instid0(VALU_DEP_1) | instskip(NEXT) | instid1(VALU_DEP_4)
	v_mul_f32_e32 v15, v15, v16
	v_mul_f32_e32 v24, v25, v16
.LBB63_74:                              ;   in Loop: Header=BB63_5 Depth=1
	s_or_b32 exec_lo, exec_lo, s3
	s_delay_alu instid0(VALU_DEP_1) | instskip(SKIP_1) | instid1(VALU_DEP_1)
	v_mul_f32_e32 v16, s7, v15
	v_mul_f32_e32 v15, s6, v15
	v_fmac_f32_e32 v15, s7, v24
	s_delay_alu instid0(VALU_DEP_3)
	v_fma_f32 v16, v24, s6, -v16
	s_branch .LBB63_4
.LBB63_75:                              ;   in Loop: Header=BB63_5 Depth=1
                                        ; implicit-def: $vgpr15
                                        ; implicit-def: $vgpr16
	s_cbranch_execz .LBB63_4
; %bb.76:                               ;   in Loop: Header=BB63_5 Depth=1
                                        ; implicit-def: $vgpr15
                                        ; implicit-def: $vgpr16
	s_delay_alu instid0(VALU_DEP_1) | instskip(NEXT) | instid1(SALU_CYCLE_1)
	s_and_saveexec_b32 s3, s2
	s_xor_b32 s3, exec_lo, s3
	s_cbranch_execz .LBB63_82
; %bb.77:                               ;   in Loop: Header=BB63_5 Depth=1
	v_cmp_neq_f32_e32 vcc_lo, 0, v11
	v_cmp_neq_f32_e64 s2, 0, v12
                                        ; implicit-def: $vgpr15
                                        ; implicit-def: $vgpr16
	s_delay_alu instid0(VALU_DEP_1) | instskip(NEXT) | instid1(SALU_CYCLE_1)
	s_or_b32 s2, vcc_lo, s2
	s_and_saveexec_b32 s29, s2
	s_delay_alu instid0(SALU_CYCLE_1)
	s_xor_b32 s2, exec_lo, s29
	s_cbranch_execz .LBB63_79
; %bb.78:                               ;   in Loop: Header=BB63_5 Depth=1
	v_div_scale_f32 v9, null, v11, v11, v12
	v_div_scale_f32 v16, vcc_lo, v12, v11, v12
	s_delay_alu instid0(VALU_DEP_2) | instskip(SKIP_2) | instid1(VALU_DEP_1)
	v_rcp_f32_e32 v10, v9
	s_waitcnt_depctr 0xfff
	v_fma_f32 v15, -v9, v10, 1.0
	v_fmac_f32_e32 v10, v15, v10
	s_delay_alu instid0(VALU_DEP_1) | instskip(NEXT) | instid1(VALU_DEP_1)
	v_mul_f32_e32 v15, v16, v10
	v_fma_f32 v24, -v9, v15, v16
	s_delay_alu instid0(VALU_DEP_1) | instskip(NEXT) | instid1(VALU_DEP_1)
	v_fmac_f32_e32 v15, v24, v10
	v_fma_f32 v9, -v9, v15, v16
	s_delay_alu instid0(VALU_DEP_1) | instskip(NEXT) | instid1(VALU_DEP_1)
	v_div_fmas_f32 v9, v9, v10, v15
	v_div_fixup_f32 v9, v9, v11, v12
	s_delay_alu instid0(VALU_DEP_1) | instskip(NEXT) | instid1(VALU_DEP_1)
	v_fmac_f32_e32 v11, v12, v9
	v_div_scale_f32 v10, null, v11, v11, 1.0
	v_div_scale_f32 v16, vcc_lo, 1.0, v11, 1.0
	s_delay_alu instid0(VALU_DEP_2) | instskip(SKIP_2) | instid1(VALU_DEP_1)
	v_rcp_f32_e32 v12, v10
	s_waitcnt_depctr 0xfff
	v_fma_f32 v15, -v10, v12, 1.0
	v_fmac_f32_e32 v12, v15, v12
	s_delay_alu instid0(VALU_DEP_1) | instskip(NEXT) | instid1(VALU_DEP_1)
	v_mul_f32_e32 v15, v16, v12
	v_fma_f32 v24, -v10, v15, v16
	s_delay_alu instid0(VALU_DEP_1) | instskip(NEXT) | instid1(VALU_DEP_1)
	v_fmac_f32_e32 v15, v24, v12
	v_fma_f32 v10, -v10, v15, v16
	s_delay_alu instid0(VALU_DEP_1) | instskip(SKIP_2) | instid1(VALU_DEP_3)
	v_div_fmas_f32 v10, v10, v12, v15
	v_fma_f32 v12, v9, s11, s10
	v_fma_f32 v9, -v9, s10, s11
	v_div_fixup_f32 v10, v10, v11, 1.0
	s_delay_alu instid0(VALU_DEP_1) | instskip(NEXT) | instid1(VALU_DEP_4)
	v_mul_f32_e32 v15, v9, v10
	v_mul_f32_e32 v16, v12, v10
                                        ; implicit-def: $vgpr9
                                        ; implicit-def: $vgpr10
.LBB63_79:                              ;   in Loop: Header=BB63_5 Depth=1
	s_and_not1_saveexec_b32 s29, s2
	s_cbranch_execz .LBB63_81
; %bb.80:                               ;   in Loop: Header=BB63_5 Depth=1
	v_div_scale_f32 v11, null, v9, v9, s10
	v_div_scale_f32 v12, null, v10, v10, s11
	v_div_scale_f32 v26, vcc_lo, s10, v9, s10
	s_delay_alu instid0(VALU_DEP_3) | instskip(NEXT) | instid1(VALU_DEP_2)
	v_rcp_f32_e32 v15, v11
	v_rcp_f32_e32 v16, v12
	s_waitcnt_depctr 0xfff
	v_fma_f32 v24, -v11, v15, 1.0
	v_fma_f32 v25, -v12, v16, 1.0
	s_delay_alu instid0(VALU_DEP_1) | instskip(SKIP_1) | instid1(VALU_DEP_2)
	v_dual_fmac_f32 v15, v24, v15 :: v_dual_fmac_f32 v16, v25, v16
	v_div_scale_f32 v24, s2, s11, v10, s11
	v_mul_f32_e32 v25, v26, v15
	s_delay_alu instid0(VALU_DEP_2) | instskip(NEXT) | instid1(VALU_DEP_2)
	v_mul_f32_e32 v27, v24, v16
	v_fma_f32 v28, -v11, v25, v26
	s_delay_alu instid0(VALU_DEP_2) | instskip(NEXT) | instid1(VALU_DEP_2)
	v_fma_f32 v29, -v12, v27, v24
	v_fmac_f32_e32 v25, v28, v15
	s_delay_alu instid0(VALU_DEP_2) | instskip(NEXT) | instid1(VALU_DEP_2)
	v_fmac_f32_e32 v27, v29, v16
	v_fma_f32 v11, -v11, v25, v26
	s_delay_alu instid0(VALU_DEP_2) | instskip(NEXT) | instid1(VALU_DEP_2)
	v_fma_f32 v12, -v12, v27, v24
	v_div_fmas_f32 v11, v11, v15, v25
	s_mov_b32 vcc_lo, s2
	s_delay_alu instid0(VALU_DEP_2) | instskip(NEXT) | instid1(VALU_DEP_2)
	v_div_fmas_f32 v12, v12, v16, v27
	v_div_fixup_f32 v16, v11, v9, s10
	s_delay_alu instid0(VALU_DEP_2)
	v_div_fixup_f32 v15, v12, v10, s11
.LBB63_81:                              ;   in Loop: Header=BB63_5 Depth=1
	s_or_b32 exec_lo, exec_lo, s29
                                        ; implicit-def: $vgpr9_vgpr10_vgpr11_vgpr12
.LBB63_82:                              ;   in Loop: Header=BB63_5 Depth=1
	s_and_not1_saveexec_b32 s2, s3
	s_cbranch_execz .LBB63_3
; %bb.83:                               ;   in Loop: Header=BB63_5 Depth=1
	v_div_scale_f32 v9, null, v12, v12, v11
	v_div_scale_f32 v16, vcc_lo, v11, v12, v11
	s_delay_alu instid0(VALU_DEP_2) | instskip(SKIP_2) | instid1(VALU_DEP_1)
	v_rcp_f32_e32 v10, v9
	s_waitcnt_depctr 0xfff
	v_fma_f32 v15, -v9, v10, 1.0
	v_fmac_f32_e32 v10, v15, v10
	s_delay_alu instid0(VALU_DEP_1) | instskip(NEXT) | instid1(VALU_DEP_1)
	v_mul_f32_e32 v15, v16, v10
	v_fma_f32 v24, -v9, v15, v16
	s_delay_alu instid0(VALU_DEP_1) | instskip(NEXT) | instid1(VALU_DEP_1)
	v_fmac_f32_e32 v15, v24, v10
	v_fma_f32 v9, -v9, v15, v16
	s_delay_alu instid0(VALU_DEP_1) | instskip(NEXT) | instid1(VALU_DEP_1)
	v_div_fmas_f32 v9, v9, v10, v15
	v_div_fixup_f32 v9, v9, v12, v11
	s_delay_alu instid0(VALU_DEP_1) | instskip(NEXT) | instid1(VALU_DEP_1)
	v_fmac_f32_e32 v12, v11, v9
	v_div_scale_f32 v10, null, v12, v12, 1.0
	v_div_scale_f32 v16, vcc_lo, 1.0, v12, 1.0
	s_delay_alu instid0(VALU_DEP_2) | instskip(SKIP_2) | instid1(VALU_DEP_1)
	v_rcp_f32_e32 v11, v10
	s_waitcnt_depctr 0xfff
	v_fma_f32 v15, -v10, v11, 1.0
	v_fmac_f32_e32 v11, v15, v11
	s_delay_alu instid0(VALU_DEP_1) | instskip(NEXT) | instid1(VALU_DEP_1)
	v_mul_f32_e32 v15, v16, v11
	v_fma_f32 v24, -v10, v15, v16
	s_delay_alu instid0(VALU_DEP_1) | instskip(NEXT) | instid1(VALU_DEP_1)
	v_fmac_f32_e32 v15, v24, v11
	v_fma_f32 v10, -v10, v15, v16
	s_delay_alu instid0(VALU_DEP_1) | instskip(SKIP_2) | instid1(VALU_DEP_3)
	v_div_fmas_f32 v10, v10, v11, v15
	v_fma_f32 v11, v9, s10, s11
	v_fma_f32 v9, v9, s11, -s10
	v_div_fixup_f32 v10, v10, v12, 1.0
	s_delay_alu instid0(VALU_DEP_1) | instskip(NEXT) | instid1(VALU_DEP_3)
	v_mul_f32_e32 v16, v11, v10
	v_mul_f32_e32 v15, v9, v10
	s_branch .LBB63_3
.LBB63_84:
	s_or_b32 exec_lo, exec_lo, s24
	s_mov_b32 s2, 0
.LBB63_85:
	s_delay_alu instid0(SALU_CYCLE_1)
	s_and_not1_b32 vcc_lo, exec_lo, s2
	s_cbranch_vccnz .LBB63_185
; %bb.86:
	v_cmp_lt_i64_e64 s2, s[8:9], 1
	s_delay_alu instid0(VALU_DEP_1)
	s_and_b32 vcc_lo, exec_lo, s2
	s_cbranch_vccnz .LBB63_185
; %bb.87:
	s_load_b32 s0, s[0:1], 0xc04
	v_dual_mov_b32 v1, 0 :: v_dual_lshlrev_b32 v6, 3, v0
	s_waitcnt lgkmcnt(0)
	s_and_b32 s2, s7, 0x7fffffff
	v_cmp_neq_f32_e64 s1, s6, 1.0
	v_cmp_gt_u64_e64 s12, 0x10000, s[8:9]
	v_or_b32_e32 v2, 4, v6
	v_mov_b32_e32 v3, v1
	s_mov_b32 s3, 0
	s_delay_alu instid0(VALU_DEP_2) | instskip(NEXT) | instid1(VALU_DEP_1)
	v_add_co_u32 v24, s13, s16, v2
	v_add_co_ci_u32_e64 v25, null, s17, 0, s13
	s_and_b32 s20, s0, 0xffff
	s_cmp_lg_u32 s2, 0
	v_add_lshl_u32 v7, v0, s20, 3
	s_cselect_b32 s0, -1, 0
	v_mad_u64_u32 v[4:5], null, s20, 24, v[2:3]
	s_or_b32 s22, s1, s0
	s_and_b32 s0, s12, exec_lo
	v_add_co_u32 v26, s0, s18, v7
	s_delay_alu instid0(VALU_DEP_1) | instskip(SKIP_1) | instid1(VALU_DEP_1)
	v_add_co_ci_u32_e64 v27, null, s19, 0, s0
	v_add_co_u32 v28, s0, s14, v2
	v_add_co_ci_u32_e64 v29, null, s15, 0, s0
	v_add_co_u32 v30, s0, s14, v7
	s_delay_alu instid0(VALU_DEP_1) | instskip(SKIP_1) | instid1(VALU_DEP_1)
	v_add_co_ci_u32_e64 v31, null, s15, 0, s0
	v_add_co_u32 v32, s0, s18, v2
	v_add_co_ci_u32_e64 v33, null, s19, 0, s0
	v_add_co_u32 v34, s0, s16, v7
	s_cselect_b32 s13, s9, 0
	s_cselect_b32 s12, s8, 0x10000
	v_add_co_ci_u32_e64 v35, null, s17, 0, s0
	s_lshl_b32 s0, s20, 4
	v_add_co_u32 v36, vcc_lo, s16, v4
	v_add_co_u32 v2, s0, s0, v6
	v_add_co_ci_u32_e32 v37, vcc_lo, s17, v5, vcc_lo
	v_add_co_ci_u32_e64 v3, null, 0, 0, s0
	v_add_co_u32 v38, vcc_lo, s14, v4
	v_add_co_ci_u32_e32 v39, vcc_lo, s15, v5, vcc_lo
	v_add_co_u32 v40, vcc_lo, s18, v2
	s_delay_alu instid0(VALU_DEP_4)
	v_add_co_ci_u32_e32 v41, vcc_lo, s19, v3, vcc_lo
	v_add_co_u32 v42, vcc_lo, s18, v4
	v_add_co_ci_u32_e32 v43, vcc_lo, s19, v5, vcc_lo
	v_add_co_u32 v4, vcc_lo, v2, s16
	;; [unrolled: 2-line block ×3, first 2 shown]
	v_add_co_ci_u32_e32 v45, vcc_lo, s15, v3, vcc_lo
	s_delay_alu instid0(VALU_DEP_4) | instskip(NEXT) | instid1(VALU_DEP_4)
	v_add_co_u32 v46, vcc_lo, v4, 4
	v_add_co_ci_u32_e32 v47, vcc_lo, 0, v5, vcc_lo
	s_lshl_b32 s2, s20, 2
	s_mul_i32 s21, s20, 3
	s_lshl_b32 s23, s20, 1
	s_lshl_b32 s16, s20, 5
	s_mov_b64 s[14:15], s[2:3]
	s_branch .LBB63_89
.LBB63_88:                              ;   in Loop: Header=BB63_89 Depth=1
	s_or_b32 exec_lo, exec_lo, s0
	v_add_co_u32 v0, vcc_lo, v0, s2
	v_add_co_ci_u32_e32 v1, vcc_lo, 0, v1, vcc_lo
	v_add_co_u32 v24, vcc_lo, v24, s16
	v_add_co_ci_u32_e32 v25, vcc_lo, 0, v25, vcc_lo
	;; [unrolled: 2-line block ×11, first 2 shown]
	v_cmp_ge_i64_e64 s0, s[14:15], s[8:9]
	v_cmp_lt_u64_e64 s1, 0xffff, s[14:15]
	v_add_co_u32 v44, vcc_lo, v44, s16
	v_add_co_ci_u32_e32 v45, vcc_lo, 0, v45, vcc_lo
	v_add_co_u32 v46, vcc_lo, v46, s16
	v_add_co_ci_u32_e32 v47, vcc_lo, 0, v47, vcc_lo
	s_or_b32 s0, s0, s1
	s_add_u32 s14, s14, s2
	s_addc_u32 s15, s15, 0
	s_and_b32 vcc_lo, exec_lo, s0
	s_cbranch_vccnz .LBB63_185
.LBB63_89:                              ; =>This Inner Loop Header: Depth=1
	v_cmp_gt_i64_e32 vcc_lo, s[8:9], v[0:1]
	v_cmp_gt_u64_e64 s0, 0x10000, v[0:1]
	v_dual_mov_b32 v23, 0 :: v_dual_mov_b32 v22, 0
	v_dual_mov_b32 v3, 0 :: v_dual_mov_b32 v2, 0
	s_delay_alu instid0(VALU_DEP_3) | instskip(NEXT) | instid1(SALU_CYCLE_1)
	s_and_b32 s1, vcc_lo, s0
	s_and_saveexec_b32 s0, s1
	s_cbranch_execz .LBB63_91
; %bb.90:                               ;   in Loop: Header=BB63_89 Depth=1
	v_add_co_u32 v2, vcc_lo, v28, s4
	v_add_co_ci_u32_e32 v3, vcc_lo, s5, v29, vcc_lo
	v_add_co_u32 v4, vcc_lo, v24, s4
	v_add_co_ci_u32_e32 v5, vcc_lo, s5, v25, vcc_lo
	global_load_b64 v[2:3], v[2:3], off offset:-4
	global_load_b64 v[22:23], v[4:5], off offset:-4
.LBB63_91:                              ;   in Loop: Header=BB63_89 Depth=1
	s_or_b32 exec_lo, exec_lo, s0
	v_add_co_u32 v4, vcc_lo, s20, v0
	v_add_co_ci_u32_e32 v5, vcc_lo, 0, v1, vcc_lo
	v_dual_mov_b32 v19, 0 :: v_dual_mov_b32 v20, 0
	v_dual_mov_b32 v21, 0 :: v_dual_mov_b32 v6, 0
	s_delay_alu instid0(VALU_DEP_3) | instskip(SKIP_2) | instid1(VALU_DEP_2)
	v_cmp_gt_i64_e32 vcc_lo, s[8:9], v[4:5]
	v_cmp_gt_u64_e64 s0, 0x10000, v[4:5]
	v_mov_b32_e32 v7, 0
	s_and_b32 s1, vcc_lo, s0
	s_delay_alu instid0(SALU_CYCLE_1)
	s_and_saveexec_b32 s0, s1
	s_cbranch_execz .LBB63_93
; %bb.92:                               ;   in Loop: Header=BB63_89 Depth=1
	v_add_co_u32 v6, vcc_lo, v30, s4
	v_add_co_ci_u32_e32 v7, vcc_lo, s5, v31, vcc_lo
	v_add_co_u32 v8, vcc_lo, v34, s4
	v_add_co_ci_u32_e32 v9, vcc_lo, s5, v35, vcc_lo
	global_load_b64 v[6:7], v[6:7], off
	global_load_b64 v[20:21], v[8:9], off
.LBB63_93:                              ;   in Loop: Header=BB63_89 Depth=1
	s_or_b32 exec_lo, exec_lo, s0
	v_add_co_u32 v8, vcc_lo, s23, v0
	v_add_co_ci_u32_e32 v9, vcc_lo, 0, v1, vcc_lo
	v_dual_mov_b32 v18, 0 :: v_dual_mov_b32 v11, 0
	v_mov_b32_e32 v10, 0
	s_delay_alu instid0(VALU_DEP_3) | instskip(SKIP_1) | instid1(VALU_DEP_1)
	v_cmp_gt_i64_e32 vcc_lo, s[8:9], v[8:9]
	v_cmp_gt_u64_e64 s0, 0x10000, v[8:9]
	s_and_b32 s1, vcc_lo, s0
	s_delay_alu instid0(SALU_CYCLE_1)
	s_and_saveexec_b32 s0, s1
	s_cbranch_execz .LBB63_95
; %bb.94:                               ;   in Loop: Header=BB63_89 Depth=1
	v_add_co_u32 v10, vcc_lo, v44, s4
	v_add_co_ci_u32_e32 v11, vcc_lo, s5, v45, vcc_lo
	v_add_co_u32 v12, vcc_lo, v46, s4
	v_add_co_ci_u32_e32 v13, vcc_lo, s5, v47, vcc_lo
	global_load_b64 v[10:11], v[10:11], off
	global_load_b64 v[18:19], v[12:13], off offset:-4
.LBB63_95:                              ;   in Loop: Header=BB63_89 Depth=1
	s_or_b32 exec_lo, exec_lo, s0
	v_add_co_u32 v12, vcc_lo, s21, v0
	v_add_co_ci_u32_e32 v13, vcc_lo, 0, v1, vcc_lo
	v_dual_mov_b32 v17, 0 :: v_dual_mov_b32 v16, 0
	v_dual_mov_b32 v15, 0 :: v_dual_mov_b32 v14, 0
	s_delay_alu instid0(VALU_DEP_3) | instskip(SKIP_1) | instid1(VALU_DEP_1)
	v_cmp_gt_i64_e32 vcc_lo, s[8:9], v[12:13]
	v_cmp_gt_u64_e64 s0, 0x10000, v[12:13]
	s_and_b32 s1, vcc_lo, s0
	s_delay_alu instid0(SALU_CYCLE_1)
	s_and_saveexec_b32 s0, s1
	s_cbranch_execz .LBB63_97
; %bb.96:                               ;   in Loop: Header=BB63_89 Depth=1
	v_add_co_u32 v14, vcc_lo, v38, s4
	v_add_co_ci_u32_e32 v15, vcc_lo, s5, v39, vcc_lo
	v_add_co_u32 v16, vcc_lo, v36, s4
	v_add_co_ci_u32_e32 v17, vcc_lo, s5, v37, vcc_lo
	global_load_b64 v[14:15], v[14:15], off offset:-4
	global_load_b64 v[16:17], v[16:17], off offset:-4
.LBB63_97:                              ;   in Loop: Header=BB63_89 Depth=1
	s_or_b32 exec_lo, exec_lo, s0
	s_waitcnt vmcnt(0)
	v_cmp_gt_f32_e32 vcc_lo, 0, v22
	v_cndmask_b32_e64 v50, v22, -v22, vcc_lo
	v_cmp_gt_f32_e32 vcc_lo, 0, v23
	v_cndmask_b32_e64 v51, v23, -v23, vcc_lo
	s_and_b32 vcc_lo, exec_lo, s22
	s_delay_alu instid0(VALU_DEP_1)
	v_cmp_ge_f32_e64 s0, v50, v51
	s_cbranch_vccz .LBB63_107
; %bb.98:                               ;   in Loop: Header=BB63_89 Depth=1
                                        ; implicit-def: $vgpr48
                                        ; implicit-def: $vgpr52
	s_delay_alu instid0(VALU_DEP_1) | instskip(NEXT) | instid1(SALU_CYCLE_1)
	s_and_saveexec_b32 s1, s0
	s_xor_b32 s3, exec_lo, s1
	s_cbranch_execz .LBB63_104
; %bb.99:                               ;   in Loop: Header=BB63_89 Depth=1
	v_cmp_neq_f32_e32 vcc_lo, 0, v22
	v_cmp_neq_f32_e64 s1, 0, v23
                                        ; implicit-def: $vgpr48
                                        ; implicit-def: $vgpr52
	s_delay_alu instid0(VALU_DEP_1) | instskip(NEXT) | instid1(SALU_CYCLE_1)
	s_or_b32 s1, s1, vcc_lo
	s_and_saveexec_b32 s17, s1
	s_delay_alu instid0(SALU_CYCLE_1)
	s_xor_b32 s1, exec_lo, s17
	s_cbranch_execz .LBB63_101
; %bb.100:                              ;   in Loop: Header=BB63_89 Depth=1
	v_div_scale_f32 v48, null, v22, v22, v23
	v_div_scale_f32 v53, vcc_lo, v23, v22, v23
	s_delay_alu instid0(VALU_DEP_2) | instskip(SKIP_2) | instid1(VALU_DEP_1)
	v_rcp_f32_e32 v49, v48
	s_waitcnt_depctr 0xfff
	v_fma_f32 v52, -v48, v49, 1.0
	v_fmac_f32_e32 v49, v52, v49
	s_delay_alu instid0(VALU_DEP_1) | instskip(NEXT) | instid1(VALU_DEP_1)
	v_mul_f32_e32 v52, v53, v49
	v_fma_f32 v54, -v48, v52, v53
	s_delay_alu instid0(VALU_DEP_1) | instskip(NEXT) | instid1(VALU_DEP_1)
	v_fmac_f32_e32 v52, v54, v49
	v_fma_f32 v48, -v48, v52, v53
	s_delay_alu instid0(VALU_DEP_1) | instskip(NEXT) | instid1(VALU_DEP_1)
	v_div_fmas_f32 v48, v48, v49, v52
	v_div_fixup_f32 v48, v48, v22, v23
	s_delay_alu instid0(VALU_DEP_1) | instskip(NEXT) | instid1(VALU_DEP_1)
	v_fma_f32 v49, v23, v48, v22
	v_div_scale_f32 v52, null, v49, v49, 1.0
	v_div_scale_f32 v55, vcc_lo, 1.0, v49, 1.0
	s_delay_alu instid0(VALU_DEP_2) | instskip(SKIP_2) | instid1(VALU_DEP_1)
	v_rcp_f32_e32 v53, v52
	s_waitcnt_depctr 0xfff
	v_fma_f32 v54, -v52, v53, 1.0
	v_fmac_f32_e32 v53, v54, v53
	s_delay_alu instid0(VALU_DEP_1) | instskip(NEXT) | instid1(VALU_DEP_1)
	v_mul_f32_e32 v54, v55, v53
	v_fma_f32 v56, -v52, v54, v55
	s_delay_alu instid0(VALU_DEP_1) | instskip(NEXT) | instid1(VALU_DEP_1)
	v_fmac_f32_e32 v54, v56, v53
	v_fma_f32 v52, -v52, v54, v55
	s_delay_alu instid0(VALU_DEP_1) | instskip(SKIP_2) | instid1(VALU_DEP_3)
	v_div_fmas_f32 v52, v52, v53, v54
	v_fma_f32 v53, v48, s11, s10
	v_fma_f32 v48, -v48, s10, s11
	v_div_fixup_f32 v49, v52, v49, 1.0
	s_delay_alu instid0(VALU_DEP_1) | instskip(NEXT) | instid1(VALU_DEP_3)
	v_mul_f32_e32 v52, v53, v49
	v_mul_f32_e32 v48, v48, v49
.LBB63_101:                             ;   in Loop: Header=BB63_89 Depth=1
	s_and_not1_saveexec_b32 s17, s1
	s_cbranch_execz .LBB63_103
; %bb.102:                              ;   in Loop: Header=BB63_89 Depth=1
	v_div_scale_f32 v48, null, v50, v50, s10
	v_div_scale_f32 v49, null, v51, v51, s11
	v_div_scale_f32 v56, vcc_lo, s10, v50, s10
	s_delay_alu instid0(VALU_DEP_3) | instskip(NEXT) | instid1(VALU_DEP_2)
	v_rcp_f32_e32 v52, v48
	v_rcp_f32_e32 v53, v49
	s_waitcnt_depctr 0xfff
	v_fma_f32 v54, -v48, v52, 1.0
	v_fma_f32 v55, -v49, v53, 1.0
	s_delay_alu instid0(VALU_DEP_1) | instskip(SKIP_1) | instid1(VALU_DEP_2)
	v_dual_fmac_f32 v52, v54, v52 :: v_dual_fmac_f32 v53, v55, v53
	v_div_scale_f32 v54, s1, s11, v51, s11
	v_mul_f32_e32 v55, v56, v52
	s_delay_alu instid0(VALU_DEP_2) | instskip(NEXT) | instid1(VALU_DEP_2)
	v_mul_f32_e32 v57, v54, v53
	v_fma_f32 v58, -v48, v55, v56
	s_delay_alu instid0(VALU_DEP_2) | instskip(NEXT) | instid1(VALU_DEP_2)
	v_fma_f32 v59, -v49, v57, v54
	v_fmac_f32_e32 v55, v58, v52
	s_delay_alu instid0(VALU_DEP_2) | instskip(NEXT) | instid1(VALU_DEP_2)
	v_fmac_f32_e32 v57, v59, v53
	v_fma_f32 v48, -v48, v55, v56
	s_delay_alu instid0(VALU_DEP_2) | instskip(NEXT) | instid1(VALU_DEP_2)
	v_fma_f32 v49, -v49, v57, v54
	v_div_fmas_f32 v48, v48, v52, v55
	s_mov_b32 vcc_lo, s1
	s_delay_alu instid0(VALU_DEP_2) | instskip(NEXT) | instid1(VALU_DEP_2)
	v_div_fmas_f32 v49, v49, v53, v57
	v_div_fixup_f32 v52, v48, v50, s10
	s_delay_alu instid0(VALU_DEP_2)
	v_div_fixup_f32 v48, v49, v51, s11
.LBB63_103:                             ;   in Loop: Header=BB63_89 Depth=1
	s_or_b32 exec_lo, exec_lo, s17
.LBB63_104:                             ;   in Loop: Header=BB63_89 Depth=1
	s_and_not1_saveexec_b32 s1, s3
	s_cbranch_execz .LBB63_106
; %bb.105:                              ;   in Loop: Header=BB63_89 Depth=1
	v_div_scale_f32 v48, null, v23, v23, v22
	v_div_scale_f32 v53, vcc_lo, v22, v23, v22
	s_delay_alu instid0(VALU_DEP_2) | instskip(SKIP_2) | instid1(VALU_DEP_1)
	v_rcp_f32_e32 v49, v48
	s_waitcnt_depctr 0xfff
	v_fma_f32 v52, -v48, v49, 1.0
	v_fmac_f32_e32 v49, v52, v49
	s_delay_alu instid0(VALU_DEP_1) | instskip(NEXT) | instid1(VALU_DEP_1)
	v_mul_f32_e32 v52, v53, v49
	v_fma_f32 v54, -v48, v52, v53
	s_delay_alu instid0(VALU_DEP_1) | instskip(NEXT) | instid1(VALU_DEP_1)
	v_fmac_f32_e32 v52, v54, v49
	v_fma_f32 v48, -v48, v52, v53
	s_delay_alu instid0(VALU_DEP_1) | instskip(NEXT) | instid1(VALU_DEP_1)
	v_div_fmas_f32 v48, v48, v49, v52
	v_div_fixup_f32 v48, v48, v23, v22
	s_delay_alu instid0(VALU_DEP_1) | instskip(NEXT) | instid1(VALU_DEP_1)
	v_fma_f32 v49, v22, v48, v23
	v_div_scale_f32 v52, null, v49, v49, 1.0
	v_div_scale_f32 v55, vcc_lo, 1.0, v49, 1.0
	s_delay_alu instid0(VALU_DEP_2) | instskip(SKIP_2) | instid1(VALU_DEP_1)
	v_rcp_f32_e32 v53, v52
	s_waitcnt_depctr 0xfff
	v_fma_f32 v54, -v52, v53, 1.0
	v_fmac_f32_e32 v53, v54, v53
	s_delay_alu instid0(VALU_DEP_1) | instskip(NEXT) | instid1(VALU_DEP_1)
	v_mul_f32_e32 v54, v55, v53
	v_fma_f32 v56, -v52, v54, v55
	s_delay_alu instid0(VALU_DEP_1) | instskip(NEXT) | instid1(VALU_DEP_1)
	v_fmac_f32_e32 v54, v56, v53
	v_fma_f32 v52, -v52, v54, v55
	s_delay_alu instid0(VALU_DEP_1) | instskip(SKIP_2) | instid1(VALU_DEP_3)
	v_div_fmas_f32 v52, v52, v53, v54
	v_fma_f32 v53, v48, s10, s11
	v_fma_f32 v48, v48, s11, -s10
	v_div_fixup_f32 v49, v52, v49, 1.0
	s_delay_alu instid0(VALU_DEP_1) | instskip(NEXT) | instid1(VALU_DEP_3)
	v_mul_f32_e32 v52, v53, v49
	v_mul_f32_e32 v48, v48, v49
.LBB63_106:                             ;   in Loop: Header=BB63_89 Depth=1
	s_or_b32 exec_lo, exec_lo, s1
	s_delay_alu instid0(VALU_DEP_1) | instskip(SKIP_1) | instid1(VALU_DEP_2)
	v_mul_f32_e32 v49, s7, v48
	v_mul_f32_e32 v48, s6, v48
	v_fma_f32 v49, v52, s6, -v49
	s_delay_alu instid0(VALU_DEP_2)
	v_fmac_f32_e32 v48, s7, v52
	s_branch .LBB63_117
.LBB63_107:                             ;   in Loop: Header=BB63_89 Depth=1
                                        ; implicit-def: $vgpr48
                                        ; implicit-def: $vgpr49
	s_cbranch_execz .LBB63_117
; %bb.108:                              ;   in Loop: Header=BB63_89 Depth=1
                                        ; implicit-def: $vgpr48
                                        ; implicit-def: $vgpr49
	s_delay_alu instid0(VALU_DEP_1) | instskip(NEXT) | instid1(SALU_CYCLE_1)
	s_and_saveexec_b32 s1, s0
	s_xor_b32 s1, exec_lo, s1
	s_cbranch_execz .LBB63_114
; %bb.109:                              ;   in Loop: Header=BB63_89 Depth=1
	v_cmp_neq_f32_e32 vcc_lo, 0, v22
	v_cmp_neq_f32_e64 s0, 0, v23
                                        ; implicit-def: $vgpr48
                                        ; implicit-def: $vgpr49
	s_delay_alu instid0(VALU_DEP_1) | instskip(NEXT) | instid1(SALU_CYCLE_1)
	s_or_b32 s0, s0, vcc_lo
	s_and_saveexec_b32 s3, s0
	s_delay_alu instid0(SALU_CYCLE_1)
	s_xor_b32 s0, exec_lo, s3
	s_cbranch_execz .LBB63_111
; %bb.110:                              ;   in Loop: Header=BB63_89 Depth=1
	v_div_scale_f32 v48, null, v22, v22, v23
	v_div_scale_f32 v51, vcc_lo, v23, v22, v23
	s_delay_alu instid0(VALU_DEP_2) | instskip(SKIP_2) | instid1(VALU_DEP_1)
	v_rcp_f32_e32 v49, v48
	s_waitcnt_depctr 0xfff
	v_fma_f32 v50, -v48, v49, 1.0
	v_fmac_f32_e32 v49, v50, v49
	s_delay_alu instid0(VALU_DEP_1) | instskip(NEXT) | instid1(VALU_DEP_1)
	v_mul_f32_e32 v50, v51, v49
	v_fma_f32 v52, -v48, v50, v51
	s_delay_alu instid0(VALU_DEP_1) | instskip(NEXT) | instid1(VALU_DEP_1)
	v_fmac_f32_e32 v50, v52, v49
	v_fma_f32 v48, -v48, v50, v51
	s_delay_alu instid0(VALU_DEP_1) | instskip(NEXT) | instid1(VALU_DEP_1)
	v_div_fmas_f32 v48, v48, v49, v50
	v_div_fixup_f32 v48, v48, v22, v23
	s_delay_alu instid0(VALU_DEP_1) | instskip(NEXT) | instid1(VALU_DEP_1)
	v_fmac_f32_e32 v22, v23, v48
	v_div_scale_f32 v23, null, v22, v22, 1.0
	v_div_scale_f32 v51, vcc_lo, 1.0, v22, 1.0
	s_delay_alu instid0(VALU_DEP_2) | instskip(SKIP_2) | instid1(VALU_DEP_1)
	v_rcp_f32_e32 v49, v23
	s_waitcnt_depctr 0xfff
	v_fma_f32 v50, -v23, v49, 1.0
	v_fmac_f32_e32 v49, v50, v49
	s_delay_alu instid0(VALU_DEP_1) | instskip(NEXT) | instid1(VALU_DEP_1)
	v_mul_f32_e32 v50, v51, v49
	v_fma_f32 v52, -v23, v50, v51
	s_delay_alu instid0(VALU_DEP_1) | instskip(NEXT) | instid1(VALU_DEP_1)
	v_fmac_f32_e32 v50, v52, v49
	v_fma_f32 v23, -v23, v50, v51
                                        ; implicit-def: $vgpr51
	s_delay_alu instid0(VALU_DEP_1) | instskip(SKIP_1) | instid1(VALU_DEP_2)
	v_div_fmas_f32 v23, v23, v49, v50
	v_fma_f32 v49, v48, s11, s10
                                        ; implicit-def: $vgpr50
	v_div_fixup_f32 v22, v23, v22, 1.0
	v_fma_f32 v23, -v48, s10, s11
	s_delay_alu instid0(VALU_DEP_2) | instskip(NEXT) | instid1(VALU_DEP_2)
	v_mul_f32_e32 v49, v49, v22
	v_mul_f32_e32 v48, v23, v22
.LBB63_111:                             ;   in Loop: Header=BB63_89 Depth=1
	s_and_not1_saveexec_b32 s3, s0
	s_cbranch_execz .LBB63_113
; %bb.112:                              ;   in Loop: Header=BB63_89 Depth=1
	v_div_scale_f32 v22, null, v50, v50, s10
	v_div_scale_f32 v23, null, v51, v51, s11
	v_div_scale_f32 v54, vcc_lo, s10, v50, s10
	s_delay_alu instid0(VALU_DEP_3) | instskip(NEXT) | instid1(VALU_DEP_2)
	v_rcp_f32_e32 v48, v22
	v_rcp_f32_e32 v49, v23
	s_waitcnt_depctr 0xfff
	v_fma_f32 v52, -v22, v48, 1.0
	v_fma_f32 v53, -v23, v49, 1.0
	s_delay_alu instid0(VALU_DEP_1) | instskip(SKIP_1) | instid1(VALU_DEP_2)
	v_dual_fmac_f32 v48, v52, v48 :: v_dual_fmac_f32 v49, v53, v49
	v_div_scale_f32 v52, s0, s11, v51, s11
	v_mul_f32_e32 v53, v54, v48
	s_delay_alu instid0(VALU_DEP_2) | instskip(NEXT) | instid1(VALU_DEP_2)
	v_mul_f32_e32 v55, v52, v49
	v_fma_f32 v56, -v22, v53, v54
	s_delay_alu instid0(VALU_DEP_2) | instskip(NEXT) | instid1(VALU_DEP_2)
	v_fma_f32 v57, -v23, v55, v52
	v_fmac_f32_e32 v53, v56, v48
	s_delay_alu instid0(VALU_DEP_2) | instskip(NEXT) | instid1(VALU_DEP_2)
	v_fmac_f32_e32 v55, v57, v49
	v_fma_f32 v22, -v22, v53, v54
	s_delay_alu instid0(VALU_DEP_2) | instskip(NEXT) | instid1(VALU_DEP_2)
	v_fma_f32 v23, -v23, v55, v52
	v_div_fmas_f32 v22, v22, v48, v53
	s_mov_b32 vcc_lo, s0
	s_delay_alu instid0(VALU_DEP_2) | instskip(NEXT) | instid1(VALU_DEP_2)
	v_div_fmas_f32 v23, v23, v49, v55
	v_div_fixup_f32 v49, v22, v50, s10
	s_delay_alu instid0(VALU_DEP_2)
	v_div_fixup_f32 v48, v23, v51, s11
.LBB63_113:                             ;   in Loop: Header=BB63_89 Depth=1
	s_or_b32 exec_lo, exec_lo, s3
                                        ; implicit-def: $vgpr23
.LBB63_114:                             ;   in Loop: Header=BB63_89 Depth=1
	s_and_not1_saveexec_b32 s0, s1
	s_cbranch_execz .LBB63_116
; %bb.115:                              ;   in Loop: Header=BB63_89 Depth=1
	v_div_scale_f32 v48, null, v23, v23, v22
	v_div_scale_f32 v51, vcc_lo, v22, v23, v22
	s_delay_alu instid0(VALU_DEP_2) | instskip(SKIP_2) | instid1(VALU_DEP_1)
	v_rcp_f32_e32 v49, v48
	s_waitcnt_depctr 0xfff
	v_fma_f32 v50, -v48, v49, 1.0
	v_fmac_f32_e32 v49, v50, v49
	s_delay_alu instid0(VALU_DEP_1) | instskip(NEXT) | instid1(VALU_DEP_1)
	v_mul_f32_e32 v50, v51, v49
	v_fma_f32 v52, -v48, v50, v51
	s_delay_alu instid0(VALU_DEP_1) | instskip(NEXT) | instid1(VALU_DEP_1)
	v_fmac_f32_e32 v50, v52, v49
	v_fma_f32 v48, -v48, v50, v51
	s_delay_alu instid0(VALU_DEP_1) | instskip(NEXT) | instid1(VALU_DEP_1)
	v_div_fmas_f32 v48, v48, v49, v50
	v_div_fixup_f32 v48, v48, v23, v22
	s_delay_alu instid0(VALU_DEP_1) | instskip(NEXT) | instid1(VALU_DEP_1)
	v_fmac_f32_e32 v23, v22, v48
	v_div_scale_f32 v22, null, v23, v23, 1.0
	v_div_scale_f32 v51, vcc_lo, 1.0, v23, 1.0
	s_delay_alu instid0(VALU_DEP_2) | instskip(SKIP_2) | instid1(VALU_DEP_1)
	v_rcp_f32_e32 v49, v22
	s_waitcnt_depctr 0xfff
	v_fma_f32 v50, -v22, v49, 1.0
	v_fmac_f32_e32 v49, v50, v49
	s_delay_alu instid0(VALU_DEP_1) | instskip(NEXT) | instid1(VALU_DEP_1)
	v_mul_f32_e32 v50, v51, v49
	v_fma_f32 v52, -v22, v50, v51
	s_delay_alu instid0(VALU_DEP_1) | instskip(NEXT) | instid1(VALU_DEP_1)
	v_fmac_f32_e32 v50, v52, v49
	v_fma_f32 v22, -v22, v50, v51
	s_delay_alu instid0(VALU_DEP_1) | instskip(SKIP_1) | instid1(VALU_DEP_2)
	v_div_fmas_f32 v22, v22, v49, v50
	v_fma_f32 v49, v48, s10, s11
	v_div_fixup_f32 v22, v22, v23, 1.0
	v_fma_f32 v23, v48, s11, -s10
	s_delay_alu instid0(VALU_DEP_2) | instskip(NEXT) | instid1(VALU_DEP_2)
	v_mul_f32_e32 v49, v49, v22
	v_mul_f32_e32 v48, v23, v22
.LBB63_116:                             ;   in Loop: Header=BB63_89 Depth=1
	s_or_b32 exec_lo, exec_lo, s0
.LBB63_117:                             ;   in Loop: Header=BB63_89 Depth=1
	v_cmp_gt_f32_e32 vcc_lo, 0, v20
	v_cndmask_b32_e64 v50, v20, -v20, vcc_lo
	v_cmp_gt_f32_e32 vcc_lo, 0, v21
	v_cndmask_b32_e64 v51, v21, -v21, vcc_lo
	s_and_not1_b32 vcc_lo, exec_lo, s22
	s_delay_alu instid0(VALU_DEP_1)
	v_cmp_ge_f32_e64 s0, v50, v51
	s_cbranch_vccnz .LBB63_127
; %bb.118:                              ;   in Loop: Header=BB63_89 Depth=1
                                        ; implicit-def: $vgpr22
                                        ; implicit-def: $vgpr52
	s_delay_alu instid0(VALU_DEP_1) | instskip(NEXT) | instid1(SALU_CYCLE_1)
	s_and_saveexec_b32 s1, s0
	s_xor_b32 s3, exec_lo, s1
	s_cbranch_execz .LBB63_124
; %bb.119:                              ;   in Loop: Header=BB63_89 Depth=1
	v_cmp_neq_f32_e32 vcc_lo, 0, v20
	v_cmp_neq_f32_e64 s1, 0, v21
                                        ; implicit-def: $vgpr22
                                        ; implicit-def: $vgpr52
	s_delay_alu instid0(VALU_DEP_1) | instskip(NEXT) | instid1(SALU_CYCLE_1)
	s_or_b32 s1, s1, vcc_lo
	s_and_saveexec_b32 s17, s1
	s_delay_alu instid0(SALU_CYCLE_1)
	s_xor_b32 s1, exec_lo, s17
	s_cbranch_execz .LBB63_121
; %bb.120:                              ;   in Loop: Header=BB63_89 Depth=1
	v_div_scale_f32 v22, null, v20, v20, v21
	v_div_scale_f32 v53, vcc_lo, v21, v20, v21
	s_delay_alu instid0(VALU_DEP_2) | instskip(SKIP_2) | instid1(VALU_DEP_1)
	v_rcp_f32_e32 v23, v22
	s_waitcnt_depctr 0xfff
	v_fma_f32 v52, -v22, v23, 1.0
	v_fmac_f32_e32 v23, v52, v23
	s_delay_alu instid0(VALU_DEP_1) | instskip(NEXT) | instid1(VALU_DEP_1)
	v_mul_f32_e32 v52, v53, v23
	v_fma_f32 v54, -v22, v52, v53
	s_delay_alu instid0(VALU_DEP_1) | instskip(NEXT) | instid1(VALU_DEP_1)
	v_fmac_f32_e32 v52, v54, v23
	v_fma_f32 v22, -v22, v52, v53
	s_delay_alu instid0(VALU_DEP_1) | instskip(NEXT) | instid1(VALU_DEP_1)
	v_div_fmas_f32 v22, v22, v23, v52
	v_div_fixup_f32 v22, v22, v20, v21
	s_delay_alu instid0(VALU_DEP_1) | instskip(NEXT) | instid1(VALU_DEP_1)
	v_fma_f32 v23, v21, v22, v20
	v_div_scale_f32 v52, null, v23, v23, 1.0
	v_div_scale_f32 v55, vcc_lo, 1.0, v23, 1.0
	s_delay_alu instid0(VALU_DEP_2) | instskip(SKIP_2) | instid1(VALU_DEP_1)
	v_rcp_f32_e32 v53, v52
	s_waitcnt_depctr 0xfff
	v_fma_f32 v54, -v52, v53, 1.0
	v_fmac_f32_e32 v53, v54, v53
	s_delay_alu instid0(VALU_DEP_1) | instskip(NEXT) | instid1(VALU_DEP_1)
	v_mul_f32_e32 v54, v55, v53
	v_fma_f32 v56, -v52, v54, v55
	s_delay_alu instid0(VALU_DEP_1) | instskip(NEXT) | instid1(VALU_DEP_1)
	v_fmac_f32_e32 v54, v56, v53
	v_fma_f32 v52, -v52, v54, v55
	s_delay_alu instid0(VALU_DEP_1) | instskip(SKIP_2) | instid1(VALU_DEP_3)
	v_div_fmas_f32 v52, v52, v53, v54
	v_fma_f32 v53, v22, s11, s10
	v_fma_f32 v22, -v22, s10, s11
	v_div_fixup_f32 v23, v52, v23, 1.0
	s_delay_alu instid0(VALU_DEP_1) | instskip(NEXT) | instid1(VALU_DEP_3)
	v_mul_f32_e32 v52, v53, v23
	v_mul_f32_e32 v22, v22, v23
.LBB63_121:                             ;   in Loop: Header=BB63_89 Depth=1
	s_and_not1_saveexec_b32 s17, s1
	s_cbranch_execz .LBB63_123
; %bb.122:                              ;   in Loop: Header=BB63_89 Depth=1
	v_div_scale_f32 v22, null, v50, v50, s10
	v_div_scale_f32 v23, null, v51, v51, s11
	v_div_scale_f32 v56, vcc_lo, s10, v50, s10
	s_delay_alu instid0(VALU_DEP_3) | instskip(NEXT) | instid1(VALU_DEP_2)
	v_rcp_f32_e32 v52, v22
	v_rcp_f32_e32 v53, v23
	s_waitcnt_depctr 0xfff
	v_fma_f32 v54, -v22, v52, 1.0
	v_fma_f32 v55, -v23, v53, 1.0
	s_delay_alu instid0(VALU_DEP_1) | instskip(SKIP_1) | instid1(VALU_DEP_2)
	v_dual_fmac_f32 v52, v54, v52 :: v_dual_fmac_f32 v53, v55, v53
	v_div_scale_f32 v54, s1, s11, v51, s11
	v_mul_f32_e32 v55, v56, v52
	s_delay_alu instid0(VALU_DEP_2) | instskip(NEXT) | instid1(VALU_DEP_2)
	v_mul_f32_e32 v57, v54, v53
	v_fma_f32 v58, -v22, v55, v56
	s_delay_alu instid0(VALU_DEP_2) | instskip(NEXT) | instid1(VALU_DEP_2)
	v_fma_f32 v59, -v23, v57, v54
	v_fmac_f32_e32 v55, v58, v52
	s_delay_alu instid0(VALU_DEP_2) | instskip(NEXT) | instid1(VALU_DEP_2)
	v_fmac_f32_e32 v57, v59, v53
	v_fma_f32 v22, -v22, v55, v56
	s_delay_alu instid0(VALU_DEP_2) | instskip(NEXT) | instid1(VALU_DEP_2)
	v_fma_f32 v23, -v23, v57, v54
	v_div_fmas_f32 v22, v22, v52, v55
	s_mov_b32 vcc_lo, s1
	s_delay_alu instid0(VALU_DEP_2) | instskip(NEXT) | instid1(VALU_DEP_2)
	v_div_fmas_f32 v23, v23, v53, v57
	v_div_fixup_f32 v52, v22, v50, s10
	s_delay_alu instid0(VALU_DEP_2)
	v_div_fixup_f32 v22, v23, v51, s11
.LBB63_123:                             ;   in Loop: Header=BB63_89 Depth=1
	s_or_b32 exec_lo, exec_lo, s17
.LBB63_124:                             ;   in Loop: Header=BB63_89 Depth=1
	s_and_not1_saveexec_b32 s1, s3
	s_cbranch_execz .LBB63_126
; %bb.125:                              ;   in Loop: Header=BB63_89 Depth=1
	v_div_scale_f32 v22, null, v21, v21, v20
	v_div_scale_f32 v53, vcc_lo, v20, v21, v20
	s_delay_alu instid0(VALU_DEP_2) | instskip(SKIP_2) | instid1(VALU_DEP_1)
	v_rcp_f32_e32 v23, v22
	s_waitcnt_depctr 0xfff
	v_fma_f32 v52, -v22, v23, 1.0
	v_fmac_f32_e32 v23, v52, v23
	s_delay_alu instid0(VALU_DEP_1) | instskip(NEXT) | instid1(VALU_DEP_1)
	v_mul_f32_e32 v52, v53, v23
	v_fma_f32 v54, -v22, v52, v53
	s_delay_alu instid0(VALU_DEP_1) | instskip(NEXT) | instid1(VALU_DEP_1)
	v_fmac_f32_e32 v52, v54, v23
	v_fma_f32 v22, -v22, v52, v53
	s_delay_alu instid0(VALU_DEP_1) | instskip(NEXT) | instid1(VALU_DEP_1)
	v_div_fmas_f32 v22, v22, v23, v52
	v_div_fixup_f32 v22, v22, v21, v20
	s_delay_alu instid0(VALU_DEP_1) | instskip(NEXT) | instid1(VALU_DEP_1)
	v_fma_f32 v23, v20, v22, v21
	v_div_scale_f32 v52, null, v23, v23, 1.0
	v_div_scale_f32 v55, vcc_lo, 1.0, v23, 1.0
	s_delay_alu instid0(VALU_DEP_2) | instskip(SKIP_2) | instid1(VALU_DEP_1)
	v_rcp_f32_e32 v53, v52
	s_waitcnt_depctr 0xfff
	v_fma_f32 v54, -v52, v53, 1.0
	v_fmac_f32_e32 v53, v54, v53
	s_delay_alu instid0(VALU_DEP_1) | instskip(NEXT) | instid1(VALU_DEP_1)
	v_mul_f32_e32 v54, v55, v53
	v_fma_f32 v56, -v52, v54, v55
	s_delay_alu instid0(VALU_DEP_1) | instskip(NEXT) | instid1(VALU_DEP_1)
	v_fmac_f32_e32 v54, v56, v53
	v_fma_f32 v52, -v52, v54, v55
	s_delay_alu instid0(VALU_DEP_1) | instskip(SKIP_2) | instid1(VALU_DEP_3)
	v_div_fmas_f32 v52, v52, v53, v54
	v_fma_f32 v53, v22, s10, s11
	v_fma_f32 v22, v22, s11, -s10
	v_div_fixup_f32 v23, v52, v23, 1.0
	s_delay_alu instid0(VALU_DEP_1) | instskip(NEXT) | instid1(VALU_DEP_3)
	v_mul_f32_e32 v52, v53, v23
	v_mul_f32_e32 v22, v22, v23
.LBB63_126:                             ;   in Loop: Header=BB63_89 Depth=1
	s_or_b32 exec_lo, exec_lo, s1
	s_delay_alu instid0(VALU_DEP_1) | instskip(SKIP_1) | instid1(VALU_DEP_1)
	v_mul_f32_e32 v23, s7, v22
	v_mul_f32_e32 v22, s6, v22
	v_fmac_f32_e32 v22, s7, v52
	s_delay_alu instid0(VALU_DEP_3)
	v_fma_f32 v23, v52, s6, -v23
	s_branch .LBB63_137
.LBB63_127:                             ;   in Loop: Header=BB63_89 Depth=1
                                        ; implicit-def: $vgpr22
                                        ; implicit-def: $vgpr23
	s_cbranch_execz .LBB63_137
; %bb.128:                              ;   in Loop: Header=BB63_89 Depth=1
                                        ; implicit-def: $vgpr22
                                        ; implicit-def: $vgpr23
	s_delay_alu instid0(VALU_DEP_1) | instskip(NEXT) | instid1(SALU_CYCLE_1)
	s_and_saveexec_b32 s1, s0
	s_xor_b32 s1, exec_lo, s1
	s_cbranch_execz .LBB63_134
; %bb.129:                              ;   in Loop: Header=BB63_89 Depth=1
	v_cmp_neq_f32_e32 vcc_lo, 0, v20
	v_cmp_neq_f32_e64 s0, 0, v21
                                        ; implicit-def: $vgpr22
                                        ; implicit-def: $vgpr23
	s_delay_alu instid0(VALU_DEP_1) | instskip(NEXT) | instid1(SALU_CYCLE_1)
	s_or_b32 s0, s0, vcc_lo
	s_and_saveexec_b32 s3, s0
	s_delay_alu instid0(SALU_CYCLE_1)
	s_xor_b32 s0, exec_lo, s3
	s_cbranch_execz .LBB63_131
; %bb.130:                              ;   in Loop: Header=BB63_89 Depth=1
	v_div_scale_f32 v22, null, v20, v20, v21
	v_div_scale_f32 v51, vcc_lo, v21, v20, v21
	s_delay_alu instid0(VALU_DEP_2) | instskip(SKIP_2) | instid1(VALU_DEP_1)
	v_rcp_f32_e32 v23, v22
	s_waitcnt_depctr 0xfff
	v_fma_f32 v50, -v22, v23, 1.0
	v_fmac_f32_e32 v23, v50, v23
	s_delay_alu instid0(VALU_DEP_1) | instskip(NEXT) | instid1(VALU_DEP_1)
	v_mul_f32_e32 v50, v51, v23
	v_fma_f32 v52, -v22, v50, v51
	s_delay_alu instid0(VALU_DEP_1) | instskip(NEXT) | instid1(VALU_DEP_1)
	v_fmac_f32_e32 v50, v52, v23
	v_fma_f32 v22, -v22, v50, v51
	s_delay_alu instid0(VALU_DEP_1) | instskip(NEXT) | instid1(VALU_DEP_1)
	v_div_fmas_f32 v22, v22, v23, v50
	v_div_fixup_f32 v22, v22, v20, v21
	s_delay_alu instid0(VALU_DEP_1) | instskip(NEXT) | instid1(VALU_DEP_1)
	v_fmac_f32_e32 v20, v21, v22
	v_div_scale_f32 v21, null, v20, v20, 1.0
	v_div_scale_f32 v51, vcc_lo, 1.0, v20, 1.0
	s_delay_alu instid0(VALU_DEP_2) | instskip(SKIP_2) | instid1(VALU_DEP_1)
	v_rcp_f32_e32 v23, v21
	s_waitcnt_depctr 0xfff
	v_fma_f32 v50, -v21, v23, 1.0
	v_fmac_f32_e32 v23, v50, v23
	s_delay_alu instid0(VALU_DEP_1) | instskip(NEXT) | instid1(VALU_DEP_1)
	v_mul_f32_e32 v50, v51, v23
	v_fma_f32 v52, -v21, v50, v51
	s_delay_alu instid0(VALU_DEP_1) | instskip(NEXT) | instid1(VALU_DEP_1)
	v_fmac_f32_e32 v50, v52, v23
	v_fma_f32 v21, -v21, v50, v51
                                        ; implicit-def: $vgpr51
	s_delay_alu instid0(VALU_DEP_1) | instskip(SKIP_1) | instid1(VALU_DEP_2)
	v_div_fmas_f32 v21, v21, v23, v50
	v_fma_f32 v23, v22, s11, s10
                                        ; implicit-def: $vgpr50
	v_div_fixup_f32 v20, v21, v20, 1.0
	v_fma_f32 v21, -v22, s10, s11
	s_delay_alu instid0(VALU_DEP_2) | instskip(NEXT) | instid1(VALU_DEP_2)
	v_mul_f32_e32 v23, v23, v20
	v_mul_f32_e32 v22, v21, v20
.LBB63_131:                             ;   in Loop: Header=BB63_89 Depth=1
	s_and_not1_saveexec_b32 s3, s0
	s_cbranch_execz .LBB63_133
; %bb.132:                              ;   in Loop: Header=BB63_89 Depth=1
	v_div_scale_f32 v20, null, v50, v50, s10
	v_div_scale_f32 v21, null, v51, v51, s11
	v_div_scale_f32 v54, vcc_lo, s10, v50, s10
	s_delay_alu instid0(VALU_DEP_3) | instskip(NEXT) | instid1(VALU_DEP_2)
	v_rcp_f32_e32 v22, v20
	v_rcp_f32_e32 v23, v21
	s_waitcnt_depctr 0xfff
	v_fma_f32 v52, -v20, v22, 1.0
	v_fma_f32 v53, -v21, v23, 1.0
	s_delay_alu instid0(VALU_DEP_1) | instskip(SKIP_1) | instid1(VALU_DEP_2)
	v_dual_fmac_f32 v22, v52, v22 :: v_dual_fmac_f32 v23, v53, v23
	v_div_scale_f32 v52, s0, s11, v51, s11
	v_mul_f32_e32 v53, v54, v22
	s_delay_alu instid0(VALU_DEP_2) | instskip(NEXT) | instid1(VALU_DEP_2)
	v_mul_f32_e32 v55, v52, v23
	v_fma_f32 v56, -v20, v53, v54
	s_delay_alu instid0(VALU_DEP_2) | instskip(NEXT) | instid1(VALU_DEP_2)
	v_fma_f32 v57, -v21, v55, v52
	v_fmac_f32_e32 v53, v56, v22
	s_delay_alu instid0(VALU_DEP_2) | instskip(NEXT) | instid1(VALU_DEP_2)
	v_fmac_f32_e32 v55, v57, v23
	v_fma_f32 v20, -v20, v53, v54
	s_delay_alu instid0(VALU_DEP_2) | instskip(NEXT) | instid1(VALU_DEP_2)
	v_fma_f32 v21, -v21, v55, v52
	v_div_fmas_f32 v20, v20, v22, v53
	s_mov_b32 vcc_lo, s0
	s_delay_alu instid0(VALU_DEP_2) | instskip(NEXT) | instid1(VALU_DEP_2)
	v_div_fmas_f32 v21, v21, v23, v55
	v_div_fixup_f32 v23, v20, v50, s10
	s_delay_alu instid0(VALU_DEP_2)
	v_div_fixup_f32 v22, v21, v51, s11
.LBB63_133:                             ;   in Loop: Header=BB63_89 Depth=1
	s_or_b32 exec_lo, exec_lo, s3
                                        ; implicit-def: $vgpr21
.LBB63_134:                             ;   in Loop: Header=BB63_89 Depth=1
	s_and_not1_saveexec_b32 s0, s1
	s_cbranch_execz .LBB63_136
; %bb.135:                              ;   in Loop: Header=BB63_89 Depth=1
	v_div_scale_f32 v22, null, v21, v21, v20
	v_div_scale_f32 v51, vcc_lo, v20, v21, v20
	s_delay_alu instid0(VALU_DEP_2) | instskip(SKIP_2) | instid1(VALU_DEP_1)
	v_rcp_f32_e32 v23, v22
	s_waitcnt_depctr 0xfff
	v_fma_f32 v50, -v22, v23, 1.0
	v_fmac_f32_e32 v23, v50, v23
	s_delay_alu instid0(VALU_DEP_1) | instskip(NEXT) | instid1(VALU_DEP_1)
	v_mul_f32_e32 v50, v51, v23
	v_fma_f32 v52, -v22, v50, v51
	s_delay_alu instid0(VALU_DEP_1) | instskip(NEXT) | instid1(VALU_DEP_1)
	v_fmac_f32_e32 v50, v52, v23
	v_fma_f32 v22, -v22, v50, v51
	s_delay_alu instid0(VALU_DEP_1) | instskip(NEXT) | instid1(VALU_DEP_1)
	v_div_fmas_f32 v22, v22, v23, v50
	v_div_fixup_f32 v22, v22, v21, v20
	s_delay_alu instid0(VALU_DEP_1) | instskip(NEXT) | instid1(VALU_DEP_1)
	v_fmac_f32_e32 v21, v20, v22
	v_div_scale_f32 v20, null, v21, v21, 1.0
	v_div_scale_f32 v51, vcc_lo, 1.0, v21, 1.0
	s_delay_alu instid0(VALU_DEP_2) | instskip(SKIP_2) | instid1(VALU_DEP_1)
	v_rcp_f32_e32 v23, v20
	s_waitcnt_depctr 0xfff
	v_fma_f32 v50, -v20, v23, 1.0
	v_fmac_f32_e32 v23, v50, v23
	s_delay_alu instid0(VALU_DEP_1) | instskip(NEXT) | instid1(VALU_DEP_1)
	v_mul_f32_e32 v50, v51, v23
	v_fma_f32 v52, -v20, v50, v51
	s_delay_alu instid0(VALU_DEP_1) | instskip(NEXT) | instid1(VALU_DEP_1)
	v_fmac_f32_e32 v50, v52, v23
	v_fma_f32 v20, -v20, v50, v51
	s_delay_alu instid0(VALU_DEP_1) | instskip(SKIP_1) | instid1(VALU_DEP_2)
	v_div_fmas_f32 v20, v20, v23, v50
	v_fma_f32 v23, v22, s10, s11
	v_div_fixup_f32 v20, v20, v21, 1.0
	v_fma_f32 v21, v22, s11, -s10
	s_delay_alu instid0(VALU_DEP_2) | instskip(NEXT) | instid1(VALU_DEP_2)
	v_mul_f32_e32 v23, v23, v20
	v_mul_f32_e32 v22, v21, v20
.LBB63_136:                             ;   in Loop: Header=BB63_89 Depth=1
	s_or_b32 exec_lo, exec_lo, s0
.LBB63_137:                             ;   in Loop: Header=BB63_89 Depth=1
	v_cmp_gt_f32_e32 vcc_lo, 0, v18
	v_cndmask_b32_e64 v50, v18, -v18, vcc_lo
	v_cmp_gt_f32_e32 vcc_lo, 0, v19
	v_cndmask_b32_e64 v51, v19, -v19, vcc_lo
	s_and_not1_b32 vcc_lo, exec_lo, s22
	s_delay_alu instid0(VALU_DEP_1)
	v_cmp_ge_f32_e64 s0, v50, v51
	s_cbranch_vccnz .LBB63_147
; %bb.138:                              ;   in Loop: Header=BB63_89 Depth=1
                                        ; implicit-def: $vgpr20
                                        ; implicit-def: $vgpr52
	s_delay_alu instid0(VALU_DEP_1) | instskip(NEXT) | instid1(SALU_CYCLE_1)
	s_and_saveexec_b32 s1, s0
	s_xor_b32 s3, exec_lo, s1
	s_cbranch_execz .LBB63_144
; %bb.139:                              ;   in Loop: Header=BB63_89 Depth=1
	v_cmp_neq_f32_e32 vcc_lo, 0, v18
	v_cmp_neq_f32_e64 s1, 0, v19
                                        ; implicit-def: $vgpr20
                                        ; implicit-def: $vgpr52
	s_delay_alu instid0(VALU_DEP_1) | instskip(NEXT) | instid1(SALU_CYCLE_1)
	s_or_b32 s1, s1, vcc_lo
	s_and_saveexec_b32 s17, s1
	s_delay_alu instid0(SALU_CYCLE_1)
	s_xor_b32 s1, exec_lo, s17
	s_cbranch_execz .LBB63_141
; %bb.140:                              ;   in Loop: Header=BB63_89 Depth=1
	v_div_scale_f32 v20, null, v18, v18, v19
	v_div_scale_f32 v53, vcc_lo, v19, v18, v19
	s_delay_alu instid0(VALU_DEP_2) | instskip(SKIP_2) | instid1(VALU_DEP_1)
	v_rcp_f32_e32 v21, v20
	s_waitcnt_depctr 0xfff
	v_fma_f32 v52, -v20, v21, 1.0
	v_fmac_f32_e32 v21, v52, v21
	s_delay_alu instid0(VALU_DEP_1) | instskip(NEXT) | instid1(VALU_DEP_1)
	v_mul_f32_e32 v52, v53, v21
	v_fma_f32 v54, -v20, v52, v53
	s_delay_alu instid0(VALU_DEP_1) | instskip(NEXT) | instid1(VALU_DEP_1)
	v_fmac_f32_e32 v52, v54, v21
	v_fma_f32 v20, -v20, v52, v53
	s_delay_alu instid0(VALU_DEP_1) | instskip(NEXT) | instid1(VALU_DEP_1)
	v_div_fmas_f32 v20, v20, v21, v52
	v_div_fixup_f32 v20, v20, v18, v19
	s_delay_alu instid0(VALU_DEP_1) | instskip(NEXT) | instid1(VALU_DEP_1)
	v_fma_f32 v21, v19, v20, v18
	v_div_scale_f32 v52, null, v21, v21, 1.0
	v_div_scale_f32 v55, vcc_lo, 1.0, v21, 1.0
	s_delay_alu instid0(VALU_DEP_2) | instskip(SKIP_2) | instid1(VALU_DEP_1)
	v_rcp_f32_e32 v53, v52
	s_waitcnt_depctr 0xfff
	v_fma_f32 v54, -v52, v53, 1.0
	v_fmac_f32_e32 v53, v54, v53
	s_delay_alu instid0(VALU_DEP_1) | instskip(NEXT) | instid1(VALU_DEP_1)
	v_mul_f32_e32 v54, v55, v53
	v_fma_f32 v56, -v52, v54, v55
	s_delay_alu instid0(VALU_DEP_1) | instskip(NEXT) | instid1(VALU_DEP_1)
	v_fmac_f32_e32 v54, v56, v53
	v_fma_f32 v52, -v52, v54, v55
	s_delay_alu instid0(VALU_DEP_1) | instskip(SKIP_2) | instid1(VALU_DEP_3)
	v_div_fmas_f32 v52, v52, v53, v54
	v_fma_f32 v53, v20, s11, s10
	v_fma_f32 v20, -v20, s10, s11
	v_div_fixup_f32 v21, v52, v21, 1.0
	s_delay_alu instid0(VALU_DEP_1) | instskip(NEXT) | instid1(VALU_DEP_3)
	v_mul_f32_e32 v52, v53, v21
	v_mul_f32_e32 v20, v20, v21
.LBB63_141:                             ;   in Loop: Header=BB63_89 Depth=1
	s_and_not1_saveexec_b32 s17, s1
	s_cbranch_execz .LBB63_143
; %bb.142:                              ;   in Loop: Header=BB63_89 Depth=1
	v_div_scale_f32 v20, null, v50, v50, s10
	v_div_scale_f32 v21, null, v51, v51, s11
	v_div_scale_f32 v56, vcc_lo, s10, v50, s10
	s_delay_alu instid0(VALU_DEP_3) | instskip(NEXT) | instid1(VALU_DEP_2)
	v_rcp_f32_e32 v52, v20
	v_rcp_f32_e32 v53, v21
	s_waitcnt_depctr 0xfff
	v_fma_f32 v54, -v20, v52, 1.0
	v_fma_f32 v55, -v21, v53, 1.0
	s_delay_alu instid0(VALU_DEP_1) | instskip(SKIP_1) | instid1(VALU_DEP_2)
	v_dual_fmac_f32 v52, v54, v52 :: v_dual_fmac_f32 v53, v55, v53
	v_div_scale_f32 v54, s1, s11, v51, s11
	v_mul_f32_e32 v55, v56, v52
	s_delay_alu instid0(VALU_DEP_2) | instskip(NEXT) | instid1(VALU_DEP_2)
	v_mul_f32_e32 v57, v54, v53
	v_fma_f32 v58, -v20, v55, v56
	s_delay_alu instid0(VALU_DEP_2) | instskip(NEXT) | instid1(VALU_DEP_2)
	v_fma_f32 v59, -v21, v57, v54
	v_fmac_f32_e32 v55, v58, v52
	s_delay_alu instid0(VALU_DEP_2) | instskip(NEXT) | instid1(VALU_DEP_2)
	v_fmac_f32_e32 v57, v59, v53
	v_fma_f32 v20, -v20, v55, v56
	s_delay_alu instid0(VALU_DEP_2) | instskip(NEXT) | instid1(VALU_DEP_2)
	v_fma_f32 v21, -v21, v57, v54
	v_div_fmas_f32 v20, v20, v52, v55
	s_mov_b32 vcc_lo, s1
	s_delay_alu instid0(VALU_DEP_2) | instskip(NEXT) | instid1(VALU_DEP_2)
	v_div_fmas_f32 v21, v21, v53, v57
	v_div_fixup_f32 v52, v20, v50, s10
	s_delay_alu instid0(VALU_DEP_2)
	v_div_fixup_f32 v20, v21, v51, s11
.LBB63_143:                             ;   in Loop: Header=BB63_89 Depth=1
	s_or_b32 exec_lo, exec_lo, s17
.LBB63_144:                             ;   in Loop: Header=BB63_89 Depth=1
	s_and_not1_saveexec_b32 s1, s3
	s_cbranch_execz .LBB63_146
; %bb.145:                              ;   in Loop: Header=BB63_89 Depth=1
	v_div_scale_f32 v20, null, v19, v19, v18
	v_div_scale_f32 v53, vcc_lo, v18, v19, v18
	s_delay_alu instid0(VALU_DEP_2) | instskip(SKIP_2) | instid1(VALU_DEP_1)
	v_rcp_f32_e32 v21, v20
	s_waitcnt_depctr 0xfff
	v_fma_f32 v52, -v20, v21, 1.0
	v_fmac_f32_e32 v21, v52, v21
	s_delay_alu instid0(VALU_DEP_1) | instskip(NEXT) | instid1(VALU_DEP_1)
	v_mul_f32_e32 v52, v53, v21
	v_fma_f32 v54, -v20, v52, v53
	s_delay_alu instid0(VALU_DEP_1) | instskip(NEXT) | instid1(VALU_DEP_1)
	v_fmac_f32_e32 v52, v54, v21
	v_fma_f32 v20, -v20, v52, v53
	s_delay_alu instid0(VALU_DEP_1) | instskip(NEXT) | instid1(VALU_DEP_1)
	v_div_fmas_f32 v20, v20, v21, v52
	v_div_fixup_f32 v20, v20, v19, v18
	s_delay_alu instid0(VALU_DEP_1) | instskip(NEXT) | instid1(VALU_DEP_1)
	v_fma_f32 v21, v18, v20, v19
	v_div_scale_f32 v52, null, v21, v21, 1.0
	v_div_scale_f32 v55, vcc_lo, 1.0, v21, 1.0
	s_delay_alu instid0(VALU_DEP_2) | instskip(SKIP_2) | instid1(VALU_DEP_1)
	v_rcp_f32_e32 v53, v52
	s_waitcnt_depctr 0xfff
	v_fma_f32 v54, -v52, v53, 1.0
	v_fmac_f32_e32 v53, v54, v53
	s_delay_alu instid0(VALU_DEP_1) | instskip(NEXT) | instid1(VALU_DEP_1)
	v_mul_f32_e32 v54, v55, v53
	v_fma_f32 v56, -v52, v54, v55
	s_delay_alu instid0(VALU_DEP_1) | instskip(NEXT) | instid1(VALU_DEP_1)
	v_fmac_f32_e32 v54, v56, v53
	v_fma_f32 v52, -v52, v54, v55
	s_delay_alu instid0(VALU_DEP_1) | instskip(SKIP_2) | instid1(VALU_DEP_3)
	v_div_fmas_f32 v52, v52, v53, v54
	v_fma_f32 v53, v20, s10, s11
	v_fma_f32 v20, v20, s11, -s10
	v_div_fixup_f32 v21, v52, v21, 1.0
	s_delay_alu instid0(VALU_DEP_1) | instskip(NEXT) | instid1(VALU_DEP_3)
	v_mul_f32_e32 v52, v53, v21
	v_mul_f32_e32 v20, v20, v21
.LBB63_146:                             ;   in Loop: Header=BB63_89 Depth=1
	s_or_b32 exec_lo, exec_lo, s1
	s_delay_alu instid0(VALU_DEP_1) | instskip(SKIP_1) | instid1(VALU_DEP_2)
	v_mul_f32_e32 v21, s7, v20
	v_mul_f32_e32 v20, s6, v20
	v_fma_f32 v21, v52, s6, -v21
	s_delay_alu instid0(VALU_DEP_2)
	v_fmac_f32_e32 v20, s7, v52
	s_branch .LBB63_157
.LBB63_147:                             ;   in Loop: Header=BB63_89 Depth=1
                                        ; implicit-def: $vgpr20
                                        ; implicit-def: $vgpr21
	s_cbranch_execz .LBB63_157
; %bb.148:                              ;   in Loop: Header=BB63_89 Depth=1
                                        ; implicit-def: $vgpr20
                                        ; implicit-def: $vgpr21
	s_delay_alu instid0(VALU_DEP_1) | instskip(NEXT) | instid1(SALU_CYCLE_1)
	s_and_saveexec_b32 s1, s0
	s_xor_b32 s1, exec_lo, s1
	s_cbranch_execz .LBB63_154
; %bb.149:                              ;   in Loop: Header=BB63_89 Depth=1
	v_cmp_neq_f32_e32 vcc_lo, 0, v18
	v_cmp_neq_f32_e64 s0, 0, v19
                                        ; implicit-def: $vgpr20
                                        ; implicit-def: $vgpr21
	s_delay_alu instid0(VALU_DEP_1) | instskip(NEXT) | instid1(SALU_CYCLE_1)
	s_or_b32 s0, s0, vcc_lo
	s_and_saveexec_b32 s3, s0
	s_delay_alu instid0(SALU_CYCLE_1)
	s_xor_b32 s0, exec_lo, s3
	s_cbranch_execz .LBB63_151
; %bb.150:                              ;   in Loop: Header=BB63_89 Depth=1
	v_div_scale_f32 v20, null, v18, v18, v19
	v_div_scale_f32 v51, vcc_lo, v19, v18, v19
	s_delay_alu instid0(VALU_DEP_2) | instskip(SKIP_2) | instid1(VALU_DEP_1)
	v_rcp_f32_e32 v21, v20
	s_waitcnt_depctr 0xfff
	v_fma_f32 v50, -v20, v21, 1.0
	v_fmac_f32_e32 v21, v50, v21
	s_delay_alu instid0(VALU_DEP_1) | instskip(NEXT) | instid1(VALU_DEP_1)
	v_mul_f32_e32 v50, v51, v21
	v_fma_f32 v52, -v20, v50, v51
	s_delay_alu instid0(VALU_DEP_1) | instskip(NEXT) | instid1(VALU_DEP_1)
	v_fmac_f32_e32 v50, v52, v21
	v_fma_f32 v20, -v20, v50, v51
	s_delay_alu instid0(VALU_DEP_1) | instskip(NEXT) | instid1(VALU_DEP_1)
	v_div_fmas_f32 v20, v20, v21, v50
	v_div_fixup_f32 v20, v20, v18, v19
	s_delay_alu instid0(VALU_DEP_1) | instskip(NEXT) | instid1(VALU_DEP_1)
	v_fmac_f32_e32 v18, v19, v20
	v_div_scale_f32 v19, null, v18, v18, 1.0
	v_div_scale_f32 v51, vcc_lo, 1.0, v18, 1.0
	s_delay_alu instid0(VALU_DEP_2) | instskip(SKIP_2) | instid1(VALU_DEP_1)
	v_rcp_f32_e32 v21, v19
	s_waitcnt_depctr 0xfff
	v_fma_f32 v50, -v19, v21, 1.0
	v_fmac_f32_e32 v21, v50, v21
	s_delay_alu instid0(VALU_DEP_1) | instskip(NEXT) | instid1(VALU_DEP_1)
	v_mul_f32_e32 v50, v51, v21
	v_fma_f32 v52, -v19, v50, v51
	s_delay_alu instid0(VALU_DEP_1) | instskip(NEXT) | instid1(VALU_DEP_1)
	v_fmac_f32_e32 v50, v52, v21
	v_fma_f32 v19, -v19, v50, v51
                                        ; implicit-def: $vgpr51
	s_delay_alu instid0(VALU_DEP_1) | instskip(SKIP_1) | instid1(VALU_DEP_2)
	v_div_fmas_f32 v19, v19, v21, v50
	v_fma_f32 v21, v20, s11, s10
                                        ; implicit-def: $vgpr50
	v_div_fixup_f32 v18, v19, v18, 1.0
	v_fma_f32 v19, -v20, s10, s11
	s_delay_alu instid0(VALU_DEP_2) | instskip(NEXT) | instid1(VALU_DEP_2)
	v_mul_f32_e32 v21, v21, v18
	v_mul_f32_e32 v20, v19, v18
.LBB63_151:                             ;   in Loop: Header=BB63_89 Depth=1
	s_and_not1_saveexec_b32 s3, s0
	s_cbranch_execz .LBB63_153
; %bb.152:                              ;   in Loop: Header=BB63_89 Depth=1
	v_div_scale_f32 v18, null, v50, v50, s10
	v_div_scale_f32 v19, null, v51, v51, s11
	v_div_scale_f32 v54, vcc_lo, s10, v50, s10
	s_delay_alu instid0(VALU_DEP_3) | instskip(NEXT) | instid1(VALU_DEP_2)
	v_rcp_f32_e32 v20, v18
	v_rcp_f32_e32 v21, v19
	s_waitcnt_depctr 0xfff
	v_fma_f32 v52, -v18, v20, 1.0
	v_fma_f32 v53, -v19, v21, 1.0
	s_delay_alu instid0(VALU_DEP_1) | instskip(SKIP_1) | instid1(VALU_DEP_2)
	v_dual_fmac_f32 v20, v52, v20 :: v_dual_fmac_f32 v21, v53, v21
	v_div_scale_f32 v52, s0, s11, v51, s11
	v_mul_f32_e32 v53, v54, v20
	s_delay_alu instid0(VALU_DEP_2) | instskip(NEXT) | instid1(VALU_DEP_2)
	v_mul_f32_e32 v55, v52, v21
	v_fma_f32 v56, -v18, v53, v54
	s_delay_alu instid0(VALU_DEP_2) | instskip(NEXT) | instid1(VALU_DEP_2)
	v_fma_f32 v57, -v19, v55, v52
	v_fmac_f32_e32 v53, v56, v20
	s_delay_alu instid0(VALU_DEP_2) | instskip(NEXT) | instid1(VALU_DEP_2)
	v_fmac_f32_e32 v55, v57, v21
	v_fma_f32 v18, -v18, v53, v54
	s_delay_alu instid0(VALU_DEP_2) | instskip(NEXT) | instid1(VALU_DEP_2)
	v_fma_f32 v19, -v19, v55, v52
	v_div_fmas_f32 v18, v18, v20, v53
	s_mov_b32 vcc_lo, s0
	s_delay_alu instid0(VALU_DEP_2) | instskip(NEXT) | instid1(VALU_DEP_2)
	v_div_fmas_f32 v19, v19, v21, v55
	v_div_fixup_f32 v21, v18, v50, s10
	s_delay_alu instid0(VALU_DEP_2)
	v_div_fixup_f32 v20, v19, v51, s11
.LBB63_153:                             ;   in Loop: Header=BB63_89 Depth=1
	s_or_b32 exec_lo, exec_lo, s3
                                        ; implicit-def: $vgpr19
.LBB63_154:                             ;   in Loop: Header=BB63_89 Depth=1
	s_and_not1_saveexec_b32 s0, s1
	s_cbranch_execz .LBB63_156
; %bb.155:                              ;   in Loop: Header=BB63_89 Depth=1
	v_div_scale_f32 v20, null, v19, v19, v18
	v_div_scale_f32 v51, vcc_lo, v18, v19, v18
	s_delay_alu instid0(VALU_DEP_2) | instskip(SKIP_2) | instid1(VALU_DEP_1)
	v_rcp_f32_e32 v21, v20
	s_waitcnt_depctr 0xfff
	v_fma_f32 v50, -v20, v21, 1.0
	v_fmac_f32_e32 v21, v50, v21
	s_delay_alu instid0(VALU_DEP_1) | instskip(NEXT) | instid1(VALU_DEP_1)
	v_mul_f32_e32 v50, v51, v21
	v_fma_f32 v52, -v20, v50, v51
	s_delay_alu instid0(VALU_DEP_1) | instskip(NEXT) | instid1(VALU_DEP_1)
	v_fmac_f32_e32 v50, v52, v21
	v_fma_f32 v20, -v20, v50, v51
	s_delay_alu instid0(VALU_DEP_1) | instskip(NEXT) | instid1(VALU_DEP_1)
	v_div_fmas_f32 v20, v20, v21, v50
	v_div_fixup_f32 v20, v20, v19, v18
	s_delay_alu instid0(VALU_DEP_1) | instskip(NEXT) | instid1(VALU_DEP_1)
	v_fmac_f32_e32 v19, v18, v20
	v_div_scale_f32 v18, null, v19, v19, 1.0
	v_div_scale_f32 v51, vcc_lo, 1.0, v19, 1.0
	s_delay_alu instid0(VALU_DEP_2) | instskip(SKIP_2) | instid1(VALU_DEP_1)
	v_rcp_f32_e32 v21, v18
	s_waitcnt_depctr 0xfff
	v_fma_f32 v50, -v18, v21, 1.0
	v_fmac_f32_e32 v21, v50, v21
	s_delay_alu instid0(VALU_DEP_1) | instskip(NEXT) | instid1(VALU_DEP_1)
	v_mul_f32_e32 v50, v51, v21
	v_fma_f32 v52, -v18, v50, v51
	s_delay_alu instid0(VALU_DEP_1) | instskip(NEXT) | instid1(VALU_DEP_1)
	v_fmac_f32_e32 v50, v52, v21
	v_fma_f32 v18, -v18, v50, v51
	s_delay_alu instid0(VALU_DEP_1) | instskip(SKIP_1) | instid1(VALU_DEP_2)
	v_div_fmas_f32 v18, v18, v21, v50
	v_fma_f32 v21, v20, s10, s11
	v_div_fixup_f32 v18, v18, v19, 1.0
	v_fma_f32 v19, v20, s11, -s10
	s_delay_alu instid0(VALU_DEP_2) | instskip(NEXT) | instid1(VALU_DEP_2)
	v_mul_f32_e32 v21, v21, v18
	v_mul_f32_e32 v20, v19, v18
.LBB63_156:                             ;   in Loop: Header=BB63_89 Depth=1
	s_or_b32 exec_lo, exec_lo, s0
.LBB63_157:                             ;   in Loop: Header=BB63_89 Depth=1
	v_cmp_gt_f32_e32 vcc_lo, 0, v16
	v_cndmask_b32_e64 v18, v16, -v16, vcc_lo
	v_cmp_gt_f32_e32 vcc_lo, 0, v17
	v_cndmask_b32_e64 v19, v17, -v17, vcc_lo
	s_and_not1_b32 vcc_lo, exec_lo, s22
	s_delay_alu instid0(VALU_DEP_1)
	v_cmp_ge_f32_e64 s0, v18, v19
	s_cbranch_vccnz .LBB63_167
; %bb.158:                              ;   in Loop: Header=BB63_89 Depth=1
                                        ; implicit-def: $vgpr50
                                        ; implicit-def: $vgpr52
	s_delay_alu instid0(VALU_DEP_1) | instskip(NEXT) | instid1(SALU_CYCLE_1)
	s_and_saveexec_b32 s1, s0
	s_xor_b32 s3, exec_lo, s1
	s_cbranch_execz .LBB63_164
; %bb.159:                              ;   in Loop: Header=BB63_89 Depth=1
	v_cmp_neq_f32_e32 vcc_lo, 0, v16
	v_cmp_neq_f32_e64 s1, 0, v17
                                        ; implicit-def: $vgpr50
                                        ; implicit-def: $vgpr52
	s_delay_alu instid0(VALU_DEP_1) | instskip(NEXT) | instid1(SALU_CYCLE_1)
	s_or_b32 s1, s1, vcc_lo
	s_and_saveexec_b32 s17, s1
	s_delay_alu instid0(SALU_CYCLE_1)
	s_xor_b32 s1, exec_lo, s17
	s_cbranch_execz .LBB63_161
; %bb.160:                              ;   in Loop: Header=BB63_89 Depth=1
	v_div_scale_f32 v50, null, v16, v16, v17
	v_div_scale_f32 v53, vcc_lo, v17, v16, v17
	s_delay_alu instid0(VALU_DEP_2) | instskip(SKIP_2) | instid1(VALU_DEP_1)
	v_rcp_f32_e32 v51, v50
	s_waitcnt_depctr 0xfff
	v_fma_f32 v52, -v50, v51, 1.0
	v_fmac_f32_e32 v51, v52, v51
	s_delay_alu instid0(VALU_DEP_1) | instskip(NEXT) | instid1(VALU_DEP_1)
	v_mul_f32_e32 v52, v53, v51
	v_fma_f32 v54, -v50, v52, v53
	s_delay_alu instid0(VALU_DEP_1) | instskip(NEXT) | instid1(VALU_DEP_1)
	v_fmac_f32_e32 v52, v54, v51
	v_fma_f32 v50, -v50, v52, v53
	s_delay_alu instid0(VALU_DEP_1) | instskip(NEXT) | instid1(VALU_DEP_1)
	v_div_fmas_f32 v50, v50, v51, v52
	v_div_fixup_f32 v50, v50, v16, v17
	s_delay_alu instid0(VALU_DEP_1) | instskip(NEXT) | instid1(VALU_DEP_1)
	v_fma_f32 v51, v17, v50, v16
	v_div_scale_f32 v52, null, v51, v51, 1.0
	v_div_scale_f32 v55, vcc_lo, 1.0, v51, 1.0
	s_delay_alu instid0(VALU_DEP_2) | instskip(SKIP_2) | instid1(VALU_DEP_1)
	v_rcp_f32_e32 v53, v52
	s_waitcnt_depctr 0xfff
	v_fma_f32 v54, -v52, v53, 1.0
	v_fmac_f32_e32 v53, v54, v53
	s_delay_alu instid0(VALU_DEP_1) | instskip(NEXT) | instid1(VALU_DEP_1)
	v_mul_f32_e32 v54, v55, v53
	v_fma_f32 v56, -v52, v54, v55
	s_delay_alu instid0(VALU_DEP_1) | instskip(NEXT) | instid1(VALU_DEP_1)
	v_fmac_f32_e32 v54, v56, v53
	v_fma_f32 v52, -v52, v54, v55
	s_delay_alu instid0(VALU_DEP_1) | instskip(SKIP_2) | instid1(VALU_DEP_3)
	v_div_fmas_f32 v52, v52, v53, v54
	v_fma_f32 v53, v50, s11, s10
	v_fma_f32 v50, -v50, s10, s11
	v_div_fixup_f32 v51, v52, v51, 1.0
	s_delay_alu instid0(VALU_DEP_1) | instskip(NEXT) | instid1(VALU_DEP_3)
	v_mul_f32_e32 v52, v53, v51
	v_mul_f32_e32 v50, v50, v51
.LBB63_161:                             ;   in Loop: Header=BB63_89 Depth=1
	s_and_not1_saveexec_b32 s17, s1
	s_cbranch_execz .LBB63_163
; %bb.162:                              ;   in Loop: Header=BB63_89 Depth=1
	v_div_scale_f32 v50, null, v18, v18, s10
	v_div_scale_f32 v51, null, v19, v19, s11
	v_div_scale_f32 v56, vcc_lo, s10, v18, s10
	s_delay_alu instid0(VALU_DEP_3) | instskip(NEXT) | instid1(VALU_DEP_2)
	v_rcp_f32_e32 v52, v50
	v_rcp_f32_e32 v53, v51
	s_waitcnt_depctr 0xfff
	v_fma_f32 v54, -v50, v52, 1.0
	v_fma_f32 v55, -v51, v53, 1.0
	s_delay_alu instid0(VALU_DEP_1) | instskip(SKIP_1) | instid1(VALU_DEP_2)
	v_dual_fmac_f32 v52, v54, v52 :: v_dual_fmac_f32 v53, v55, v53
	v_div_scale_f32 v54, s1, s11, v19, s11
	v_mul_f32_e32 v55, v56, v52
	s_delay_alu instid0(VALU_DEP_2) | instskip(NEXT) | instid1(VALU_DEP_2)
	v_mul_f32_e32 v57, v54, v53
	v_fma_f32 v58, -v50, v55, v56
	s_delay_alu instid0(VALU_DEP_2) | instskip(NEXT) | instid1(VALU_DEP_2)
	v_fma_f32 v59, -v51, v57, v54
	v_fmac_f32_e32 v55, v58, v52
	s_delay_alu instid0(VALU_DEP_2) | instskip(NEXT) | instid1(VALU_DEP_2)
	v_fmac_f32_e32 v57, v59, v53
	v_fma_f32 v50, -v50, v55, v56
	s_delay_alu instid0(VALU_DEP_2) | instskip(NEXT) | instid1(VALU_DEP_2)
	v_fma_f32 v51, -v51, v57, v54
	v_div_fmas_f32 v50, v50, v52, v55
	s_mov_b32 vcc_lo, s1
	s_delay_alu instid0(VALU_DEP_2) | instskip(NEXT) | instid1(VALU_DEP_2)
	v_div_fmas_f32 v51, v51, v53, v57
	v_div_fixup_f32 v52, v50, v18, s10
	s_delay_alu instid0(VALU_DEP_2)
	v_div_fixup_f32 v50, v51, v19, s11
.LBB63_163:                             ;   in Loop: Header=BB63_89 Depth=1
	s_or_b32 exec_lo, exec_lo, s17
.LBB63_164:                             ;   in Loop: Header=BB63_89 Depth=1
	s_and_not1_saveexec_b32 s1, s3
	s_cbranch_execz .LBB63_166
; %bb.165:                              ;   in Loop: Header=BB63_89 Depth=1
	v_div_scale_f32 v50, null, v17, v17, v16
	v_div_scale_f32 v53, vcc_lo, v16, v17, v16
	s_delay_alu instid0(VALU_DEP_2) | instskip(SKIP_2) | instid1(VALU_DEP_1)
	v_rcp_f32_e32 v51, v50
	s_waitcnt_depctr 0xfff
	v_fma_f32 v52, -v50, v51, 1.0
	v_fmac_f32_e32 v51, v52, v51
	s_delay_alu instid0(VALU_DEP_1) | instskip(NEXT) | instid1(VALU_DEP_1)
	v_mul_f32_e32 v52, v53, v51
	v_fma_f32 v54, -v50, v52, v53
	s_delay_alu instid0(VALU_DEP_1) | instskip(NEXT) | instid1(VALU_DEP_1)
	v_fmac_f32_e32 v52, v54, v51
	v_fma_f32 v50, -v50, v52, v53
	s_delay_alu instid0(VALU_DEP_1) | instskip(NEXT) | instid1(VALU_DEP_1)
	v_div_fmas_f32 v50, v50, v51, v52
	v_div_fixup_f32 v50, v50, v17, v16
	s_delay_alu instid0(VALU_DEP_1) | instskip(NEXT) | instid1(VALU_DEP_1)
	v_fma_f32 v51, v16, v50, v17
	v_div_scale_f32 v52, null, v51, v51, 1.0
	v_div_scale_f32 v55, vcc_lo, 1.0, v51, 1.0
	s_delay_alu instid0(VALU_DEP_2) | instskip(SKIP_2) | instid1(VALU_DEP_1)
	v_rcp_f32_e32 v53, v52
	s_waitcnt_depctr 0xfff
	v_fma_f32 v54, -v52, v53, 1.0
	v_fmac_f32_e32 v53, v54, v53
	s_delay_alu instid0(VALU_DEP_1) | instskip(NEXT) | instid1(VALU_DEP_1)
	v_mul_f32_e32 v54, v55, v53
	v_fma_f32 v56, -v52, v54, v55
	s_delay_alu instid0(VALU_DEP_1) | instskip(NEXT) | instid1(VALU_DEP_1)
	v_fmac_f32_e32 v54, v56, v53
	v_fma_f32 v52, -v52, v54, v55
	s_delay_alu instid0(VALU_DEP_1) | instskip(SKIP_2) | instid1(VALU_DEP_3)
	v_div_fmas_f32 v52, v52, v53, v54
	v_fma_f32 v53, v50, s10, s11
	v_fma_f32 v50, v50, s11, -s10
	v_div_fixup_f32 v51, v52, v51, 1.0
	s_delay_alu instid0(VALU_DEP_1) | instskip(NEXT) | instid1(VALU_DEP_3)
	v_mul_f32_e32 v52, v53, v51
	v_mul_f32_e32 v50, v50, v51
.LBB63_166:                             ;   in Loop: Header=BB63_89 Depth=1
	s_or_b32 exec_lo, exec_lo, s1
	s_delay_alu instid0(VALU_DEP_1) | instskip(SKIP_1) | instid1(VALU_DEP_1)
	v_mul_f32_e32 v51, s7, v50
	v_mul_f32_e32 v50, s6, v50
	v_fmac_f32_e32 v50, s7, v52
	s_delay_alu instid0(VALU_DEP_3)
	v_fma_f32 v51, v52, s6, -v51
	s_branch .LBB63_177
.LBB63_167:                             ;   in Loop: Header=BB63_89 Depth=1
                                        ; implicit-def: $vgpr50
                                        ; implicit-def: $vgpr51
	s_cbranch_execz .LBB63_177
; %bb.168:                              ;   in Loop: Header=BB63_89 Depth=1
                                        ; implicit-def: $vgpr50
                                        ; implicit-def: $vgpr51
	s_delay_alu instid0(VALU_DEP_1) | instskip(NEXT) | instid1(SALU_CYCLE_1)
	s_and_saveexec_b32 s1, s0
	s_xor_b32 s1, exec_lo, s1
	s_cbranch_execz .LBB63_174
; %bb.169:                              ;   in Loop: Header=BB63_89 Depth=1
	v_cmp_neq_f32_e32 vcc_lo, 0, v16
	v_cmp_neq_f32_e64 s0, 0, v17
                                        ; implicit-def: $vgpr50
                                        ; implicit-def: $vgpr51
	s_delay_alu instid0(VALU_DEP_1) | instskip(NEXT) | instid1(SALU_CYCLE_1)
	s_or_b32 s0, s0, vcc_lo
	s_and_saveexec_b32 s3, s0
	s_delay_alu instid0(SALU_CYCLE_1)
	s_xor_b32 s0, exec_lo, s3
	s_cbranch_execz .LBB63_171
; %bb.170:                              ;   in Loop: Header=BB63_89 Depth=1
	v_div_scale_f32 v18, null, v16, v16, v17
	v_div_scale_f32 v51, vcc_lo, v17, v16, v17
	s_delay_alu instid0(VALU_DEP_2) | instskip(SKIP_2) | instid1(VALU_DEP_1)
	v_rcp_f32_e32 v19, v18
	s_waitcnt_depctr 0xfff
	v_fma_f32 v50, -v18, v19, 1.0
	v_fmac_f32_e32 v19, v50, v19
	s_delay_alu instid0(VALU_DEP_1) | instskip(NEXT) | instid1(VALU_DEP_1)
	v_mul_f32_e32 v50, v51, v19
	v_fma_f32 v52, -v18, v50, v51
	s_delay_alu instid0(VALU_DEP_1) | instskip(NEXT) | instid1(VALU_DEP_1)
	v_fmac_f32_e32 v50, v52, v19
	v_fma_f32 v18, -v18, v50, v51
	s_delay_alu instid0(VALU_DEP_1) | instskip(NEXT) | instid1(VALU_DEP_1)
	v_div_fmas_f32 v18, v18, v19, v50
	v_div_fixup_f32 v18, v18, v16, v17
	s_delay_alu instid0(VALU_DEP_1) | instskip(NEXT) | instid1(VALU_DEP_1)
	v_fmac_f32_e32 v16, v17, v18
	v_div_scale_f32 v17, null, v16, v16, 1.0
	v_div_scale_f32 v51, vcc_lo, 1.0, v16, 1.0
	s_delay_alu instid0(VALU_DEP_2) | instskip(SKIP_2) | instid1(VALU_DEP_1)
	v_rcp_f32_e32 v19, v17
	s_waitcnt_depctr 0xfff
	v_fma_f32 v50, -v17, v19, 1.0
	v_fmac_f32_e32 v19, v50, v19
	s_delay_alu instid0(VALU_DEP_1) | instskip(NEXT) | instid1(VALU_DEP_1)
	v_mul_f32_e32 v50, v51, v19
	v_fma_f32 v52, -v17, v50, v51
	s_delay_alu instid0(VALU_DEP_1) | instskip(NEXT) | instid1(VALU_DEP_1)
	v_fmac_f32_e32 v50, v52, v19
	v_fma_f32 v17, -v17, v50, v51
	s_delay_alu instid0(VALU_DEP_1) | instskip(SKIP_1) | instid1(VALU_DEP_2)
	v_div_fmas_f32 v17, v17, v19, v50
	v_fma_f32 v19, v18, s11, s10
	v_div_fixup_f32 v16, v17, v16, 1.0
	v_fma_f32 v17, -v18, s10, s11
                                        ; implicit-def: $vgpr18
	s_delay_alu instid0(VALU_DEP_2) | instskip(NEXT) | instid1(VALU_DEP_2)
	v_mul_f32_e32 v51, v19, v16
	v_mul_f32_e32 v50, v17, v16
                                        ; implicit-def: $vgpr19
.LBB63_171:                             ;   in Loop: Header=BB63_89 Depth=1
	s_and_not1_saveexec_b32 s3, s0
	s_cbranch_execz .LBB63_173
; %bb.172:                              ;   in Loop: Header=BB63_89 Depth=1
	v_div_scale_f32 v16, null, v18, v18, s10
	v_div_scale_f32 v17, null, v19, v19, s11
	v_div_scale_f32 v54, vcc_lo, s10, v18, s10
	s_delay_alu instid0(VALU_DEP_3) | instskip(NEXT) | instid1(VALU_DEP_2)
	v_rcp_f32_e32 v50, v16
	v_rcp_f32_e32 v51, v17
	s_waitcnt_depctr 0xfff
	v_fma_f32 v52, -v16, v50, 1.0
	v_fma_f32 v53, -v17, v51, 1.0
	s_delay_alu instid0(VALU_DEP_1) | instskip(SKIP_1) | instid1(VALU_DEP_2)
	v_dual_fmac_f32 v50, v52, v50 :: v_dual_fmac_f32 v51, v53, v51
	v_div_scale_f32 v52, s0, s11, v19, s11
	v_mul_f32_e32 v53, v54, v50
	s_delay_alu instid0(VALU_DEP_2) | instskip(NEXT) | instid1(VALU_DEP_2)
	v_mul_f32_e32 v55, v52, v51
	v_fma_f32 v56, -v16, v53, v54
	s_delay_alu instid0(VALU_DEP_2) | instskip(NEXT) | instid1(VALU_DEP_2)
	v_fma_f32 v57, -v17, v55, v52
	v_fmac_f32_e32 v53, v56, v50
	s_delay_alu instid0(VALU_DEP_2) | instskip(NEXT) | instid1(VALU_DEP_2)
	v_fmac_f32_e32 v55, v57, v51
	v_fma_f32 v16, -v16, v53, v54
	s_delay_alu instid0(VALU_DEP_2) | instskip(NEXT) | instid1(VALU_DEP_2)
	v_fma_f32 v17, -v17, v55, v52
	v_div_fmas_f32 v16, v16, v50, v53
	s_mov_b32 vcc_lo, s0
	s_delay_alu instid0(VALU_DEP_2) | instskip(NEXT) | instid1(VALU_DEP_2)
	v_div_fmas_f32 v17, v17, v51, v55
	v_div_fixup_f32 v51, v16, v18, s10
	s_delay_alu instid0(VALU_DEP_2)
	v_div_fixup_f32 v50, v17, v19, s11
.LBB63_173:                             ;   in Loop: Header=BB63_89 Depth=1
	s_or_b32 exec_lo, exec_lo, s3
                                        ; implicit-def: $vgpr17
.LBB63_174:                             ;   in Loop: Header=BB63_89 Depth=1
	s_and_not1_saveexec_b32 s0, s1
	s_cbranch_execz .LBB63_176
; %bb.175:                              ;   in Loop: Header=BB63_89 Depth=1
	v_div_scale_f32 v18, null, v17, v17, v16
	v_div_scale_f32 v51, vcc_lo, v16, v17, v16
	s_delay_alu instid0(VALU_DEP_2) | instskip(SKIP_2) | instid1(VALU_DEP_1)
	v_rcp_f32_e32 v19, v18
	s_waitcnt_depctr 0xfff
	v_fma_f32 v50, -v18, v19, 1.0
	v_fmac_f32_e32 v19, v50, v19
	s_delay_alu instid0(VALU_DEP_1) | instskip(NEXT) | instid1(VALU_DEP_1)
	v_mul_f32_e32 v50, v51, v19
	v_fma_f32 v52, -v18, v50, v51
	s_delay_alu instid0(VALU_DEP_1) | instskip(NEXT) | instid1(VALU_DEP_1)
	v_fmac_f32_e32 v50, v52, v19
	v_fma_f32 v18, -v18, v50, v51
	s_delay_alu instid0(VALU_DEP_1) | instskip(NEXT) | instid1(VALU_DEP_1)
	v_div_fmas_f32 v18, v18, v19, v50
	v_div_fixup_f32 v18, v18, v17, v16
	s_delay_alu instid0(VALU_DEP_1) | instskip(NEXT) | instid1(VALU_DEP_1)
	v_fmac_f32_e32 v17, v16, v18
	v_div_scale_f32 v16, null, v17, v17, 1.0
	v_div_scale_f32 v51, vcc_lo, 1.0, v17, 1.0
	s_delay_alu instid0(VALU_DEP_2) | instskip(SKIP_2) | instid1(VALU_DEP_1)
	v_rcp_f32_e32 v19, v16
	s_waitcnt_depctr 0xfff
	v_fma_f32 v50, -v16, v19, 1.0
	v_fmac_f32_e32 v19, v50, v19
	s_delay_alu instid0(VALU_DEP_1) | instskip(NEXT) | instid1(VALU_DEP_1)
	v_mul_f32_e32 v50, v51, v19
	v_fma_f32 v52, -v16, v50, v51
	s_delay_alu instid0(VALU_DEP_1) | instskip(NEXT) | instid1(VALU_DEP_1)
	v_fmac_f32_e32 v50, v52, v19
	v_fma_f32 v16, -v16, v50, v51
	s_delay_alu instid0(VALU_DEP_1) | instskip(SKIP_1) | instid1(VALU_DEP_2)
	v_div_fmas_f32 v16, v16, v19, v50
	v_fma_f32 v19, v18, s10, s11
	v_div_fixup_f32 v16, v16, v17, 1.0
	v_fma_f32 v17, v18, s11, -s10
	s_delay_alu instid0(VALU_DEP_2) | instskip(NEXT) | instid1(VALU_DEP_2)
	v_mul_f32_e32 v51, v19, v16
	v_mul_f32_e32 v50, v17, v16
.LBB63_176:                             ;   in Loop: Header=BB63_89 Depth=1
	s_or_b32 exec_lo, exec_lo, s0
.LBB63_177:                             ;   in Loop: Header=BB63_89 Depth=1
	s_delay_alu instid0(SALU_CYCLE_1)
	s_mov_b32 s0, exec_lo
	v_cmpx_gt_u64_e64 s[12:13], v[0:1]
	s_xor_b32 s0, exec_lo, s0
	s_cbranch_execz .LBB63_179
; %bb.178:                              ;   in Loop: Header=BB63_89 Depth=1
	v_add_co_u32 v16, vcc_lo, v32, s4
	v_dual_add_f32 v2, v2, v49 :: v_dual_add_f32 v3, v3, v48
	v_add_co_ci_u32_e32 v17, vcc_lo, s5, v33, vcc_lo
	global_store_b64 v[16:17], v[2:3], off offset:-4
.LBB63_179:                             ;   in Loop: Header=BB63_89 Depth=1
	s_or_b32 exec_lo, exec_lo, s0
	s_delay_alu instid0(SALU_CYCLE_1)
	s_mov_b32 s0, exec_lo
	v_cmpx_gt_u64_e64 s[12:13], v[4:5]
	s_cbranch_execnz .LBB63_182
; %bb.180:                              ;   in Loop: Header=BB63_89 Depth=1
	s_or_b32 exec_lo, exec_lo, s0
	s_delay_alu instid0(SALU_CYCLE_1)
	s_mov_b32 s0, exec_lo
	v_cmpx_gt_u64_e64 s[12:13], v[8:9]
	s_cbranch_execnz .LBB63_183
.LBB63_181:                             ;   in Loop: Header=BB63_89 Depth=1
	s_or_b32 exec_lo, exec_lo, s0
	s_delay_alu instid0(SALU_CYCLE_1)
	s_mov_b32 s0, exec_lo
	v_cmpx_gt_u64_e64 s[12:13], v[12:13]
	s_cbranch_execz .LBB63_88
	s_branch .LBB63_184
.LBB63_182:                             ;   in Loop: Header=BB63_89 Depth=1
	v_add_co_u32 v4, vcc_lo, v26, s4
	v_dual_add_f32 v2, v6, v23 :: v_dual_add_f32 v3, v7, v22
	v_add_co_ci_u32_e32 v5, vcc_lo, s5, v27, vcc_lo
	global_store_b64 v[4:5], v[2:3], off
	s_or_b32 exec_lo, exec_lo, s0
	s_delay_alu instid0(SALU_CYCLE_1)
	s_mov_b32 s0, exec_lo
	v_cmpx_gt_u64_e64 s[12:13], v[8:9]
	s_cbranch_execz .LBB63_181
.LBB63_183:                             ;   in Loop: Header=BB63_89 Depth=1
	v_add_co_u32 v4, vcc_lo, v40, s4
	v_dual_add_f32 v2, v10, v21 :: v_dual_add_f32 v3, v11, v20
	v_add_co_ci_u32_e32 v5, vcc_lo, s5, v41, vcc_lo
	global_store_b64 v[4:5], v[2:3], off
	s_or_b32 exec_lo, exec_lo, s0
	s_delay_alu instid0(SALU_CYCLE_1)
	s_mov_b32 s0, exec_lo
	v_cmpx_gt_u64_e64 s[12:13], v[12:13]
	s_cbranch_execz .LBB63_88
.LBB63_184:                             ;   in Loop: Header=BB63_89 Depth=1
	v_add_co_u32 v4, vcc_lo, v42, s4
	v_dual_add_f32 v2, v14, v51 :: v_dual_add_f32 v3, v15, v50
	v_add_co_ci_u32_e32 v5, vcc_lo, s5, v43, vcc_lo
	global_store_b64 v[4:5], v[2:3], off offset:-4
	s_branch .LBB63_88
.LBB63_185:
	s_nop 0
	s_sendmsg sendmsg(MSG_DEALLOC_VGPRS)
	s_endpgm
	.section	.rodata,"a",@progbits
	.p2align	6, 0x0
	.amdhsa_kernel _ZN2at6native12_GLOBAL__N_125multi_tensor_apply_kernelINS1_18TensorListMetadataILi4EEENS1_32PointwiseOpScalar0dTensorFunctorIN3c107complexIfEELi4ELi2ELi3EEEJSt7dividesIS8_ES8_EEEvT_T0_DpT1_
		.amdhsa_group_segment_fixed_size 0
		.amdhsa_private_segment_fixed_size 0
		.amdhsa_kernarg_size 3320
		.amdhsa_user_sgpr_count 15
		.amdhsa_user_sgpr_dispatch_ptr 0
		.amdhsa_user_sgpr_queue_ptr 0
		.amdhsa_user_sgpr_kernarg_segment_ptr 1
		.amdhsa_user_sgpr_dispatch_id 0
		.amdhsa_user_sgpr_private_segment_size 0
		.amdhsa_wavefront_size32 1
		.amdhsa_uses_dynamic_stack 0
		.amdhsa_enable_private_segment 0
		.amdhsa_system_sgpr_workgroup_id_x 1
		.amdhsa_system_sgpr_workgroup_id_y 0
		.amdhsa_system_sgpr_workgroup_id_z 0
		.amdhsa_system_sgpr_workgroup_info 0
		.amdhsa_system_vgpr_workitem_id 0
		.amdhsa_next_free_vgpr 60
		.amdhsa_next_free_sgpr 31
		.amdhsa_reserve_vcc 1
		.amdhsa_float_round_mode_32 0
		.amdhsa_float_round_mode_16_64 0
		.amdhsa_float_denorm_mode_32 3
		.amdhsa_float_denorm_mode_16_64 3
		.amdhsa_dx10_clamp 1
		.amdhsa_ieee_mode 1
		.amdhsa_fp16_overflow 0
		.amdhsa_workgroup_processor_mode 1
		.amdhsa_memory_ordered 1
		.amdhsa_forward_progress 0
		.amdhsa_shared_vgpr_count 0
		.amdhsa_exception_fp_ieee_invalid_op 0
		.amdhsa_exception_fp_denorm_src 0
		.amdhsa_exception_fp_ieee_div_zero 0
		.amdhsa_exception_fp_ieee_overflow 0
		.amdhsa_exception_fp_ieee_underflow 0
		.amdhsa_exception_fp_ieee_inexact 0
		.amdhsa_exception_int_div_zero 0
	.end_amdhsa_kernel
	.section	.text._ZN2at6native12_GLOBAL__N_125multi_tensor_apply_kernelINS1_18TensorListMetadataILi4EEENS1_32PointwiseOpScalar0dTensorFunctorIN3c107complexIfEELi4ELi2ELi3EEEJSt7dividesIS8_ES8_EEEvT_T0_DpT1_,"axG",@progbits,_ZN2at6native12_GLOBAL__N_125multi_tensor_apply_kernelINS1_18TensorListMetadataILi4EEENS1_32PointwiseOpScalar0dTensorFunctorIN3c107complexIfEELi4ELi2ELi3EEEJSt7dividesIS8_ES8_EEEvT_T0_DpT1_,comdat
.Lfunc_end63:
	.size	_ZN2at6native12_GLOBAL__N_125multi_tensor_apply_kernelINS1_18TensorListMetadataILi4EEENS1_32PointwiseOpScalar0dTensorFunctorIN3c107complexIfEELi4ELi2ELi3EEEJSt7dividesIS8_ES8_EEEvT_T0_DpT1_, .Lfunc_end63-_ZN2at6native12_GLOBAL__N_125multi_tensor_apply_kernelINS1_18TensorListMetadataILi4EEENS1_32PointwiseOpScalar0dTensorFunctorIN3c107complexIfEELi4ELi2ELi3EEEJSt7dividesIS8_ES8_EEEvT_T0_DpT1_
                                        ; -- End function
	.section	.AMDGPU.csdata,"",@progbits
; Kernel info:
; codeLenInByte = 13828
; NumSgprs: 33
; NumVgprs: 60
; ScratchSize: 0
; MemoryBound: 0
; FloatMode: 240
; IeeeMode: 1
; LDSByteSize: 0 bytes/workgroup (compile time only)
; SGPRBlocks: 4
; VGPRBlocks: 7
; NumSGPRsForWavesPerEU: 33
; NumVGPRsForWavesPerEU: 60
; Occupancy: 16
; WaveLimiterHint : 0
; COMPUTE_PGM_RSRC2:SCRATCH_EN: 0
; COMPUTE_PGM_RSRC2:USER_SGPR: 15
; COMPUTE_PGM_RSRC2:TRAP_HANDLER: 0
; COMPUTE_PGM_RSRC2:TGID_X_EN: 1
; COMPUTE_PGM_RSRC2:TGID_Y_EN: 0
; COMPUTE_PGM_RSRC2:TGID_Z_EN: 0
; COMPUTE_PGM_RSRC2:TIDIG_COMP_CNT: 0
	.section	.text._ZN2at6native12_GLOBAL__N_125multi_tensor_apply_kernelINS1_18TensorListMetadataILi4EEENS1_32PointwiseOpScalar0dTensorFunctorIN3c104HalfELi4ELi2ELi3EEEJSt7dividesIfEfEEEvT_T0_DpT1_,"axG",@progbits,_ZN2at6native12_GLOBAL__N_125multi_tensor_apply_kernelINS1_18TensorListMetadataILi4EEENS1_32PointwiseOpScalar0dTensorFunctorIN3c104HalfELi4ELi2ELi3EEEJSt7dividesIfEfEEEvT_T0_DpT1_,comdat
	.globl	_ZN2at6native12_GLOBAL__N_125multi_tensor_apply_kernelINS1_18TensorListMetadataILi4EEENS1_32PointwiseOpScalar0dTensorFunctorIN3c104HalfELi4ELi2ELi3EEEJSt7dividesIfEfEEEvT_T0_DpT1_ ; -- Begin function _ZN2at6native12_GLOBAL__N_125multi_tensor_apply_kernelINS1_18TensorListMetadataILi4EEENS1_32PointwiseOpScalar0dTensorFunctorIN3c104HalfELi4ELi2ELi3EEEJSt7dividesIfEfEEEvT_T0_DpT1_
	.p2align	8
	.type	_ZN2at6native12_GLOBAL__N_125multi_tensor_apply_kernelINS1_18TensorListMetadataILi4EEENS1_32PointwiseOpScalar0dTensorFunctorIN3c104HalfELi4ELi2ELi3EEEJSt7dividesIfEfEEEvT_T0_DpT1_,@function
_ZN2at6native12_GLOBAL__N_125multi_tensor_apply_kernelINS1_18TensorListMetadataILi4EEENS1_32PointwiseOpScalar0dTensorFunctorIN3c104HalfELi4ELi2ELi3EEEJSt7dividesIfEfEEEvT_T0_DpT1_: ; @_ZN2at6native12_GLOBAL__N_125multi_tensor_apply_kernelINS1_18TensorListMetadataILi4EEENS1_32PointwiseOpScalar0dTensorFunctorIN3c104HalfELi4ELi2ELi3EEEJSt7dividesIfEfEEEvT_T0_DpT1_
; %bb.0:
	v_dual_mov_b32 v1, s15 :: v_dual_mov_b32 v2, 0
	s_add_u32 s2, s0, s15
	s_mul_i32 s4, s15, 3
	s_addc_u32 s3, s1, 0
	global_load_u8 v1, v1, s[0:1] offset:1440
	s_load_b32 s16, s[0:1], 0xbec
	s_mul_hi_u32 s5, s15, 3
	s_add_u32 s2, s2, s4
	s_addc_u32 s3, s3, s5
	s_load_b32 s2, s[2:3], 0x6e0
	s_waitcnt vmcnt(0)
	v_readfirstlane_b32 s3, v1
	s_delay_alu instid0(VALU_DEP_1)
	s_lshl_b32 s8, s3, 3
	s_waitcnt lgkmcnt(0)
	s_ashr_i32 s3, s2, 31
	s_clause 0x4
	s_load_b64 s[4:5], s[0:1], s8 offset:0x120
	s_load_b64 s[10:11], s[0:1], s8 offset:0x240
	s_load_b64 s[12:13], s[0:1], s8 offset:0x360
	s_load_b64 s[14:15], s[0:1], s8 offset:0x0
	s_load_b64 s[24:25], s[0:1], s8 offset:0x480
	s_lshl_b64 s[6:7], s[2:3], 17
	s_waitcnt lgkmcnt(0)
	global_load_u16 v1, v2, s[4:5]
	s_mov_b32 s5, 0
	s_add_u32 s17, s14, s6
	s_addc_u32 s18, s15, s7
	s_add_u32 s4, s4, s6
	s_mov_b32 s9, s5
	s_and_b32 s8, s4, 7
	s_and_b32 s4, s17, 7
	s_cmp_lg_u64 s[8:9], 0
	s_cselect_b32 s8, -1, 0
	s_add_u32 s19, s10, s6
	s_addc_u32 s20, s11, s7
	s_add_u32 s21, s12, s6
	s_addc_u32 s22, s13, s7
	s_or_b32 s9, s21, s19
	s_delay_alu instid0(SALU_CYCLE_1) | instskip(NEXT) | instid1(SALU_CYCLE_1)
	s_and_b32 s9, s9, 7
	s_cmp_lg_u32 s9, 0
	s_cselect_b32 s9, -1, 0
	s_lshl_b64 s[2:3], s[2:3], 16
	s_or_b32 s23, s9, s8
	s_sub_u32 s8, s24, s2
	s_subb_u32 s9, s25, s3
	s_and_b32 s2, s24, 3
	s_mov_b32 s3, s5
	s_delay_alu instid0(SALU_CYCLE_1) | instskip(NEXT) | instid1(SALU_CYCLE_1)
	s_or_b64 s[2:3], s[4:5], s[2:3]
	s_cmp_lg_u64 s[2:3], 0
	s_cselect_b32 s2, -1, 0
	s_delay_alu instid0(SALU_CYCLE_1) | instskip(NEXT) | instid1(SALU_CYCLE_1)
	s_or_b32 s2, s23, s2
	s_and_not1_b32 vcc_lo, exec_lo, s2
	s_mov_b32 s2, -1
	s_waitcnt vmcnt(0)
	v_cvt_f32_f16_e32 v8, v1
	s_cbranch_vccz .LBB64_5
; %bb.1:
	v_lshlrev_b32_e32 v1, 2, v0
	s_mov_b32 s23, exec_lo
	s_delay_alu instid0(VALU_DEP_1)
	v_cmpx_gt_i64_e64 s[8:9], v[1:2]
	s_cbranch_execz .LBB64_4
; %bb.2:
	s_load_b32 s3, s[0:1], 0xbfc
	v_cmp_eq_f32_e64 s2, s16, 1.0
	v_dual_mov_b32 v2, 0 :: v_dual_lshlrev_b32 v3, 3, v0
	s_mov_b32 s24, 0
	s_waitcnt lgkmcnt(0)
	s_and_b32 s3, s3, 0xffff
	s_delay_alu instid0(SALU_CYCLE_1)
	v_add_lshl_u32 v1, v0, s3, 2
	s_lshl_b32 s25, s3, 2
	s_lshl_b32 s26, s3, 3
.LBB64_3:                               ; =>This Inner Loop Header: Depth=1
	v_add_co_u32 v4, s3, s19, v3
	s_delay_alu instid0(VALU_DEP_1) | instskip(SKIP_1) | instid1(VALU_DEP_1)
	v_add_co_ci_u32_e64 v5, null, s20, 0, s3
	v_add_co_u32 v6, s3, s17, v3
	v_add_co_ci_u32_e64 v7, null, s18, 0, s3
	global_load_b64 v[4:5], v[4:5], off
	global_load_b64 v[6:7], v[6:7], off
	v_cmp_le_i64_e32 vcc_lo, s[8:9], v[1:2]
	v_cmp_lt_u64_e64 s3, 0xffff, v[1:2]
	v_add_co_u32 v9, s4, s21, v3
	s_delay_alu instid0(VALU_DEP_1) | instskip(SKIP_1) | instid1(VALU_DEP_4)
	v_add_co_ci_u32_e64 v10, null, s22, 0, s4
	v_add_co_u32 v1, s4, v1, s25
	s_or_b32 s27, vcc_lo, s3
	v_add_co_ci_u32_e64 v2, s4, 0, v2, s4
	s_add_u32 s17, s17, s26
	s_addc_u32 s18, s18, 0
	s_add_u32 s21, s21, s26
	s_addc_u32 s22, s22, 0
	;; [unrolled: 2-line block ×3, first 2 shown]
	s_waitcnt vmcnt(1)
	v_lshrrev_b32_e32 v13, 16, v4
	v_lshrrev_b32_e32 v14, 16, v5
	v_cvt_f32_f16_e32 v4, v4
	v_cvt_f32_f16_e32 v5, v5
	s_waitcnt vmcnt(0)
	v_cvt_f32_f16_e32 v15, v6
	v_cvt_f32_f16_e32 v13, v13
	;; [unrolled: 1-line block ×3, first 2 shown]
	v_div_scale_f32 v17, null, v4, v4, v8
	v_div_scale_f32 v19, null, v5, v5, v8
	s_delay_alu instid0(VALU_DEP_4) | instskip(NEXT) | instid1(VALU_DEP_3)
	v_div_scale_f32 v22, null, v13, v13, v8
	v_rcp_f32_e32 v21, v17
	s_delay_alu instid0(VALU_DEP_2) | instskip(SKIP_1) | instid1(VALU_DEP_2)
	v_rcp_f32_e32 v24, v19
	v_div_scale_f32 v25, null, v14, v14, v8
	v_rcp_f32_e32 v27, v22
	v_div_scale_f32 v18, vcc_lo, v8, v4, v8
	s_delay_alu instid0(VALU_DEP_2) | instskip(SKIP_2) | instid1(TRANS32_DEP_3)
	v_rcp_f32_e32 v28, v25
	v_div_scale_f32 v23, s4, v8, v13, v8
	v_fma_f32 v29, -v17, v21, 1.0
	v_fma_f32 v30, -v19, v24, 1.0
	v_div_scale_f32 v20, s3, v8, v5, v8
	v_div_scale_f32 v26, s5, v8, v14, v8
	s_delay_alu instid0(VALU_DEP_3) | instskip(NEXT) | instid1(TRANS32_DEP_2)
	v_dual_fmac_f32 v21, v29, v21 :: v_dual_fmac_f32 v24, v30, v24
	v_fma_f32 v29, -v22, v27, 1.0
	s_delay_alu instid0(TRANS32_DEP_1) | instskip(SKIP_3) | instid1(VALU_DEP_4)
	v_fma_f32 v30, -v25, v28, 1.0
	v_lshrrev_b32_e32 v11, 16, v6
	v_lshrrev_b32_e32 v12, 16, v7
	v_cvt_f32_f16_e32 v16, v7
	v_dual_fmac_f32 v27, v29, v27 :: v_dual_fmac_f32 v28, v30, v28
	v_mul_f32_e32 v31, v18, v21
	v_cvt_f32_f16_e32 v11, v11
	v_cvt_f32_f16_e32 v12, v12
	s_delay_alu instid0(VALU_DEP_4) | instskip(NEXT) | instid1(VALU_DEP_4)
	v_mul_f32_e32 v32, v23, v27
	v_fma_f32 v30, -v17, v31, v18
	s_delay_alu instid0(VALU_DEP_1) | instskip(NEXT) | instid1(VALU_DEP_3)
	v_fmac_f32_e32 v31, v30, v21
	v_fma_f32 v30, -v22, v32, v23
	v_mul_f32_e32 v29, v20, v24
	s_delay_alu instid0(VALU_DEP_3) | instskip(NEXT) | instid1(VALU_DEP_3)
	v_fma_f32 v17, -v17, v31, v18
	v_fmac_f32_e32 v32, v30, v27
	s_delay_alu instid0(VALU_DEP_3) | instskip(NEXT) | instid1(VALU_DEP_3)
	v_fma_f32 v33, -v19, v29, v20
	v_div_fmas_f32 v17, v17, v21, v31
	s_mov_b32 vcc_lo, s4
	s_delay_alu instid0(VALU_DEP_2) | instskip(NEXT) | instid1(VALU_DEP_2)
	v_fmac_f32_e32 v29, v33, v24
	v_div_fixup_f32 v4, v17, v4, v8
	v_mul_f32_e32 v34, v26, v28
	s_delay_alu instid0(VALU_DEP_3) | instskip(SKIP_1) | instid1(VALU_DEP_4)
	v_fma_f32 v18, -v19, v29, v20
	v_fma_f32 v19, -v22, v32, v23
	v_add_f32_e32 v15, v4, v15
	s_delay_alu instid0(VALU_DEP_4) | instskip(SKIP_1) | instid1(VALU_DEP_4)
	v_fma_f32 v33, -v25, v34, v26
	v_fma_mix_f32 v4, s16, v4, v6 op_sel_hi:[0,0,1]
	v_div_fmas_f32 v17, v19, v27, v32
	s_mov_b32 vcc_lo, s3
	s_and_b32 s3, exec_lo, s27
	v_fmac_f32_e32 v34, v33, v28
	v_div_fmas_f32 v18, v18, v24, v29
	s_mov_b32 vcc_lo, s5
	v_div_fixup_f32 v13, v17, v13, v8
	v_cndmask_b32_e64 v4, v4, v15, s2
	v_fma_f32 v20, -v25, v34, v26
	v_div_fixup_f32 v5, v18, v5, v8
	s_or_b32 s24, s3, s24
	v_fma_mix_f32 v6, s16, v13, v6 op_sel:[0,0,1] op_sel_hi:[0,0,1]
	v_cvt_f16_f32_e32 v4, v4
	v_div_fmas_f32 v19, v20, v28, v34
	s_delay_alu instid0(VALU_DEP_1) | instskip(SKIP_3) | instid1(VALU_DEP_4)
	v_div_fixup_f32 v14, v19, v14, v8
	v_add_f32_e32 v11, v13, v11
	v_add_f32_e32 v13, v5, v16
	v_fma_mix_f32 v5, s16, v5, v7 op_sel_hi:[0,0,1]
	v_add_f32_e32 v12, v14, v12
	v_fma_mix_f32 v7, s16, v14, v7 op_sel:[0,0,1] op_sel_hi:[0,0,1]
	v_cndmask_b32_e64 v6, v6, v11, s2
	s_delay_alu instid0(VALU_DEP_4) | instskip(NEXT) | instid1(VALU_DEP_3)
	v_cndmask_b32_e64 v5, v5, v13, s2
	v_cndmask_b32_e64 v7, v7, v12, s2
	s_delay_alu instid0(VALU_DEP_3) | instskip(NEXT) | instid1(VALU_DEP_3)
	v_cvt_f16_f32_e32 v6, v6
	v_cvt_f16_f32_e32 v5, v5
	s_delay_alu instid0(VALU_DEP_3) | instskip(NEXT) | instid1(VALU_DEP_3)
	v_cvt_f16_f32_e32 v7, v7
	v_pack_b32_f16 v4, v4, v6
	s_delay_alu instid0(VALU_DEP_2)
	v_pack_b32_f16 v5, v5, v7
	global_store_b64 v[9:10], v[4:5], off
	s_and_not1_b32 exec_lo, exec_lo, s24
	s_cbranch_execnz .LBB64_3
.LBB64_4:
	s_or_b32 exec_lo, exec_lo, s23
	s_mov_b32 s2, 0
.LBB64_5:
	s_delay_alu instid0(SALU_CYCLE_1)
	s_and_not1_b32 vcc_lo, exec_lo, s2
	s_cbranch_vccnz .LBB64_25
; %bb.6:
	v_cmp_lt_i64_e64 s2, s[8:9], 1
	s_delay_alu instid0(VALU_DEP_1)
	s_and_b32 vcc_lo, exec_lo, s2
	s_cbranch_vccnz .LBB64_25
; %bb.7:
	s_load_b32 s1, s[0:1], 0xbfc
	v_dual_mov_b32 v1, 0 :: v_dual_lshlrev_b32 v2, 1, v0
	v_cmp_gt_u64_e64 s2, 0x10000, s[8:9]
	v_cmp_eq_f32_e64 s0, s16, 1.0
	s_mov_b32 s3, 0
	s_delay_alu instid0(VALU_DEP_3) | instskip(SKIP_1) | instid1(VALU_DEP_1)
	v_mov_b32_e32 v3, v1
	v_add_co_u32 v9, s4, s14, v2
	v_add_co_ci_u32_e64 v10, null, s15, 0, s4
	v_add_co_u32 v11, s4, s10, v2
	s_delay_alu instid0(VALU_DEP_1)
	v_add_co_ci_u32_e64 v12, null, s11, 0, s4
	s_waitcnt lgkmcnt(0)
	s_and_b32 s17, s1, 0xffff
	v_add_co_u32 v13, s1, s12, v2
	v_mad_u64_u32 v[4:5], null, s17, 6, v[2:3]
	v_add_co_ci_u32_e64 v14, null, s13, 0, s1
	s_and_b32 s1, s2, exec_lo
	s_cselect_b32 s5, s9, 0
	s_cselect_b32 s4, s8, 0x10000
	s_lshl_b32 s2, s17, 2
	s_delay_alu instid0(VALU_DEP_2) | instskip(NEXT) | instid1(VALU_DEP_3)
	v_add_co_u32 v15, vcc_lo, s14, v4
	v_add_co_ci_u32_e32 v16, vcc_lo, s15, v5, vcc_lo
	v_add_co_u32 v17, vcc_lo, s10, v4
	v_add_co_u32 v2, s1, s2, v2
	v_add_co_ci_u32_e32 v18, vcc_lo, s11, v5, vcc_lo
	v_add_co_ci_u32_e64 v3, null, 0, 0, s1
	v_add_co_u32 v19, vcc_lo, s12, v4
	v_add_lshl_u32 v4, v0, s17, 1
	v_add_co_ci_u32_e32 v20, vcc_lo, s13, v5, vcc_lo
	v_add_co_u32 v21, vcc_lo, s14, v2
	v_add_co_ci_u32_e32 v22, vcc_lo, s15, v3, vcc_lo
	s_delay_alu instid0(VALU_DEP_4)
	v_add_co_u32 v27, s1, s14, v4
	v_add_co_u32 v23, vcc_lo, s10, v2
	v_add_co_ci_u32_e64 v28, null, s15, 0, s1
	v_add_co_u32 v29, s1, s10, v4
	v_add_co_ci_u32_e32 v24, vcc_lo, s11, v3, vcc_lo
	v_add_co_u32 v25, vcc_lo, s12, v2
	v_add_co_ci_u32_e64 v30, null, s11, 0, s1
	v_add_co_u32 v31, s1, s12, v4
	v_add_co_ci_u32_e32 v26, vcc_lo, s13, v3, vcc_lo
	v_add_co_ci_u32_e64 v32, null, s13, 0, s1
	s_lshl_b32 s18, s17, 1
	s_mul_i32 s12, s17, 3
	s_lshl_b32 s13, s17, 3
	s_mov_b64 s[10:11], s[2:3]
	s_branch .LBB64_9
.LBB64_8:                               ;   in Loop: Header=BB64_9 Depth=1
	s_or_b32 exec_lo, exec_lo, s1
	v_add_co_u32 v9, vcc_lo, v9, s13
	v_add_co_ci_u32_e32 v10, vcc_lo, 0, v10, vcc_lo
	v_add_co_u32 v11, vcc_lo, v11, s13
	v_add_co_ci_u32_e32 v12, vcc_lo, 0, v12, vcc_lo
	;; [unrolled: 2-line block ×11, first 2 shown]
	v_cmp_ge_i64_e64 s1, s[10:11], s[8:9]
	v_cmp_lt_u64_e64 s3, 0xffff, s[10:11]
	v_add_co_u32 v29, vcc_lo, v29, s13
	v_add_co_ci_u32_e32 v30, vcc_lo, 0, v30, vcc_lo
	v_add_co_u32 v31, vcc_lo, v31, s13
	v_add_co_ci_u32_e32 v32, vcc_lo, 0, v32, vcc_lo
	s_or_b32 s1, s1, s3
	s_add_u32 s10, s10, s2
	s_addc_u32 s11, s11, 0
	s_and_b32 vcc_lo, exec_lo, s1
	s_cbranch_vccnz .LBB64_25
.LBB64_9:                               ; =>This Inner Loop Header: Depth=1
	v_cmp_gt_i64_e32 vcc_lo, s[8:9], v[0:1]
	v_cmp_gt_u64_e64 s1, 0x10000, v[0:1]
	s_waitcnt vmcnt(0)
	v_dual_mov_b32 v40, 0 :: v_dual_mov_b32 v37, 0
	s_delay_alu instid0(VALU_DEP_2) | instskip(NEXT) | instid1(SALU_CYCLE_1)
	s_and_b32 s3, vcc_lo, s1
	s_and_saveexec_b32 s1, s3
	s_cbranch_execz .LBB64_11
; %bb.10:                               ;   in Loop: Header=BB64_9 Depth=1
	v_add_co_u32 v2, vcc_lo, v9, s6
	v_add_co_ci_u32_e32 v3, vcc_lo, s7, v10, vcc_lo
	v_add_co_u32 v4, vcc_lo, v11, s6
	v_add_co_ci_u32_e32 v5, vcc_lo, s7, v12, vcc_lo
	global_load_u16 v37, v[2:3], off
	global_load_u16 v40, v[4:5], off
.LBB64_11:                              ;   in Loop: Header=BB64_9 Depth=1
	s_or_b32 exec_lo, exec_lo, s1
	v_add_co_u32 v6, vcc_lo, s17, v0
	v_add_co_ci_u32_e32 v7, vcc_lo, 0, v1, vcc_lo
	v_dual_mov_b32 v33, 0 :: v_dual_mov_b32 v36, 0
	v_mov_b32_e32 v39, 0
	s_delay_alu instid0(VALU_DEP_3) | instskip(SKIP_1) | instid1(VALU_DEP_1)
	v_cmp_gt_i64_e32 vcc_lo, s[8:9], v[6:7]
	v_cmp_gt_u64_e64 s1, 0x10000, v[6:7]
	s_and_b32 s3, vcc_lo, s1
	s_delay_alu instid0(SALU_CYCLE_1)
	s_and_saveexec_b32 s1, s3
	s_cbranch_execz .LBB64_13
; %bb.12:                               ;   in Loop: Header=BB64_9 Depth=1
	v_add_co_u32 v2, vcc_lo, v27, s6
	v_add_co_ci_u32_e32 v3, vcc_lo, s7, v28, vcc_lo
	v_add_co_u32 v4, vcc_lo, v29, s6
	v_add_co_ci_u32_e32 v5, vcc_lo, s7, v30, vcc_lo
	global_load_u16 v36, v[2:3], off
	global_load_u16 v39, v[4:5], off
.LBB64_13:                              ;   in Loop: Header=BB64_9 Depth=1
	s_or_b32 exec_lo, exec_lo, s1
	v_add_co_u32 v4, vcc_lo, s18, v0
	v_add_co_ci_u32_e32 v5, vcc_lo, 0, v1, vcc_lo
	v_mov_b32_e32 v35, 0
	s_delay_alu instid0(VALU_DEP_2) | instskip(SKIP_1) | instid1(VALU_DEP_1)
	v_cmp_gt_i64_e32 vcc_lo, s[8:9], v[4:5]
	v_cmp_gt_u64_e64 s1, 0x10000, v[4:5]
	s_and_b32 s3, vcc_lo, s1
	s_delay_alu instid0(SALU_CYCLE_1)
	s_and_saveexec_b32 s1, s3
	s_cbranch_execz .LBB64_15
; %bb.14:                               ;   in Loop: Header=BB64_9 Depth=1
	v_add_co_u32 v2, vcc_lo, v21, s6
	v_add_co_ci_u32_e32 v3, vcc_lo, s7, v22, vcc_lo
	v_add_co_u32 v33, vcc_lo, v23, s6
	v_add_co_ci_u32_e32 v34, vcc_lo, s7, v24, vcc_lo
	global_load_u16 v35, v[2:3], off
	global_load_u16 v33, v[33:34], off
.LBB64_15:                              ;   in Loop: Header=BB64_9 Depth=1
	s_or_b32 exec_lo, exec_lo, s1
	v_add_co_u32 v2, vcc_lo, s12, v0
	v_add_co_ci_u32_e32 v3, vcc_lo, 0, v1, vcc_lo
	v_mov_b32_e32 v38, 0
	v_mov_b32_e32 v34, 0
	s_delay_alu instid0(VALU_DEP_3) | instskip(SKIP_1) | instid1(VALU_DEP_1)
	v_cmp_gt_i64_e32 vcc_lo, s[8:9], v[2:3]
	v_cmp_gt_u64_e64 s1, 0x10000, v[2:3]
	s_and_b32 s3, vcc_lo, s1
	s_delay_alu instid0(SALU_CYCLE_1)
	s_and_saveexec_b32 s1, s3
	s_cbranch_execnz .LBB64_20
; %bb.16:                               ;   in Loop: Header=BB64_9 Depth=1
	s_or_b32 exec_lo, exec_lo, s1
	s_delay_alu instid0(SALU_CYCLE_1)
	s_mov_b32 s1, exec_lo
	v_cmpx_gt_u64_e64 s[4:5], v[0:1]
	s_cbranch_execnz .LBB64_21
.LBB64_17:                              ;   in Loop: Header=BB64_9 Depth=1
	s_or_b32 exec_lo, exec_lo, s1
	s_delay_alu instid0(SALU_CYCLE_1)
	s_mov_b32 s1, exec_lo
	v_cmpx_gt_u64_e64 s[4:5], v[6:7]
	s_cbranch_execnz .LBB64_22
.LBB64_18:                              ;   in Loop: Header=BB64_9 Depth=1
	s_or_b32 exec_lo, exec_lo, s1
	s_delay_alu instid0(SALU_CYCLE_1)
	s_mov_b32 s1, exec_lo
	v_cmpx_gt_u64_e64 s[4:5], v[4:5]
	s_cbranch_execnz .LBB64_23
.LBB64_19:                              ;   in Loop: Header=BB64_9 Depth=1
	s_or_b32 exec_lo, exec_lo, s1
	s_delay_alu instid0(SALU_CYCLE_1)
	s_mov_b32 s1, exec_lo
	v_cmpx_gt_u64_e64 s[4:5], v[2:3]
	s_cbranch_execz .LBB64_8
	s_branch .LBB64_24
.LBB64_20:                              ;   in Loop: Header=BB64_9 Depth=1
	v_add_co_u32 v41, vcc_lo, v15, s6
	v_add_co_ci_u32_e32 v42, vcc_lo, s7, v16, vcc_lo
	v_add_co_u32 v43, vcc_lo, v17, s6
	v_add_co_ci_u32_e32 v44, vcc_lo, s7, v18, vcc_lo
	global_load_u16 v34, v[41:42], off
	global_load_u16 v38, v[43:44], off
	s_or_b32 exec_lo, exec_lo, s1
	s_delay_alu instid0(SALU_CYCLE_1)
	s_mov_b32 s1, exec_lo
	v_cmpx_gt_u64_e64 s[4:5], v[0:1]
	s_cbranch_execz .LBB64_17
.LBB64_21:                              ;   in Loop: Header=BB64_9 Depth=1
	s_waitcnt vmcnt(0)
	v_cvt_f32_f16_e32 v40, v40
	s_delay_alu instid0(VALU_DEP_1) | instskip(SKIP_1) | instid1(VALU_DEP_2)
	v_div_scale_f32 v41, null, v40, v40, v8
	v_div_scale_f32 v44, vcc_lo, v8, v40, v8
	v_rcp_f32_e32 v42, v41
	s_waitcnt_depctr 0xfff
	v_fma_f32 v43, -v41, v42, 1.0
	s_delay_alu instid0(VALU_DEP_1) | instskip(NEXT) | instid1(VALU_DEP_1)
	v_fmac_f32_e32 v42, v43, v42
	v_mul_f32_e32 v43, v44, v42
	s_delay_alu instid0(VALU_DEP_1) | instskip(NEXT) | instid1(VALU_DEP_1)
	v_fma_f32 v45, -v41, v43, v44
	v_fmac_f32_e32 v43, v45, v42
	s_delay_alu instid0(VALU_DEP_1) | instskip(NEXT) | instid1(VALU_DEP_1)
	v_fma_f32 v41, -v41, v43, v44
	v_div_fmas_f32 v41, v41, v42, v43
	v_cvt_f32_f16_e32 v42, v37
	s_delay_alu instid0(VALU_DEP_2) | instskip(NEXT) | instid1(VALU_DEP_1)
	v_div_fixup_f32 v40, v41, v40, v8
	v_add_f32_e32 v41, v40, v42
	v_fma_mix_f32 v37, s16, v40, v37 op_sel_hi:[0,0,1]
	v_add_co_u32 v40, vcc_lo, v13, s6
	s_delay_alu instid0(VALU_DEP_2) | instskip(SKIP_1) | instid1(VALU_DEP_2)
	v_cndmask_b32_e64 v37, v37, v41, s0
	v_add_co_ci_u32_e32 v41, vcc_lo, s7, v14, vcc_lo
	v_cvt_f16_f32_e32 v37, v37
	global_store_b16 v[40:41], v37, off
	s_or_b32 exec_lo, exec_lo, s1
	s_delay_alu instid0(SALU_CYCLE_1)
	s_mov_b32 s1, exec_lo
	v_cmpx_gt_u64_e64 s[4:5], v[6:7]
	s_cbranch_execz .LBB64_18
.LBB64_22:                              ;   in Loop: Header=BB64_9 Depth=1
	s_waitcnt vmcnt(0)
	v_cvt_f32_f16_e32 v6, v39
	s_delay_alu instid0(VALU_DEP_1) | instskip(SKIP_1) | instid1(VALU_DEP_2)
	v_div_scale_f32 v7, null, v6, v6, v8
	v_div_scale_f32 v40, vcc_lo, v8, v6, v8
	v_rcp_f32_e32 v37, v7
	s_waitcnt_depctr 0xfff
	v_fma_f32 v39, -v7, v37, 1.0
	s_delay_alu instid0(VALU_DEP_1) | instskip(NEXT) | instid1(VALU_DEP_1)
	v_fmac_f32_e32 v37, v39, v37
	v_mul_f32_e32 v39, v40, v37
	s_delay_alu instid0(VALU_DEP_1) | instskip(NEXT) | instid1(VALU_DEP_1)
	v_fma_f32 v41, -v7, v39, v40
	v_fmac_f32_e32 v39, v41, v37
	s_delay_alu instid0(VALU_DEP_1) | instskip(NEXT) | instid1(VALU_DEP_1)
	v_fma_f32 v7, -v7, v39, v40
	v_div_fmas_f32 v7, v7, v37, v39
	v_cvt_f32_f16_e32 v37, v36
	s_delay_alu instid0(VALU_DEP_2) | instskip(NEXT) | instid1(VALU_DEP_1)
	v_div_fixup_f32 v6, v7, v6, v8
	v_add_f32_e32 v7, v6, v37
	v_fma_mix_f32 v6, s16, v6, v36 op_sel_hi:[0,0,1]
	s_delay_alu instid0(VALU_DEP_1) | instskip(NEXT) | instid1(VALU_DEP_1)
	v_cndmask_b32_e64 v6, v6, v7, s0
	v_cvt_f16_f32_e32 v36, v6
	v_add_co_u32 v6, vcc_lo, v31, s6
	v_add_co_ci_u32_e32 v7, vcc_lo, s7, v32, vcc_lo
	global_store_b16 v[6:7], v36, off
	s_or_b32 exec_lo, exec_lo, s1
	s_delay_alu instid0(SALU_CYCLE_1)
	s_mov_b32 s1, exec_lo
	v_cmpx_gt_u64_e64 s[4:5], v[4:5]
	s_cbranch_execz .LBB64_19
.LBB64_23:                              ;   in Loop: Header=BB64_9 Depth=1
	s_waitcnt vmcnt(0)
	v_cvt_f32_f16_e32 v4, v33
	s_delay_alu instid0(VALU_DEP_1) | instskip(SKIP_1) | instid1(VALU_DEP_2)
	v_div_scale_f32 v5, null, v4, v4, v8
	v_div_scale_f32 v33, vcc_lo, v8, v4, v8
	v_rcp_f32_e32 v6, v5
	s_waitcnt_depctr 0xfff
	v_fma_f32 v7, -v5, v6, 1.0
	s_delay_alu instid0(VALU_DEP_1) | instskip(NEXT) | instid1(VALU_DEP_1)
	v_fmac_f32_e32 v6, v7, v6
	v_mul_f32_e32 v7, v33, v6
	s_delay_alu instid0(VALU_DEP_1) | instskip(NEXT) | instid1(VALU_DEP_1)
	v_fma_f32 v36, -v5, v7, v33
	v_fmac_f32_e32 v7, v36, v6
	s_delay_alu instid0(VALU_DEP_1) | instskip(NEXT) | instid1(VALU_DEP_1)
	v_fma_f32 v5, -v5, v7, v33
	v_div_fmas_f32 v5, v5, v6, v7
	v_cvt_f32_f16_e32 v6, v35
	s_delay_alu instid0(VALU_DEP_2) | instskip(NEXT) | instid1(VALU_DEP_1)
	v_div_fixup_f32 v4, v5, v4, v8
	v_add_f32_e32 v5, v4, v6
	v_fma_mix_f32 v4, s16, v4, v35 op_sel_hi:[0,0,1]
	s_delay_alu instid0(VALU_DEP_1) | instskip(NEXT) | instid1(VALU_DEP_1)
	v_cndmask_b32_e64 v4, v4, v5, s0
	v_cvt_f16_f32_e32 v6, v4
	v_add_co_u32 v4, vcc_lo, v25, s6
	v_add_co_ci_u32_e32 v5, vcc_lo, s7, v26, vcc_lo
	global_store_b16 v[4:5], v6, off
	s_or_b32 exec_lo, exec_lo, s1
	s_delay_alu instid0(SALU_CYCLE_1)
	s_mov_b32 s1, exec_lo
	v_cmpx_gt_u64_e64 s[4:5], v[2:3]
	s_cbranch_execz .LBB64_8
.LBB64_24:                              ;   in Loop: Header=BB64_9 Depth=1
	s_waitcnt vmcnt(0)
	v_cvt_f32_f16_e32 v2, v38
	s_delay_alu instid0(VALU_DEP_1) | instskip(SKIP_1) | instid1(VALU_DEP_2)
	v_div_scale_f32 v3, null, v2, v2, v8
	v_div_scale_f32 v6, vcc_lo, v8, v2, v8
	v_rcp_f32_e32 v4, v3
	s_waitcnt_depctr 0xfff
	v_fma_f32 v5, -v3, v4, 1.0
	s_delay_alu instid0(VALU_DEP_1) | instskip(NEXT) | instid1(VALU_DEP_1)
	v_fmac_f32_e32 v4, v5, v4
	v_mul_f32_e32 v5, v6, v4
	s_delay_alu instid0(VALU_DEP_1) | instskip(NEXT) | instid1(VALU_DEP_1)
	v_fma_f32 v7, -v3, v5, v6
	v_fmac_f32_e32 v5, v7, v4
	s_delay_alu instid0(VALU_DEP_1) | instskip(NEXT) | instid1(VALU_DEP_1)
	v_fma_f32 v3, -v3, v5, v6
	v_div_fmas_f32 v3, v3, v4, v5
	v_cvt_f32_f16_e32 v4, v34
	s_delay_alu instid0(VALU_DEP_2) | instskip(NEXT) | instid1(VALU_DEP_1)
	v_div_fixup_f32 v2, v3, v2, v8
	v_add_f32_e32 v3, v2, v4
	v_fma_mix_f32 v2, s16, v2, v34 op_sel_hi:[0,0,1]
	s_delay_alu instid0(VALU_DEP_1) | instskip(NEXT) | instid1(VALU_DEP_1)
	v_cndmask_b32_e64 v2, v2, v3, s0
	v_cvt_f16_f32_e32 v4, v2
	v_add_co_u32 v2, vcc_lo, v19, s6
	v_add_co_ci_u32_e32 v3, vcc_lo, s7, v20, vcc_lo
	global_store_b16 v[2:3], v4, off
	s_branch .LBB64_8
.LBB64_25:
	s_nop 0
	s_sendmsg sendmsg(MSG_DEALLOC_VGPRS)
	s_endpgm
	.section	.rodata,"a",@progbits
	.p2align	6, 0x0
	.amdhsa_kernel _ZN2at6native12_GLOBAL__N_125multi_tensor_apply_kernelINS1_18TensorListMetadataILi4EEENS1_32PointwiseOpScalar0dTensorFunctorIN3c104HalfELi4ELi2ELi3EEEJSt7dividesIfEfEEEvT_T0_DpT1_
		.amdhsa_group_segment_fixed_size 0
		.amdhsa_private_segment_fixed_size 0
		.amdhsa_kernarg_size 3312
		.amdhsa_user_sgpr_count 15
		.amdhsa_user_sgpr_dispatch_ptr 0
		.amdhsa_user_sgpr_queue_ptr 0
		.amdhsa_user_sgpr_kernarg_segment_ptr 1
		.amdhsa_user_sgpr_dispatch_id 0
		.amdhsa_user_sgpr_private_segment_size 0
		.amdhsa_wavefront_size32 1
		.amdhsa_uses_dynamic_stack 0
		.amdhsa_enable_private_segment 0
		.amdhsa_system_sgpr_workgroup_id_x 1
		.amdhsa_system_sgpr_workgroup_id_y 0
		.amdhsa_system_sgpr_workgroup_id_z 0
		.amdhsa_system_sgpr_workgroup_info 0
		.amdhsa_system_vgpr_workitem_id 0
		.amdhsa_next_free_vgpr 46
		.amdhsa_next_free_sgpr 28
		.amdhsa_reserve_vcc 1
		.amdhsa_float_round_mode_32 0
		.amdhsa_float_round_mode_16_64 0
		.amdhsa_float_denorm_mode_32 3
		.amdhsa_float_denorm_mode_16_64 3
		.amdhsa_dx10_clamp 1
		.amdhsa_ieee_mode 1
		.amdhsa_fp16_overflow 0
		.amdhsa_workgroup_processor_mode 1
		.amdhsa_memory_ordered 1
		.amdhsa_forward_progress 0
		.amdhsa_shared_vgpr_count 0
		.amdhsa_exception_fp_ieee_invalid_op 0
		.amdhsa_exception_fp_denorm_src 0
		.amdhsa_exception_fp_ieee_div_zero 0
		.amdhsa_exception_fp_ieee_overflow 0
		.amdhsa_exception_fp_ieee_underflow 0
		.amdhsa_exception_fp_ieee_inexact 0
		.amdhsa_exception_int_div_zero 0
	.end_amdhsa_kernel
	.section	.text._ZN2at6native12_GLOBAL__N_125multi_tensor_apply_kernelINS1_18TensorListMetadataILi4EEENS1_32PointwiseOpScalar0dTensorFunctorIN3c104HalfELi4ELi2ELi3EEEJSt7dividesIfEfEEEvT_T0_DpT1_,"axG",@progbits,_ZN2at6native12_GLOBAL__N_125multi_tensor_apply_kernelINS1_18TensorListMetadataILi4EEENS1_32PointwiseOpScalar0dTensorFunctorIN3c104HalfELi4ELi2ELi3EEEJSt7dividesIfEfEEEvT_T0_DpT1_,comdat
.Lfunc_end64:
	.size	_ZN2at6native12_GLOBAL__N_125multi_tensor_apply_kernelINS1_18TensorListMetadataILi4EEENS1_32PointwiseOpScalar0dTensorFunctorIN3c104HalfELi4ELi2ELi3EEEJSt7dividesIfEfEEEvT_T0_DpT1_, .Lfunc_end64-_ZN2at6native12_GLOBAL__N_125multi_tensor_apply_kernelINS1_18TensorListMetadataILi4EEENS1_32PointwiseOpScalar0dTensorFunctorIN3c104HalfELi4ELi2ELi3EEEJSt7dividesIfEfEEEvT_T0_DpT1_
                                        ; -- End function
	.section	.AMDGPU.csdata,"",@progbits
; Kernel info:
; codeLenInByte = 2828
; NumSgprs: 30
; NumVgprs: 46
; ScratchSize: 0
; MemoryBound: 0
; FloatMode: 240
; IeeeMode: 1
; LDSByteSize: 0 bytes/workgroup (compile time only)
; SGPRBlocks: 3
; VGPRBlocks: 5
; NumSGPRsForWavesPerEU: 30
; NumVGPRsForWavesPerEU: 46
; Occupancy: 16
; WaveLimiterHint : 0
; COMPUTE_PGM_RSRC2:SCRATCH_EN: 0
; COMPUTE_PGM_RSRC2:USER_SGPR: 15
; COMPUTE_PGM_RSRC2:TRAP_HANDLER: 0
; COMPUTE_PGM_RSRC2:TGID_X_EN: 1
; COMPUTE_PGM_RSRC2:TGID_Y_EN: 0
; COMPUTE_PGM_RSRC2:TGID_Z_EN: 0
; COMPUTE_PGM_RSRC2:TIDIG_COMP_CNT: 0
	.section	.text._ZN2at6native12_GLOBAL__N_125multi_tensor_apply_kernelINS1_18TensorListMetadataILi4EEENS1_32PointwiseOpScalar0dTensorFunctorIN3c108BFloat16ELi4ELi2ELi3EEEJSt7dividesIfEfEEEvT_T0_DpT1_,"axG",@progbits,_ZN2at6native12_GLOBAL__N_125multi_tensor_apply_kernelINS1_18TensorListMetadataILi4EEENS1_32PointwiseOpScalar0dTensorFunctorIN3c108BFloat16ELi4ELi2ELi3EEEJSt7dividesIfEfEEEvT_T0_DpT1_,comdat
	.globl	_ZN2at6native12_GLOBAL__N_125multi_tensor_apply_kernelINS1_18TensorListMetadataILi4EEENS1_32PointwiseOpScalar0dTensorFunctorIN3c108BFloat16ELi4ELi2ELi3EEEJSt7dividesIfEfEEEvT_T0_DpT1_ ; -- Begin function _ZN2at6native12_GLOBAL__N_125multi_tensor_apply_kernelINS1_18TensorListMetadataILi4EEENS1_32PointwiseOpScalar0dTensorFunctorIN3c108BFloat16ELi4ELi2ELi3EEEJSt7dividesIfEfEEEvT_T0_DpT1_
	.p2align	8
	.type	_ZN2at6native12_GLOBAL__N_125multi_tensor_apply_kernelINS1_18TensorListMetadataILi4EEENS1_32PointwiseOpScalar0dTensorFunctorIN3c108BFloat16ELi4ELi2ELi3EEEJSt7dividesIfEfEEEvT_T0_DpT1_,@function
_ZN2at6native12_GLOBAL__N_125multi_tensor_apply_kernelINS1_18TensorListMetadataILi4EEENS1_32PointwiseOpScalar0dTensorFunctorIN3c108BFloat16ELi4ELi2ELi3EEEJSt7dividesIfEfEEEvT_T0_DpT1_: ; @_ZN2at6native12_GLOBAL__N_125multi_tensor_apply_kernelINS1_18TensorListMetadataILi4EEENS1_32PointwiseOpScalar0dTensorFunctorIN3c108BFloat16ELi4ELi2ELi3EEEJSt7dividesIfEfEEEvT_T0_DpT1_
; %bb.0:
	v_dual_mov_b32 v1, s15 :: v_dual_mov_b32 v2, 0
	s_add_u32 s2, s0, s15
	s_mul_i32 s4, s15, 3
	s_addc_u32 s3, s1, 0
	global_load_u8 v1, v1, s[0:1] offset:1440
	s_mul_hi_u32 s5, s15, 3
	s_add_u32 s2, s2, s4
	s_addc_u32 s3, s3, s5
	s_load_b32 s2, s[2:3], 0x6e0
	s_waitcnt vmcnt(0)
	v_readfirstlane_b32 s3, v1
	s_delay_alu instid0(VALU_DEP_1)
	s_lshl_b32 s6, s3, 3
	s_waitcnt lgkmcnt(0)
	s_ashr_i32 s3, s2, 31
	s_clause 0x3
	s_load_b64 s[4:5], s[0:1], s6 offset:0x120
	s_load_b64 s[16:17], s[0:1], s6 offset:0x240
	;; [unrolled: 1-line block ×4, first 2 shown]
	s_lshl_b64 s[10:11], s[2:3], 17
	s_load_b64 s[6:7], s[0:1], s6 offset:0x480
	s_waitcnt lgkmcnt(0)
	global_load_u16 v1, v2, s[4:5]
	s_add_u32 s4, s4, s10
	s_mov_b32 s5, 0
	s_and_b32 s8, s4, 7
	s_mov_b32 s9, s5
	s_and_b32 s4, s18, 7
	s_cmp_lg_u64 s[8:9], 0
	s_cselect_b32 s8, -1, 0
	s_add_u32 s9, s16, s10
	s_delay_alu instid0(SALU_CYCLE_1) | instskip(NEXT) | instid1(SALU_CYCLE_1)
	s_or_b32 s9, s14, s9
	s_and_b32 s9, s9, 7
	s_delay_alu instid0(SALU_CYCLE_1)
	s_cmp_lg_u32 s9, 0
	s_cselect_b32 s9, -1, 0
	s_lshl_b64 s[2:3], s[2:3], 16
	s_or_b32 s8, s9, s8
	s_load_b32 s9, s[0:1], 0xbec
	s_sub_u32 s12, s6, s2
	s_subb_u32 s13, s7, s3
	s_and_b32 s2, s6, 3
	s_mov_b32 s3, s5
	s_delay_alu instid0(SALU_CYCLE_1) | instskip(NEXT) | instid1(SALU_CYCLE_1)
	s_or_b64 s[2:3], s[4:5], s[2:3]
	s_cmp_lg_u64 s[2:3], 0
	s_cselect_b32 s2, -1, 0
	s_delay_alu instid0(SALU_CYCLE_1) | instskip(NEXT) | instid1(SALU_CYCLE_1)
	s_or_b32 s2, s8, s2
	s_and_not1_b32 vcc_lo, exec_lo, s2
	s_mov_b32 s2, -1
	s_waitcnt vmcnt(0)
	v_lshlrev_b32_e32 v12, 16, v1
	s_cbranch_vccz .LBB65_5
; %bb.1:
	v_lshlrev_b32_e32 v1, 2, v0
	s_mov_b32 s20, exec_lo
	s_delay_alu instid0(VALU_DEP_1)
	v_cmpx_gt_i64_e64 s[12:13], v[1:2]
	s_cbranch_execz .LBB65_4
; %bb.2:
	s_load_b32 s3, s[0:1], 0xbfc
	v_dual_mov_b32 v2, 0 :: v_dual_lshlrev_b32 v1, 3, v0
	s_waitcnt lgkmcnt(0)
	v_cmp_eq_f32_e64 s2, s9, 1.0
	s_mov_b32 s21, 0
	s_delay_alu instid0(VALU_DEP_2) | instskip(NEXT) | instid1(VALU_DEP_1)
	v_add_co_u32 v3, s4, s10, v1
	v_add_co_ci_u32_e64 v4, null, s11, 0, s4
	s_and_b32 s3, s3, 0xffff
	s_delay_alu instid0(SALU_CYCLE_1)
	v_add_lshl_u32 v1, v0, s3, 2
	s_lshl_b32 s22, s3, 3
	s_lshl_b32 s23, s3, 2
.LBB65_3:                               ; =>This Inner Loop Header: Depth=1
	v_add_co_u32 v5, vcc_lo, s16, v3
	v_add_co_ci_u32_e32 v6, vcc_lo, s17, v4, vcc_lo
	v_add_co_u32 v7, vcc_lo, s18, v3
	v_add_co_ci_u32_e32 v8, vcc_lo, s19, v4, vcc_lo
	v_add_co_u32 v9, vcc_lo, s14, v3
	global_load_b64 v[5:6], v[5:6], off
	global_load_b64 v[7:8], v[7:8], off
	v_add_co_ci_u32_e32 v10, vcc_lo, s15, v4, vcc_lo
	v_add_co_u32 v3, vcc_lo, v3, s22
	v_add_co_ci_u32_e32 v4, vcc_lo, 0, v4, vcc_lo
	v_cmp_le_i64_e64 s3, s[12:13], v[1:2]
	v_cmp_lt_u64_e64 s4, 0xffff, v[1:2]
	v_add_co_u32 v1, s5, v1, s23
	s_delay_alu instid0(VALU_DEP_2) | instskip(NEXT) | instid1(SALU_CYCLE_1)
	s_or_b32 s3, s3, s4
	s_and_b32 s3, exec_lo, s3
	s_delay_alu instid0(SALU_CYCLE_1) | instskip(SKIP_2) | instid1(VALU_DEP_1)
	s_or_b32 s21, s3, s21
	s_waitcnt vmcnt(1)
	v_and_b32_e32 v15, 0xffff0000, v5
	v_div_scale_f32 v18, null, v15, v15, v12
	v_div_scale_f32 v19, s6, v12, v15, v12
	s_delay_alu instid0(VALU_DEP_2) | instskip(SKIP_2) | instid1(VALU_DEP_1)
	v_rcp_f32_e32 v23, v18
	s_waitcnt_depctr 0xfff
	v_fma_f32 v29, -v18, v23, 1.0
	v_fmac_f32_e32 v23, v29, v23
	v_lshlrev_b32_e32 v13, 16, v5
	v_alignbit_b32 v5, v6, v5, 16
	s_delay_alu instid0(VALU_DEP_1) | instskip(NEXT) | instid1(VALU_DEP_1)
	v_and_b32_e32 v5, 0xffff0000, v5
	v_div_scale_f32 v24, null, v5, v5, v12
	v_div_scale_f32 v26, s8, v12, v5, v12
	s_delay_alu instid0(VALU_DEP_2) | instskip(SKIP_1) | instid1(VALU_DEP_1)
	v_rcp_f32_e32 v27, v24
	v_and_b32_e32 v6, 0xffff0000, v6
	v_div_scale_f32 v20, null, v6, v6, v12
	s_delay_alu instid0(VALU_DEP_1) | instskip(SKIP_3) | instid1(VALU_DEP_1)
	v_rcp_f32_e32 v25, v20
	s_waitcnt_depctr 0xfff
	v_fma_f32 v30, -v20, v25, 1.0
	s_waitcnt vmcnt(0)
	v_dual_fmac_f32 v25, v30, v25 :: v_dual_and_b32 v14, 0xffff0000, v7
	v_mul_f32_e32 v30, v19, v23
	v_div_scale_f32 v16, null, v13, v13, v12
	v_div_scale_f32 v17, vcc_lo, v12, v13, v12
	s_delay_alu instid0(VALU_DEP_3) | instskip(NEXT) | instid1(VALU_DEP_3)
	v_fma_f32 v32, -v18, v30, v19
	v_rcp_f32_e32 v22, v16
	s_waitcnt_depctr 0xfff
	v_fma_f32 v28, -v16, v22, 1.0
	v_lshlrev_b32_e32 v11, 16, v7
	v_alignbit_b32 v7, v8, v7, 16
	s_delay_alu instid0(VALU_DEP_3) | instskip(SKIP_1) | instid1(VALU_DEP_2)
	v_fmac_f32_e32 v22, v28, v22
	v_fma_f32 v28, -v24, v27, 1.0
	v_dual_mul_f32 v29, v17, v22 :: v_dual_and_b32 v8, 0xffff0000, v8
	s_delay_alu instid0(VALU_DEP_2) | instskip(SKIP_2) | instid1(VALU_DEP_4)
	v_fmac_f32_e32 v27, v28, v27
	v_div_scale_f32 v21, s7, v12, v6, v12
	v_and_b32_e32 v7, 0xffff0000, v7
	v_fma_f32 v31, -v16, v29, v17
	s_delay_alu instid0(VALU_DEP_3) | instskip(NEXT) | instid1(VALU_DEP_2)
	v_dual_mul_f32 v33, v26, v27 :: v_dual_mul_f32 v28, v21, v25
	v_fmac_f32_e32 v29, v31, v22
	s_delay_alu instid0(VALU_DEP_2) | instskip(NEXT) | instid1(VALU_DEP_3)
	v_fma_f32 v31, -v24, v33, v26
	v_fma_f32 v34, -v20, v28, v21
	s_delay_alu instid0(VALU_DEP_3) | instskip(NEXT) | instid1(VALU_DEP_2)
	v_fma_f32 v16, -v16, v29, v17
	v_dual_fmac_f32 v33, v31, v27 :: v_dual_fmac_f32 v28, v34, v25
	v_fmac_f32_e32 v30, v32, v23
	s_delay_alu instid0(VALU_DEP_3) | instskip(SKIP_1) | instid1(VALU_DEP_2)
	v_div_fmas_f32 v16, v16, v22, v29
	s_mov_b32 vcc_lo, s6
	v_fma_f32 v17, -v18, v30, v19
	v_fma_f32 v19, -v24, v33, v26
	;; [unrolled: 1-line block ×3, first 2 shown]
	v_div_fixup_f32 v13, v16, v13, v12
	s_delay_alu instid0(VALU_DEP_4) | instskip(SKIP_3) | instid1(VALU_DEP_2)
	v_div_fmas_f32 v17, v17, v23, v30
	s_mov_b32 vcc_lo, s8
	v_div_fmas_f32 v16, v19, v27, v33
	s_mov_b32 vcc_lo, s7
	v_div_fixup_f32 v15, v17, v15, v12
	v_div_fmas_f32 v17, v18, v25, v28
	v_dual_add_f32 v18, v13, v11 :: v_dual_fmac_f32 v11, s9, v13
	v_div_fixup_f32 v5, v16, v5, v12
	s_delay_alu instid0(VALU_DEP_4) | instskip(NEXT) | instid1(VALU_DEP_4)
	v_add_f32_e32 v13, v15, v14
	v_div_fixup_f32 v6, v17, v6, v12
	v_fmac_f32_e32 v14, s9, v15
	v_cndmask_b32_e64 v11, v11, v18, s2
	s_delay_alu instid0(VALU_DEP_1)
	v_cmp_o_f32_e32 vcc_lo, v11, v11
	v_add_f32_e32 v15, v5, v7
	v_fmac_f32_e32 v7, s9, v5
	v_dual_add_f32 v5, v6, v8 :: v_dual_fmac_f32 v8, s9, v6
	v_cndmask_b32_e64 v6, v14, v13, s2
	v_bfe_u32 v13, v11, 16, 1
	s_delay_alu instid0(VALU_DEP_3) | instskip(NEXT) | instid1(VALU_DEP_3)
	v_cndmask_b32_e64 v5, v8, v5, s2
	v_bfe_u32 v8, v6, 16, 1
	s_delay_alu instid0(VALU_DEP_3) | instskip(SKIP_1) | instid1(VALU_DEP_3)
	v_add3_u32 v13, v11, v13, 0x7fff
	v_cmp_o_f32_e64 s6, v6, v6
	v_add3_u32 v8, v6, v8, 0x7fff
	s_delay_alu instid0(VALU_DEP_3) | instskip(NEXT) | instid1(VALU_DEP_2)
	v_lshrrev_b32_e32 v13, 16, v13
	v_and_b32_e32 v8, 0xffff0000, v8
	s_delay_alu instid0(VALU_DEP_2) | instskip(SKIP_2) | instid1(VALU_DEP_4)
	v_cndmask_b32_e32 v6, 0x7fc0, v13, vcc_lo
	v_cndmask_b32_e64 v7, v7, v15, s2
	v_bfe_u32 v15, v5, 16, 1
	v_cndmask_b32_e64 v8, 0x7fc00000, v8, s6
	v_cmp_o_f32_e64 s6, v5, v5
	s_delay_alu instid0(VALU_DEP_4) | instskip(NEXT) | instid1(VALU_DEP_4)
	v_bfe_u32 v14, v7, 16, 1
	v_add3_u32 v11, v5, v15, 0x7fff
	v_cmp_o_f32_e32 vcc_lo, v7, v7
	v_or_b32_e32 v8, v6, v8
	s_delay_alu instid0(VALU_DEP_4) | instskip(NEXT) | instid1(VALU_DEP_4)
	v_add3_u32 v14, v7, v14, 0x7fff
	v_and_b32_e32 v11, 0xffff0000, v11
	s_delay_alu instid0(VALU_DEP_2) | instskip(NEXT) | instid1(VALU_DEP_2)
	v_lshrrev_b32_e32 v13, 16, v14
	v_cndmask_b32_e64 v7, 0x7fc00000, v11, s6
	s_delay_alu instid0(VALU_DEP_2) | instskip(SKIP_1) | instid1(VALU_DEP_2)
	v_cndmask_b32_e32 v5, 0x7fc0, v13, vcc_lo
	v_add_co_ci_u32_e64 v2, vcc_lo, 0, v2, s5
	v_or3_b32 v6, 0, v5, v7
	v_or3_b32 v5, v8, 0, 0
	global_store_b64 v[9:10], v[5:6], off
	s_and_not1_b32 exec_lo, exec_lo, s21
	s_cbranch_execnz .LBB65_3
.LBB65_4:
	s_or_b32 exec_lo, exec_lo, s20
	s_mov_b32 s2, 0
.LBB65_5:
	s_delay_alu instid0(SALU_CYCLE_1)
	s_and_not1_b32 vcc_lo, exec_lo, s2
	s_cbranch_vccnz .LBB65_25
; %bb.6:
	v_cmp_lt_i64_e64 s2, s[12:13], 1
	s_delay_alu instid0(VALU_DEP_1)
	s_and_b32 vcc_lo, exec_lo, s2
	s_cbranch_vccnz .LBB65_25
; %bb.7:
	s_load_b32 s1, s[0:1], 0xbfc
	v_dual_mov_b32 v1, 0 :: v_dual_lshlrev_b32 v2, 1, v0
	v_cmp_gt_u64_e64 s2, 0x10000, s[12:13]
	s_waitcnt lgkmcnt(0)
	v_cmp_eq_f32_e64 s0, s9, 1.0
	s_mov_b32 s3, 0
	v_mov_b32_e32 v3, v1
	v_add_co_u32 v13, s4, s18, v2
	s_delay_alu instid0(VALU_DEP_1) | instskip(SKIP_1) | instid1(VALU_DEP_1)
	v_add_co_ci_u32_e64 v14, null, s19, 0, s4
	v_add_co_u32 v15, s4, s16, v2
	v_add_co_ci_u32_e64 v16, null, s17, 0, s4
	s_and_b32 s8, s1, 0xffff
	v_add_co_u32 v17, s1, s14, v2
	v_mad_u64_u32 v[4:5], null, s8, 6, v[2:3]
	v_add_co_ci_u32_e64 v18, null, s15, 0, s1
	s_and_b32 s1, s2, exec_lo
	s_cselect_b32 s5, s13, 0
	s_cselect_b32 s4, s12, 0x10000
	s_lshl_b32 s2, s8, 2
	s_delay_alu instid0(VALU_DEP_2) | instskip(NEXT) | instid1(VALU_DEP_3)
	v_add_co_u32 v19, vcc_lo, s18, v4
	v_add_co_ci_u32_e32 v20, vcc_lo, s19, v5, vcc_lo
	v_add_co_u32 v21, vcc_lo, s16, v4
	v_add_co_u32 v2, s1, s2, v2
	v_add_co_ci_u32_e32 v22, vcc_lo, s17, v5, vcc_lo
	v_add_co_ci_u32_e64 v3, null, 0, 0, s1
	v_add_co_u32 v23, vcc_lo, s14, v4
	v_add_lshl_u32 v4, v0, s8, 1
	v_add_co_ci_u32_e32 v24, vcc_lo, s15, v5, vcc_lo
	v_add_co_u32 v25, vcc_lo, s18, v2
	v_add_co_ci_u32_e32 v26, vcc_lo, s19, v3, vcc_lo
	s_delay_alu instid0(VALU_DEP_4)
	v_add_co_u32 v31, s1, s18, v4
	v_add_co_u32 v27, vcc_lo, s16, v2
	v_add_co_ci_u32_e64 v32, null, s19, 0, s1
	v_add_co_u32 v33, s1, s16, v4
	v_add_co_ci_u32_e32 v28, vcc_lo, s17, v3, vcc_lo
	v_add_co_u32 v29, vcc_lo, s14, v2
	v_add_co_ci_u32_e64 v34, null, s17, 0, s1
	v_add_co_u32 v35, s1, s14, v4
	v_add_co_ci_u32_e32 v30, vcc_lo, s15, v3, vcc_lo
	v_add_co_ci_u32_e64 v36, null, s15, 0, s1
	s_lshl_b32 s20, s8, 1
	s_mul_i32 s14, s8, 3
	s_lshl_b32 s15, s8, 3
	s_mov_b64 s[6:7], s[2:3]
	s_branch .LBB65_9
.LBB65_8:                               ;   in Loop: Header=BB65_9 Depth=1
	s_or_b32 exec_lo, exec_lo, s1
	v_add_co_u32 v13, vcc_lo, v13, s15
	v_add_co_ci_u32_e32 v14, vcc_lo, 0, v14, vcc_lo
	v_add_co_u32 v15, vcc_lo, v15, s15
	v_add_co_ci_u32_e32 v16, vcc_lo, 0, v16, vcc_lo
	;; [unrolled: 2-line block ×11, first 2 shown]
	v_cmp_ge_i64_e64 s1, s[6:7], s[12:13]
	v_cmp_lt_u64_e64 s16, 0xffff, s[6:7]
	v_add_co_u32 v33, vcc_lo, v33, s15
	v_add_co_ci_u32_e32 v34, vcc_lo, 0, v34, vcc_lo
	v_add_co_u32 v35, vcc_lo, v35, s15
	v_add_co_ci_u32_e32 v36, vcc_lo, 0, v36, vcc_lo
	s_or_b32 s1, s1, s16
	s_add_u32 s6, s6, s2
	s_addc_u32 s7, s7, 0
	s_and_b32 vcc_lo, exec_lo, s1
	s_cbranch_vccnz .LBB65_25
.LBB65_9:                               ; =>This Inner Loop Header: Depth=1
	v_mov_b32_e32 v4, 0
	v_mov_b32_e32 v5, 0
	v_cmp_gt_i64_e32 vcc_lo, s[12:13], v[0:1]
	v_cmp_gt_u64_e64 s1, 0x10000, v[0:1]
	s_delay_alu instid0(VALU_DEP_3) | instskip(NEXT) | instid1(VALU_DEP_2)
	v_dual_mov_b32 v2, v4 :: v_dual_mov_b32 v3, v5
	s_and_b32 s16, vcc_lo, s1
	s_delay_alu instid0(SALU_CYCLE_1)
	s_and_saveexec_b32 s1, s16
	s_cbranch_execz .LBB65_11
; %bb.10:                               ;   in Loop: Header=BB65_9 Depth=1
	v_add_co_u32 v2, vcc_lo, v13, s10
	v_add_co_ci_u32_e32 v3, vcc_lo, s11, v14, vcc_lo
	v_add_co_u32 v4, vcc_lo, v15, s10
	v_add_co_ci_u32_e32 v5, vcc_lo, s11, v16, vcc_lo
	global_load_u16 v2, v[2:3], off
	global_load_u16 v4, v[4:5], off
	v_mov_b32_e32 v3, s3
	s_waitcnt vmcnt(1)
	v_dual_mov_b32 v5, s3 :: v_dual_and_b32 v2, 0xffff, v2
	s_waitcnt vmcnt(0)
	v_and_b32_e32 v4, 0xffff, v4
.LBB65_11:                              ;   in Loop: Header=BB65_9 Depth=1
	s_or_b32 exec_lo, exec_lo, s1
	v_add_co_u32 v6, vcc_lo, s8, v0
	v_add_co_ci_u32_e32 v7, vcc_lo, 0, v1, vcc_lo
	s_delay_alu instid0(VALU_DEP_1) | instskip(SKIP_1) | instid1(VALU_DEP_1)
	v_cmp_gt_i64_e32 vcc_lo, s[12:13], v[6:7]
	v_cmp_gt_u64_e64 s1, 0x10000, v[6:7]
	s_and_b32 s16, vcc_lo, s1
	s_delay_alu instid0(SALU_CYCLE_1)
	s_and_saveexec_b32 s1, s16
	s_cbranch_execz .LBB65_13
; %bb.12:                               ;   in Loop: Header=BB65_9 Depth=1
	v_add_co_u32 v8, vcc_lo, v31, s10
	v_add_co_ci_u32_e32 v9, vcc_lo, s11, v32, vcc_lo
	v_add_co_u32 v10, vcc_lo, v33, s10
	v_add_co_ci_u32_e32 v11, vcc_lo, s11, v34, vcc_lo
	global_load_u16 v8, v[8:9], off
	global_load_u16 v9, v[10:11], off
	s_waitcnt vmcnt(1)
	v_lshl_or_b32 v2, v8, 16, v2
	s_waitcnt vmcnt(0)
	v_lshl_or_b32 v4, v9, 16, v4
.LBB65_13:                              ;   in Loop: Header=BB65_9 Depth=1
	s_or_b32 exec_lo, exec_lo, s1
	v_add_co_u32 v8, vcc_lo, s20, v0
	v_add_co_ci_u32_e32 v9, vcc_lo, 0, v1, vcc_lo
	s_delay_alu instid0(VALU_DEP_1) | instskip(SKIP_1) | instid1(VALU_DEP_1)
	v_cmp_gt_i64_e32 vcc_lo, s[12:13], v[8:9]
	v_cmp_gt_u64_e64 s1, 0x10000, v[8:9]
	s_and_b32 s16, vcc_lo, s1
	s_delay_alu instid0(SALU_CYCLE_1)
	s_and_saveexec_b32 s1, s16
	s_cbranch_execz .LBB65_15
; %bb.14:                               ;   in Loop: Header=BB65_9 Depth=1
	v_add_co_u32 v10, vcc_lo, v25, s10
	v_add_co_ci_u32_e32 v11, vcc_lo, s11, v26, vcc_lo
	v_add_co_u32 v37, vcc_lo, v27, s10
	v_add_co_ci_u32_e32 v38, vcc_lo, s11, v28, vcc_lo
	global_load_u16 v10, v[10:11], off
	global_load_u16 v11, v[37:38], off
	s_waitcnt vmcnt(1)
	v_or_b32_e32 v3, v10, v3
	s_waitcnt vmcnt(0)
	v_or_b32_e32 v5, v11, v5
.LBB65_15:                              ;   in Loop: Header=BB65_9 Depth=1
	s_or_b32 exec_lo, exec_lo, s1
	v_add_co_u32 v10, vcc_lo, s14, v0
	v_add_co_ci_u32_e32 v11, vcc_lo, 0, v1, vcc_lo
	s_delay_alu instid0(VALU_DEP_1) | instskip(SKIP_1) | instid1(VALU_DEP_1)
	v_cmp_gt_i64_e32 vcc_lo, s[12:13], v[10:11]
	v_cmp_gt_u64_e64 s1, 0x10000, v[10:11]
	s_and_b32 s16, vcc_lo, s1
	s_delay_alu instid0(SALU_CYCLE_1)
	s_and_saveexec_b32 s1, s16
	s_cbranch_execnz .LBB65_20
; %bb.16:                               ;   in Loop: Header=BB65_9 Depth=1
	s_or_b32 exec_lo, exec_lo, s1
	s_delay_alu instid0(SALU_CYCLE_1)
	s_mov_b32 s1, exec_lo
	v_cmpx_gt_u64_e64 s[4:5], v[0:1]
	s_cbranch_execnz .LBB65_21
.LBB65_17:                              ;   in Loop: Header=BB65_9 Depth=1
	s_or_b32 exec_lo, exec_lo, s1
	s_delay_alu instid0(SALU_CYCLE_1)
	s_mov_b32 s1, exec_lo
	v_cmpx_gt_u64_e64 s[4:5], v[6:7]
	s_cbranch_execnz .LBB65_22
.LBB65_18:                              ;   in Loop: Header=BB65_9 Depth=1
	s_or_b32 exec_lo, exec_lo, s1
	s_delay_alu instid0(SALU_CYCLE_1)
	s_mov_b32 s1, exec_lo
	v_cmpx_gt_u64_e64 s[4:5], v[8:9]
	s_cbranch_execnz .LBB65_23
.LBB65_19:                              ;   in Loop: Header=BB65_9 Depth=1
	s_or_b32 exec_lo, exec_lo, s1
	s_delay_alu instid0(SALU_CYCLE_1)
	s_mov_b32 s1, exec_lo
	v_cmpx_gt_u64_e64 s[4:5], v[10:11]
	s_cbranch_execz .LBB65_8
	s_branch .LBB65_24
.LBB65_20:                              ;   in Loop: Header=BB65_9 Depth=1
	v_add_co_u32 v37, vcc_lo, v21, s10
	v_add_co_ci_u32_e32 v38, vcc_lo, s11, v22, vcc_lo
	v_add_co_u32 v39, vcc_lo, v19, s10
	v_add_co_ci_u32_e32 v40, vcc_lo, s11, v20, vcc_lo
	v_dual_mov_b32 v41, 0 :: v_dual_mov_b32 v42, 0
	global_load_d16_hi_b16 v41, v[39:40], off
	global_load_d16_hi_b16 v42, v[37:38], off
	s_waitcnt vmcnt(1)
	v_or_b32_e32 v3, v41, v3
	s_waitcnt vmcnt(0)
	v_or_b32_e32 v5, v42, v5
	s_or_b32 exec_lo, exec_lo, s1
	s_delay_alu instid0(SALU_CYCLE_1)
	s_mov_b32 s1, exec_lo
	v_cmpx_gt_u64_e64 s[4:5], v[0:1]
	s_cbranch_execz .LBB65_17
.LBB65_21:                              ;   in Loop: Header=BB65_9 Depth=1
	v_lshlrev_b32_e32 v37, 16, v4
	s_delay_alu instid0(VALU_DEP_1) | instskip(SKIP_1) | instid1(VALU_DEP_2)
	v_div_scale_f32 v38, null, v37, v37, v12
	v_div_scale_f32 v41, vcc_lo, v12, v37, v12
	v_rcp_f32_e32 v39, v38
	s_waitcnt_depctr 0xfff
	v_fma_f32 v40, -v38, v39, 1.0
	s_delay_alu instid0(VALU_DEP_1) | instskip(NEXT) | instid1(VALU_DEP_1)
	v_fmac_f32_e32 v39, v40, v39
	v_mul_f32_e32 v40, v41, v39
	s_delay_alu instid0(VALU_DEP_1) | instskip(NEXT) | instid1(VALU_DEP_1)
	v_fma_f32 v42, -v38, v40, v41
	v_fmac_f32_e32 v40, v42, v39
	s_delay_alu instid0(VALU_DEP_1) | instskip(NEXT) | instid1(VALU_DEP_1)
	v_fma_f32 v38, -v38, v40, v41
	v_div_fmas_f32 v38, v38, v39, v40
	v_lshlrev_b32_e32 v39, 16, v2
	s_delay_alu instid0(VALU_DEP_2) | instskip(NEXT) | instid1(VALU_DEP_1)
	v_div_fixup_f32 v37, v38, v37, v12
	v_dual_add_f32 v38, v37, v39 :: v_dual_fmac_f32 v39, s9, v37
	s_delay_alu instid0(VALU_DEP_1) | instskip(NEXT) | instid1(VALU_DEP_1)
	v_cndmask_b32_e64 v39, v39, v38, s0
	v_bfe_u32 v37, v39, 16, 1
	s_delay_alu instid0(VALU_DEP_1) | instskip(NEXT) | instid1(VALU_DEP_1)
	v_add3_u32 v37, v39, v37, 0x7fff
	v_lshrrev_b32_e32 v40, 16, v37
	v_add_co_u32 v37, vcc_lo, v17, s10
	v_add_co_ci_u32_e32 v38, vcc_lo, s11, v18, vcc_lo
	v_cmp_o_f32_e32 vcc_lo, v39, v39
	s_delay_alu instid0(VALU_DEP_4) | instskip(SKIP_2) | instid1(SALU_CYCLE_1)
	v_cndmask_b32_e32 v39, 0x7fc0, v40, vcc_lo
	global_store_b16 v[37:38], v39, off
	s_or_b32 exec_lo, exec_lo, s1
	s_mov_b32 s1, exec_lo
	v_cmpx_gt_u64_e64 s[4:5], v[6:7]
	s_cbranch_execz .LBB65_18
.LBB65_22:                              ;   in Loop: Header=BB65_9 Depth=1
	v_and_b32_e32 v6, 0xffff0000, v4
	s_delay_alu instid0(VALU_DEP_1) | instskip(NEXT) | instid1(VALU_DEP_1)
	v_div_scale_f32 v7, null, v6, v6, v12
	v_rcp_f32_e32 v37, v7
	s_waitcnt_depctr 0xfff
	v_fma_f32 v38, -v7, v37, 1.0
	s_delay_alu instid0(VALU_DEP_1) | instskip(SKIP_1) | instid1(VALU_DEP_1)
	v_fmac_f32_e32 v37, v38, v37
	v_div_scale_f32 v39, vcc_lo, v12, v6, v12
	v_mul_f32_e32 v38, v39, v37
	s_delay_alu instid0(VALU_DEP_1) | instskip(NEXT) | instid1(VALU_DEP_1)
	v_fma_f32 v40, -v7, v38, v39
	v_fmac_f32_e32 v38, v40, v37
	s_delay_alu instid0(VALU_DEP_1) | instskip(NEXT) | instid1(VALU_DEP_1)
	v_fma_f32 v7, -v7, v38, v39
	v_div_fmas_f32 v7, v7, v37, v38
	v_and_b32_e32 v37, 0xffff0000, v2
	s_delay_alu instid0(VALU_DEP_2) | instskip(NEXT) | instid1(VALU_DEP_1)
	v_div_fixup_f32 v6, v7, v6, v12
	v_add_f32_e32 v7, v6, v37
	v_fmac_f32_e32 v37, s9, v6
	s_delay_alu instid0(VALU_DEP_1) | instskip(NEXT) | instid1(VALU_DEP_1)
	v_cndmask_b32_e64 v6, v37, v7, s0
	v_bfe_u32 v7, v6, 16, 1
	v_cmp_o_f32_e32 vcc_lo, v6, v6
	s_delay_alu instid0(VALU_DEP_2) | instskip(NEXT) | instid1(VALU_DEP_1)
	v_add3_u32 v7, v6, v7, 0x7fff
	v_lshrrev_b32_e32 v7, 16, v7
	s_delay_alu instid0(VALU_DEP_1) | instskip(SKIP_4) | instid1(SALU_CYCLE_1)
	v_cndmask_b32_e32 v37, 0x7fc0, v7, vcc_lo
	v_add_co_u32 v6, vcc_lo, v35, s10
	v_add_co_ci_u32_e32 v7, vcc_lo, s11, v36, vcc_lo
	global_store_b16 v[6:7], v37, off
	s_or_b32 exec_lo, exec_lo, s1
	s_mov_b32 s1, exec_lo
	v_cmpx_gt_u64_e64 s[4:5], v[8:9]
	s_cbranch_execz .LBB65_19
.LBB65_23:                              ;   in Loop: Header=BB65_9 Depth=1
	v_alignbit_b32 v4, v5, v4, 16
	v_alignbit_b32 v2, v3, v2, 16
	s_delay_alu instid0(VALU_DEP_2) | instskip(NEXT) | instid1(VALU_DEP_2)
	v_and_b32_e32 v4, 0xffff0000, v4
	v_and_b32_e32 v2, 0xffff0000, v2
	s_delay_alu instid0(VALU_DEP_2) | instskip(NEXT) | instid1(VALU_DEP_1)
	v_div_scale_f32 v6, null, v4, v4, v12
	v_rcp_f32_e32 v7, v6
	s_waitcnt_depctr 0xfff
	v_fma_f32 v8, -v6, v7, 1.0
	s_delay_alu instid0(VALU_DEP_1) | instskip(SKIP_1) | instid1(VALU_DEP_1)
	v_fmac_f32_e32 v7, v8, v7
	v_div_scale_f32 v9, vcc_lo, v12, v4, v12
	v_mul_f32_e32 v8, v9, v7
	s_delay_alu instid0(VALU_DEP_1) | instskip(NEXT) | instid1(VALU_DEP_1)
	v_fma_f32 v37, -v6, v8, v9
	v_fmac_f32_e32 v8, v37, v7
	s_delay_alu instid0(VALU_DEP_1) | instskip(NEXT) | instid1(VALU_DEP_1)
	v_fma_f32 v6, -v6, v8, v9
	v_div_fmas_f32 v6, v6, v7, v8
	s_delay_alu instid0(VALU_DEP_1) | instskip(NEXT) | instid1(VALU_DEP_1)
	v_div_fixup_f32 v4, v6, v4, v12
	v_add_f32_e32 v6, v4, v2
	v_fmac_f32_e32 v2, s9, v4
	s_delay_alu instid0(VALU_DEP_1) | instskip(NEXT) | instid1(VALU_DEP_1)
	v_cndmask_b32_e64 v2, v2, v6, s0
	v_bfe_u32 v4, v2, 16, 1
	v_cmp_o_f32_e32 vcc_lo, v2, v2
	s_delay_alu instid0(VALU_DEP_2) | instskip(NEXT) | instid1(VALU_DEP_1)
	v_add3_u32 v4, v2, v4, 0x7fff
	v_lshrrev_b32_e32 v4, 16, v4
	s_delay_alu instid0(VALU_DEP_1) | instskip(SKIP_4) | instid1(SALU_CYCLE_1)
	v_cndmask_b32_e32 v2, 0x7fc0, v4, vcc_lo
	v_add_co_u32 v6, vcc_lo, v29, s10
	v_add_co_ci_u32_e32 v7, vcc_lo, s11, v30, vcc_lo
	global_store_b16 v[6:7], v2, off
	s_or_b32 exec_lo, exec_lo, s1
	s_mov_b32 s1, exec_lo
	v_cmpx_gt_u64_e64 s[4:5], v[10:11]
	s_cbranch_execz .LBB65_8
.LBB65_24:                              ;   in Loop: Header=BB65_9 Depth=1
	v_and_b32_e32 v2, 0xffff0000, v5
	v_and_b32_e32 v3, 0xffff0000, v3
	s_delay_alu instid0(VALU_DEP_2) | instskip(SKIP_1) | instid1(VALU_DEP_2)
	v_div_scale_f32 v4, null, v2, v2, v12
	v_div_scale_f32 v7, vcc_lo, v12, v2, v12
	v_rcp_f32_e32 v5, v4
	s_waitcnt_depctr 0xfff
	v_fma_f32 v6, -v4, v5, 1.0
	s_delay_alu instid0(VALU_DEP_1) | instskip(NEXT) | instid1(VALU_DEP_1)
	v_fmac_f32_e32 v5, v6, v5
	v_mul_f32_e32 v6, v7, v5
	s_delay_alu instid0(VALU_DEP_1) | instskip(NEXT) | instid1(VALU_DEP_1)
	v_fma_f32 v8, -v4, v6, v7
	v_fmac_f32_e32 v6, v8, v5
	s_delay_alu instid0(VALU_DEP_1) | instskip(NEXT) | instid1(VALU_DEP_1)
	v_fma_f32 v4, -v4, v6, v7
	v_div_fmas_f32 v4, v4, v5, v6
	s_delay_alu instid0(VALU_DEP_1) | instskip(NEXT) | instid1(VALU_DEP_1)
	v_div_fixup_f32 v2, v4, v2, v12
	v_dual_add_f32 v4, v2, v3 :: v_dual_fmac_f32 v3, s9, v2
	s_delay_alu instid0(VALU_DEP_1) | instskip(NEXT) | instid1(VALU_DEP_1)
	v_cndmask_b32_e64 v2, v3, v4, s0
	v_bfe_u32 v3, v2, 16, 1
	v_cmp_o_f32_e32 vcc_lo, v2, v2
	s_delay_alu instid0(VALU_DEP_2) | instskip(NEXT) | instid1(VALU_DEP_1)
	v_add3_u32 v3, v2, v3, 0x7fff
	v_lshrrev_b32_e32 v3, 16, v3
	s_delay_alu instid0(VALU_DEP_1)
	v_cndmask_b32_e32 v4, 0x7fc0, v3, vcc_lo
	v_add_co_u32 v2, vcc_lo, v23, s10
	v_add_co_ci_u32_e32 v3, vcc_lo, s11, v24, vcc_lo
	global_store_b16 v[2:3], v4, off
	s_branch .LBB65_8
.LBB65_25:
	s_nop 0
	s_sendmsg sendmsg(MSG_DEALLOC_VGPRS)
	s_endpgm
	.section	.rodata,"a",@progbits
	.p2align	6, 0x0
	.amdhsa_kernel _ZN2at6native12_GLOBAL__N_125multi_tensor_apply_kernelINS1_18TensorListMetadataILi4EEENS1_32PointwiseOpScalar0dTensorFunctorIN3c108BFloat16ELi4ELi2ELi3EEEJSt7dividesIfEfEEEvT_T0_DpT1_
		.amdhsa_group_segment_fixed_size 0
		.amdhsa_private_segment_fixed_size 0
		.amdhsa_kernarg_size 3312
		.amdhsa_user_sgpr_count 15
		.amdhsa_user_sgpr_dispatch_ptr 0
		.amdhsa_user_sgpr_queue_ptr 0
		.amdhsa_user_sgpr_kernarg_segment_ptr 1
		.amdhsa_user_sgpr_dispatch_id 0
		.amdhsa_user_sgpr_private_segment_size 0
		.amdhsa_wavefront_size32 1
		.amdhsa_uses_dynamic_stack 0
		.amdhsa_enable_private_segment 0
		.amdhsa_system_sgpr_workgroup_id_x 1
		.amdhsa_system_sgpr_workgroup_id_y 0
		.amdhsa_system_sgpr_workgroup_id_z 0
		.amdhsa_system_sgpr_workgroup_info 0
		.amdhsa_system_vgpr_workitem_id 0
		.amdhsa_next_free_vgpr 43
		.amdhsa_next_free_sgpr 24
		.amdhsa_reserve_vcc 1
		.amdhsa_float_round_mode_32 0
		.amdhsa_float_round_mode_16_64 0
		.amdhsa_float_denorm_mode_32 3
		.amdhsa_float_denorm_mode_16_64 3
		.amdhsa_dx10_clamp 1
		.amdhsa_ieee_mode 1
		.amdhsa_fp16_overflow 0
		.amdhsa_workgroup_processor_mode 1
		.amdhsa_memory_ordered 1
		.amdhsa_forward_progress 0
		.amdhsa_shared_vgpr_count 0
		.amdhsa_exception_fp_ieee_invalid_op 0
		.amdhsa_exception_fp_denorm_src 0
		.amdhsa_exception_fp_ieee_div_zero 0
		.amdhsa_exception_fp_ieee_overflow 0
		.amdhsa_exception_fp_ieee_underflow 0
		.amdhsa_exception_fp_ieee_inexact 0
		.amdhsa_exception_int_div_zero 0
	.end_amdhsa_kernel
	.section	.text._ZN2at6native12_GLOBAL__N_125multi_tensor_apply_kernelINS1_18TensorListMetadataILi4EEENS1_32PointwiseOpScalar0dTensorFunctorIN3c108BFloat16ELi4ELi2ELi3EEEJSt7dividesIfEfEEEvT_T0_DpT1_,"axG",@progbits,_ZN2at6native12_GLOBAL__N_125multi_tensor_apply_kernelINS1_18TensorListMetadataILi4EEENS1_32PointwiseOpScalar0dTensorFunctorIN3c108BFloat16ELi4ELi2ELi3EEEJSt7dividesIfEfEEEvT_T0_DpT1_,comdat
.Lfunc_end65:
	.size	_ZN2at6native12_GLOBAL__N_125multi_tensor_apply_kernelINS1_18TensorListMetadataILi4EEENS1_32PointwiseOpScalar0dTensorFunctorIN3c108BFloat16ELi4ELi2ELi3EEEJSt7dividesIfEfEEEvT_T0_DpT1_, .Lfunc_end65-_ZN2at6native12_GLOBAL__N_125multi_tensor_apply_kernelINS1_18TensorListMetadataILi4EEENS1_32PointwiseOpScalar0dTensorFunctorIN3c108BFloat16ELi4ELi2ELi3EEEJSt7dividesIfEfEEEvT_T0_DpT1_
                                        ; -- End function
	.section	.AMDGPU.csdata,"",@progbits
; Kernel info:
; codeLenInByte = 3244
; NumSgprs: 26
; NumVgprs: 43
; ScratchSize: 0
; MemoryBound: 0
; FloatMode: 240
; IeeeMode: 1
; LDSByteSize: 0 bytes/workgroup (compile time only)
; SGPRBlocks: 3
; VGPRBlocks: 5
; NumSGPRsForWavesPerEU: 26
; NumVGPRsForWavesPerEU: 43
; Occupancy: 16
; WaveLimiterHint : 0
; COMPUTE_PGM_RSRC2:SCRATCH_EN: 0
; COMPUTE_PGM_RSRC2:USER_SGPR: 15
; COMPUTE_PGM_RSRC2:TRAP_HANDLER: 0
; COMPUTE_PGM_RSRC2:TGID_X_EN: 1
; COMPUTE_PGM_RSRC2:TGID_Y_EN: 0
; COMPUTE_PGM_RSRC2:TGID_Z_EN: 0
; COMPUTE_PGM_RSRC2:TIDIG_COMP_CNT: 0
	.section	.text._ZN2at6native12_GLOBAL__N_125multi_tensor_apply_kernelINS1_18TensorListMetadataILi3EEENS1_24PointwiseOpScalarFunctorIhLi3ELi3ELi0EEEJSt7dividesIhEhEEEvT_T0_DpT1_,"axG",@progbits,_ZN2at6native12_GLOBAL__N_125multi_tensor_apply_kernelINS1_18TensorListMetadataILi3EEENS1_24PointwiseOpScalarFunctorIhLi3ELi3ELi0EEEJSt7dividesIhEhEEEvT_T0_DpT1_,comdat
	.globl	_ZN2at6native12_GLOBAL__N_125multi_tensor_apply_kernelINS1_18TensorListMetadataILi3EEENS1_24PointwiseOpScalarFunctorIhLi3ELi3ELi0EEEJSt7dividesIhEhEEEvT_T0_DpT1_ ; -- Begin function _ZN2at6native12_GLOBAL__N_125multi_tensor_apply_kernelINS1_18TensorListMetadataILi3EEENS1_24PointwiseOpScalarFunctorIhLi3ELi3ELi0EEEJSt7dividesIhEhEEEvT_T0_DpT1_
	.p2align	8
	.type	_ZN2at6native12_GLOBAL__N_125multi_tensor_apply_kernelINS1_18TensorListMetadataILi3EEENS1_24PointwiseOpScalarFunctorIhLi3ELi3ELi0EEEJSt7dividesIhEhEEEvT_T0_DpT1_,@function
_ZN2at6native12_GLOBAL__N_125multi_tensor_apply_kernelINS1_18TensorListMetadataILi3EEENS1_24PointwiseOpScalarFunctorIhLi3ELi3ELi0EEEJSt7dividesIhEhEEEvT_T0_DpT1_: ; @_ZN2at6native12_GLOBAL__N_125multi_tensor_apply_kernelINS1_18TensorListMetadataILi3EEENS1_24PointwiseOpScalarFunctorIhLi3ELi3ELi0EEEJSt7dividesIhEhEEEvT_T0_DpT1_
; %bb.0:
	v_mov_b32_e32 v1, s15
	s_add_u32 s2, s0, s15
	s_mul_hi_u32 s3, s15, 3
	s_mul_i32 s15, s15, 3
	s_addc_u32 s4, s1, 0
	global_load_u8 v1, v1, s[0:1] offset:1536
	s_load_b32 s20, s[0:1], 0xc48
	s_add_u32 s2, s2, s15
	s_addc_u32 s3, s4, s3
	s_load_b32 s6, s[2:3], 0x740
	s_waitcnt vmcnt(0)
	v_readfirstlane_b32 s2, v1
	s_delay_alu instid0(VALU_DEP_1)
	s_lshl_b32 s7, s2, 3
	s_clause 0x3
	s_load_b64 s[2:3], s[0:1], s7 offset:0x0
	s_load_b64 s[4:5], s[0:1], s7 offset:0x180
	;; [unrolled: 1-line block ×4, first 2 shown]
	s_waitcnt lgkmcnt(0)
	s_ashr_i32 s7, s6, 31
	s_delay_alu instid0(SALU_CYCLE_1) | instskip(NEXT) | instid1(SALU_CYCLE_1)
	s_lshl_b64 s[14:15], s[6:7], 16
	s_add_u32 s6, s2, s14
	s_addc_u32 s7, s3, s15
	s_add_u32 s16, s4, s14
	s_addc_u32 s17, s5, s15
	;; [unrolled: 2-line block ×3, first 2 shown]
	s_or_b32 s8, s18, s16
	s_delay_alu instid0(SALU_CYCLE_1) | instskip(NEXT) | instid1(SALU_CYCLE_1)
	s_and_b32 s8, s8, 3
	s_cmp_eq_u32 s8, 0
	s_cselect_b32 s21, -1, 0
	s_sub_u32 s8, s10, s14
	s_subb_u32 s9, s11, s15
	s_or_b64 s[10:11], s[10:11], s[6:7]
	s_mov_b32 s11, 0
	s_and_b32 s10, s10, 3
	s_delay_alu instid0(SALU_CYCLE_1) | instskip(SKIP_1) | instid1(SALU_CYCLE_1)
	s_cmp_eq_u64 s[10:11], 0
	s_cselect_b32 s10, -1, 0
	s_and_b32 s10, s21, s10
	s_delay_alu instid0(SALU_CYCLE_1)
	s_and_b32 vcc_lo, exec_lo, s10
	s_mov_b32 s10, -1
	s_cbranch_vccnz .LBB66_29
; %bb.1:
	v_cmp_lt_i64_e64 s10, s[8:9], 1
	s_delay_alu instid0(VALU_DEP_1)
	s_and_b32 vcc_lo, exec_lo, s10
	s_cbranch_vccnz .LBB66_28
; %bb.2:
	s_load_b32 s10, s[0:1], 0xc5c
	v_add_co_u32 v21, s11, s14, v0
	s_delay_alu instid0(VALU_DEP_1) | instskip(SKIP_1) | instid1(VALU_DEP_3)
	v_add_co_ci_u32_e64 v22, null, s15, 0, s11
	v_cmp_gt_u64_e64 s11, 0x10000, s[8:9]
	v_add_co_u32 v1, vcc_lo, s2, v21
	s_delay_alu instid0(VALU_DEP_3)
	v_add_co_ci_u32_e32 v2, vcc_lo, s3, v22, vcc_lo
	v_add_co_u32 v3, vcc_lo, s4, v21
	v_add_co_ci_u32_e32 v4, vcc_lo, s5, v22, vcc_lo
	v_add_co_u32 v5, vcc_lo, s12, v21
	v_add_co_ci_u32_e32 v6, vcc_lo, s13, v22, vcc_lo
	s_waitcnt lgkmcnt(0)
	s_and_b32 s22, s10, 0xffff
	s_and_b32 s10, s11, exec_lo
	s_mul_i32 s24, s22, 3
	s_cselect_b32 s11, s9, 0
	s_cselect_b32 s10, s8, 0x10000
	s_lshl_b32 s23, s22, 1
	s_lshl_b32 s21, s22, 2
	s_add_u32 s25, s14, s24
	s_addc_u32 s26, s15, 0
	v_add_co_u32 v11, s25, s25, v0
	s_delay_alu instid0(VALU_DEP_1) | instskip(SKIP_1) | instid1(VALU_DEP_2)
	v_add_co_ci_u32_e64 v12, null, s26, 0, s25
	s_add_u32 s14, s14, s23
	v_add_co_u32 v7, vcc_lo, s2, v11
	s_delay_alu instid0(VALU_DEP_2)
	v_add_co_ci_u32_e32 v8, vcc_lo, s3, v12, vcc_lo
	v_add_co_u32 v9, vcc_lo, s4, v11
	s_addc_u32 s15, s15, 0
	v_add_co_u32 v19, s14, s14, v0
	v_add_co_ci_u32_e32 v10, vcc_lo, s5, v12, vcc_lo
	v_add_co_u32 v11, vcc_lo, s12, v11
	v_add_co_ci_u32_e64 v20, null, s15, 0, s14
	v_add_co_ci_u32_e32 v12, vcc_lo, s13, v12, vcc_lo
	v_add_co_u32 v15, vcc_lo, s2, v19
	s_delay_alu instid0(VALU_DEP_3)
	v_add_co_ci_u32_e32 v16, vcc_lo, s3, v20, vcc_lo
	v_add_co_u32 v17, vcc_lo, s4, v19
	v_add_co_ci_u32_e32 v18, vcc_lo, s5, v20, vcc_lo
	v_add_co_u32 v19, vcc_lo, s12, v19
	;; [unrolled: 2-line block ×3, first 2 shown]
	v_add_co_ci_u32_e32 v28, vcc_lo, 0, v22, vcc_lo
	v_add_co_u32 v13, s14, s24, v0
	s_delay_alu instid0(VALU_DEP_3) | instskip(NEXT) | instid1(VALU_DEP_3)
	v_add_co_u32 v23, vcc_lo, s2, v27
	v_add_co_ci_u32_e32 v24, vcc_lo, s3, v28, vcc_lo
	v_add_co_u32 v25, vcc_lo, s4, v27
	v_add_co_ci_u32_e32 v26, vcc_lo, s5, v28, vcc_lo
	v_add_co_ci_u32_e64 v14, null, 0, 0, s14
	v_add_co_u32 v21, s14, s23, v0
	v_add_co_u32 v27, vcc_lo, s12, v27
	v_add_co_u32 v29, s2, v0, s22
	v_add_co_ci_u32_e64 v22, null, 0, 0, s14
	v_add_co_ci_u32_e32 v28, vcc_lo, s13, v28, vcc_lo
	v_add_co_ci_u32_e64 v30, null, 0, 0, s2
	s_mov_b64 s[12:13], 0
	s_lshr_b32 s14, s20, 16
	s_branch .LBB66_4
.LBB66_3:                               ;   in Loop: Header=BB66_4 Depth=1
	s_or_b32 exec_lo, exec_lo, s2
	s_add_u32 s12, s12, s21
	s_addc_u32 s13, s13, 0
	s_delay_alu instid0(SALU_CYCLE_1) | instskip(SKIP_1) | instid1(VALU_DEP_1)
	v_cmp_lt_i64_e64 s2, s[12:13], s[8:9]
	v_cmp_gt_u64_e64 s3, 0x10000, s[12:13]
	s_and_b32 s2, s2, s3
	s_delay_alu instid0(SALU_CYCLE_1)
	s_and_b32 vcc_lo, exec_lo, s2
	s_cbranch_vccz .LBB66_28
.LBB66_4:                               ; =>This Inner Loop Header: Depth=1
	s_waitcnt vmcnt(1)
	v_add_co_u32 v31, s2, v0, s12
	s_delay_alu instid0(VALU_DEP_1) | instskip(SKIP_2) | instid1(VALU_DEP_2)
	v_add_co_ci_u32_e64 v32, null, 0, s13, s2
	s_waitcnt vmcnt(0)
	v_mov_b32_e32 v33, 0
	v_cmp_gt_u64_e32 vcc_lo, s[10:11], v[31:32]
	v_mov_b32_e32 v31, 0
	s_and_saveexec_b32 s3, vcc_lo
	s_cbranch_execz .LBB66_6
; %bb.5:                                ;   in Loop: Header=BB66_4 Depth=1
	v_add_co_u32 v31, s2, v1, s12
	s_delay_alu instid0(VALU_DEP_1) | instskip(SKIP_1) | instid1(VALU_DEP_1)
	v_add_co_ci_u32_e64 v32, s2, s13, v2, s2
	v_add_co_u32 v33, s2, v3, s12
	v_add_co_ci_u32_e64 v34, s2, s13, v4, s2
	global_load_u8 v31, v[31:32], off
	global_load_u8 v33, v[33:34], off
.LBB66_6:                               ;   in Loop: Header=BB66_4 Depth=1
	s_or_b32 exec_lo, exec_lo, s3
	v_dual_mov_b32 v32, 0 :: v_dual_mov_b32 v35, 0
	s_and_saveexec_b32 s3, vcc_lo
	s_cbranch_execz .LBB66_8
; %bb.7:                                ;   in Loop: Header=BB66_4 Depth=1
	v_add_co_u32 v34, s2, v5, s12
	s_delay_alu instid0(VALU_DEP_1)
	v_add_co_ci_u32_e64 v35, s2, s13, v6, s2
	global_load_u8 v35, v[34:35], off
.LBB66_8:                               ;   in Loop: Header=BB66_4 Depth=1
	s_or_b32 exec_lo, exec_lo, s3
	v_add_co_u32 v36, s2, v29, s12
	s_delay_alu instid0(VALU_DEP_1) | instskip(NEXT) | instid1(VALU_DEP_1)
	v_add_co_ci_u32_e64 v37, s2, s13, v30, s2
	v_cmp_gt_u64_e64 s2, s[10:11], v[36:37]
	v_mov_b32_e32 v36, 0
	s_delay_alu instid0(VALU_DEP_2)
	s_and_saveexec_b32 s4, s2
	s_cbranch_execz .LBB66_10
; %bb.9:                                ;   in Loop: Header=BB66_4 Depth=1
	v_add_co_u32 v36, s3, v23, s12
	s_delay_alu instid0(VALU_DEP_1) | instskip(SKIP_1) | instid1(VALU_DEP_1)
	v_add_co_ci_u32_e64 v37, s3, s13, v24, s3
	v_add_co_u32 v38, s3, v25, s12
	v_add_co_ci_u32_e64 v39, s3, s13, v26, s3
	global_load_u8 v32, v[36:37], off
	global_load_u8 v36, v[38:39], off
.LBB66_10:                              ;   in Loop: Header=BB66_4 Depth=1
	s_or_b32 exec_lo, exec_lo, s4
	v_mov_b32_e32 v34, 0
	v_mov_b32_e32 v38, 0
	s_and_saveexec_b32 s4, s2
	s_cbranch_execz .LBB66_12
; %bb.11:                               ;   in Loop: Header=BB66_4 Depth=1
	v_add_co_u32 v37, s3, v27, s12
	s_delay_alu instid0(VALU_DEP_1)
	v_add_co_ci_u32_e64 v38, s3, s13, v28, s3
	global_load_u8 v38, v[37:38], off
.LBB66_12:                              ;   in Loop: Header=BB66_4 Depth=1
	s_or_b32 exec_lo, exec_lo, s4
	v_add_co_u32 v39, s3, v21, s12
	s_delay_alu instid0(VALU_DEP_1) | instskip(NEXT) | instid1(VALU_DEP_1)
	v_add_co_ci_u32_e64 v40, s3, s13, v22, s3
	v_cmp_gt_u64_e64 s3, s[10:11], v[39:40]
	v_mov_b32_e32 v39, 0
	s_delay_alu instid0(VALU_DEP_2)
	s_and_saveexec_b32 s5, s3
	s_cbranch_execz .LBB66_14
; %bb.13:                               ;   in Loop: Header=BB66_4 Depth=1
	v_add_co_u32 v39, s4, v15, s12
	s_delay_alu instid0(VALU_DEP_1) | instskip(SKIP_1) | instid1(VALU_DEP_1)
	v_add_co_ci_u32_e64 v40, s4, s13, v16, s4
	v_add_co_u32 v41, s4, v17, s12
	v_add_co_ci_u32_e64 v42, s4, s13, v18, s4
	global_load_u8 v34, v[39:40], off
	global_load_u8 v39, v[41:42], off
.LBB66_14:                              ;   in Loop: Header=BB66_4 Depth=1
	s_or_b32 exec_lo, exec_lo, s5
	v_dual_mov_b32 v37, 0 :: v_dual_mov_b32 v40, 0
	s_and_saveexec_b32 s5, s3
	s_cbranch_execz .LBB66_16
; %bb.15:                               ;   in Loop: Header=BB66_4 Depth=1
	v_add_co_u32 v40, s4, v19, s12
	s_delay_alu instid0(VALU_DEP_1)
	v_add_co_ci_u32_e64 v41, s4, s13, v20, s4
	global_load_u8 v40, v[40:41], off
.LBB66_16:                              ;   in Loop: Header=BB66_4 Depth=1
	s_or_b32 exec_lo, exec_lo, s5
	v_add_co_u32 v41, s4, v13, s12
	s_delay_alu instid0(VALU_DEP_1) | instskip(NEXT) | instid1(VALU_DEP_1)
	v_add_co_ci_u32_e64 v42, s4, s13, v14, s4
	v_cmp_gt_u64_e64 s4, s[10:11], v[41:42]
	v_mov_b32_e32 v41, 0
	s_delay_alu instid0(VALU_DEP_2)
	s_and_saveexec_b32 s15, s4
	s_cbranch_execnz .LBB66_22
; %bb.17:                               ;   in Loop: Header=BB66_4 Depth=1
	s_or_b32 exec_lo, exec_lo, s15
	v_mov_b32_e32 v42, 0
	s_and_saveexec_b32 s15, s4
	s_cbranch_execnz .LBB66_23
.LBB66_18:                              ;   in Loop: Header=BB66_4 Depth=1
	s_or_b32 exec_lo, exec_lo, s15
	s_and_saveexec_b32 s5, vcc_lo
	s_cbranch_execnz .LBB66_24
.LBB66_19:                              ;   in Loop: Header=BB66_4 Depth=1
	s_or_b32 exec_lo, exec_lo, s5
	s_and_saveexec_b32 s5, s2
	s_cbranch_execnz .LBB66_25
.LBB66_20:                              ;   in Loop: Header=BB66_4 Depth=1
	s_or_b32 exec_lo, exec_lo, s5
	s_and_saveexec_b32 s2, s3
	s_cbranch_execnz .LBB66_26
.LBB66_21:                              ;   in Loop: Header=BB66_4 Depth=1
	s_or_b32 exec_lo, exec_lo, s2
	s_and_saveexec_b32 s2, s4
	s_cbranch_execz .LBB66_3
	s_branch .LBB66_27
.LBB66_22:                              ;   in Loop: Header=BB66_4 Depth=1
	v_add_co_u32 v41, s5, v7, s12
	s_delay_alu instid0(VALU_DEP_1) | instskip(SKIP_1) | instid1(VALU_DEP_1)
	v_add_co_ci_u32_e64 v42, s5, s13, v8, s5
	v_add_co_u32 v43, s5, v9, s12
	v_add_co_ci_u32_e64 v44, s5, s13, v10, s5
	global_load_u8 v37, v[41:42], off
	global_load_u8 v41, v[43:44], off
	s_or_b32 exec_lo, exec_lo, s15
	v_mov_b32_e32 v42, 0
	s_and_saveexec_b32 s15, s4
	s_cbranch_execz .LBB66_18
.LBB66_23:                              ;   in Loop: Header=BB66_4 Depth=1
	v_add_co_u32 v42, s5, v11, s12
	s_delay_alu instid0(VALU_DEP_1)
	v_add_co_ci_u32_e64 v43, s5, s13, v12, s5
	global_load_u8 v42, v[42:43], off
	s_or_b32 exec_lo, exec_lo, s15
	s_and_saveexec_b32 s5, vcc_lo
	s_cbranch_execz .LBB66_19
.LBB66_24:                              ;   in Loop: Header=BB66_4 Depth=1
	s_waitcnt vmcnt(0)
	v_cvt_f32_ubyte0_e32 v35, v35
	v_cvt_f32_ubyte0_e32 v33, v33
	s_delay_alu instid0(VALU_DEP_2) | instskip(SKIP_2) | instid1(VALU_DEP_1)
	v_rcp_iflag_f32_e32 v43, v35
	s_waitcnt_depctr 0xfff
	v_mul_f32_e32 v43, v33, v43
	v_trunc_f32_e32 v43, v43
	s_delay_alu instid0(VALU_DEP_1) | instskip(SKIP_1) | instid1(VALU_DEP_2)
	v_fma_f32 v33, -v43, v35, v33
	v_cvt_u32_f32_e32 v43, v43
	v_cmp_ge_f32_e64 vcc_lo, |v33|, v35
	s_delay_alu instid0(VALU_DEP_2) | instskip(SKIP_2) | instid1(VALU_DEP_3)
	v_add_co_ci_u32_e32 v33, vcc_lo, 0, v43, vcc_lo
	v_add_co_u32 v43, vcc_lo, v1, s12
	v_add_co_ci_u32_e32 v44, vcc_lo, s13, v2, vcc_lo
	v_mad_u16 v31, v33, s14, v31
	global_store_b8 v[43:44], v31, off
	s_or_b32 exec_lo, exec_lo, s5
	s_and_saveexec_b32 s5, s2
	s_cbranch_execz .LBB66_20
.LBB66_25:                              ;   in Loop: Header=BB66_4 Depth=1
	s_waitcnt vmcnt(0)
	v_cvt_f32_ubyte0_e32 v31, v38
	v_cvt_f32_ubyte0_e32 v35, v36
	s_delay_alu instid0(VALU_DEP_2) | instskip(SKIP_2) | instid1(VALU_DEP_1)
	v_rcp_iflag_f32_e32 v33, v31
	s_waitcnt_depctr 0xfff
	v_mul_f32_e32 v33, v35, v33
	v_trunc_f32_e32 v33, v33
	s_delay_alu instid0(VALU_DEP_1) | instskip(SKIP_1) | instid1(VALU_DEP_2)
	v_fma_f32 v35, -v33, v31, v35
	v_cvt_u32_f32_e32 v33, v33
	v_cmp_ge_f32_e64 vcc_lo, |v35|, v31
	s_delay_alu instid0(VALU_DEP_2) | instskip(NEXT) | instid1(VALU_DEP_1)
	v_add_co_ci_u32_e32 v31, vcc_lo, 0, v33, vcc_lo
	v_mad_u16 v33, v31, s14, v32
	v_add_co_u32 v31, vcc_lo, v23, s12
	v_add_co_ci_u32_e32 v32, vcc_lo, s13, v24, vcc_lo
	global_store_b8 v[31:32], v33, off
	s_or_b32 exec_lo, exec_lo, s5
	s_and_saveexec_b32 s2, s3
	s_cbranch_execz .LBB66_21
.LBB66_26:                              ;   in Loop: Header=BB66_4 Depth=1
	s_waitcnt vmcnt(0)
	v_cvt_f32_ubyte0_e32 v31, v40
	v_cvt_f32_ubyte0_e32 v33, v39
	s_delay_alu instid0(VALU_DEP_2) | instskip(SKIP_2) | instid1(VALU_DEP_1)
	v_rcp_iflag_f32_e32 v32, v31
	s_waitcnt_depctr 0xfff
	v_mul_f32_e32 v32, v33, v32
	v_trunc_f32_e32 v32, v32
	s_delay_alu instid0(VALU_DEP_1) | instskip(SKIP_1) | instid1(VALU_DEP_2)
	v_fma_f32 v33, -v32, v31, v33
	v_cvt_u32_f32_e32 v32, v32
	v_cmp_ge_f32_e64 vcc_lo, |v33|, v31
	s_delay_alu instid0(VALU_DEP_2) | instskip(NEXT) | instid1(VALU_DEP_1)
	v_add_co_ci_u32_e32 v31, vcc_lo, 0, v32, vcc_lo
	v_mad_u16 v33, v31, s14, v34
	v_add_co_u32 v31, vcc_lo, v15, s12
	v_add_co_ci_u32_e32 v32, vcc_lo, s13, v16, vcc_lo
	global_store_b8 v[31:32], v33, off
	s_or_b32 exec_lo, exec_lo, s2
	s_and_saveexec_b32 s2, s4
	s_cbranch_execz .LBB66_3
.LBB66_27:                              ;   in Loop: Header=BB66_4 Depth=1
	s_waitcnt vmcnt(0)
	v_cvt_f32_ubyte0_e32 v31, v42
	v_cvt_f32_ubyte0_e32 v33, v41
	s_delay_alu instid0(VALU_DEP_2) | instskip(SKIP_2) | instid1(VALU_DEP_1)
	v_rcp_iflag_f32_e32 v32, v31
	s_waitcnt_depctr 0xfff
	v_mul_f32_e32 v32, v33, v32
	v_trunc_f32_e32 v32, v32
	s_delay_alu instid0(VALU_DEP_1) | instskip(SKIP_1) | instid1(VALU_DEP_2)
	v_fma_f32 v33, -v32, v31, v33
	v_cvt_u32_f32_e32 v32, v32
	v_cmp_ge_f32_e64 vcc_lo, |v33|, v31
	s_delay_alu instid0(VALU_DEP_2) | instskip(NEXT) | instid1(VALU_DEP_1)
	v_add_co_ci_u32_e32 v31, vcc_lo, 0, v32, vcc_lo
	v_mad_u16 v33, v31, s14, v37
	v_add_co_u32 v31, vcc_lo, v7, s12
	v_add_co_ci_u32_e32 v32, vcc_lo, s13, v8, vcc_lo
	global_store_b8 v[31:32], v33, off
	s_branch .LBB66_3
.LBB66_28:
	s_mov_b32 s10, 0
.LBB66_29:
	s_delay_alu instid0(SALU_CYCLE_1)
	s_and_not1_b32 vcc_lo, exec_lo, s10
	s_cbranch_vccnz .LBB66_33
; %bb.30:
	v_dual_mov_b32 v1, 0 :: v_dual_lshlrev_b32 v0, 2, v0
	s_mov_b32 s2, exec_lo
	s_delay_alu instid0(VALU_DEP_1)
	v_cmpx_gt_i64_e64 s[8:9], v[0:1]
	s_cbranch_execz .LBB66_33
; %bb.31:
	s_load_b32 s0, s[0:1], 0xc5c
	s_mov_b32 s1, 0
	s_lshr_b32 s3, s20, 16
	s_waitcnt lgkmcnt(0)
	s_and_b32 s0, s0, 0xffff
	s_delay_alu instid0(SALU_CYCLE_1)
	s_lshl_b32 s2, s0, 2
.LBB66_32:                              ; =>This Inner Loop Header: Depth=1
	v_add_co_u32 v2, vcc_lo, s16, v0
	v_add_co_ci_u32_e32 v3, vcc_lo, s17, v1, vcc_lo
	v_add_co_u32 v4, vcc_lo, s18, v0
	v_add_co_ci_u32_e32 v5, vcc_lo, s19, v1, vcc_lo
	;; [unrolled: 2-line block ×3, first 2 shown]
	global_load_b32 v2, v[2:3], off
	global_load_b32 v3, v[4:5], off
	;; [unrolled: 1-line block ×3, first 2 shown]
	v_add_co_u32 v0, vcc_lo, s2, v0
	v_add_co_ci_u32_e32 v1, vcc_lo, 0, v1, vcc_lo
	s_delay_alu instid0(VALU_DEP_1)
	v_cmp_le_i64_e32 vcc_lo, s[8:9], v[0:1]
	s_waitcnt vmcnt(2)
	v_cvt_f32_ubyte0_e32 v5, v2
	s_waitcnt vmcnt(1)
	v_cvt_f32_ubyte0_e32 v8, v3
	v_cvt_f32_ubyte1_e32 v11, v3
	v_cvt_f32_ubyte2_e32 v14, v3
	v_cvt_f32_ubyte1_e32 v10, v2
	v_cvt_f32_ubyte3_e32 v3, v3
	v_rcp_iflag_f32_e32 v16, v8
	v_rcp_iflag_f32_e32 v17, v11
	;; [unrolled: 1-line block ×3, first 2 shown]
	v_cvt_f32_ubyte2_e32 v13, v2
	v_rcp_iflag_f32_e32 v19, v3
	v_cvt_f32_ubyte3_e32 v2, v2
	s_waitcnt vmcnt(0)
	v_lshrrev_b32_e32 v9, 8, v4
	v_lshrrev_b32_e32 v12, 16, v4
	;; [unrolled: 1-line block ×3, first 2 shown]
	s_delay_alu instid0(TRANS32_DEP_3) | instskip(SKIP_4) | instid1(VALU_DEP_3)
	v_dual_mul_f32 v16, v5, v16 :: v_dual_mul_f32 v17, v10, v17
	s_waitcnt_depctr 0xfff
	v_dual_mul_f32 v18, v13, v18 :: v_dual_mul_f32 v19, v2, v19
	v_trunc_f32_e32 v16, v16
	v_trunc_f32_e32 v17, v17
	;; [unrolled: 1-line block ×3, first 2 shown]
	s_delay_alu instid0(VALU_DEP_4) | instskip(NEXT) | instid1(VALU_DEP_4)
	v_trunc_f32_e32 v19, v19
	v_fma_f32 v5, -v16, v8, v5
	v_cvt_u32_f32_e32 v16, v16
	v_fma_f32 v10, -v17, v11, v10
	v_cvt_u32_f32_e32 v17, v17
	v_fma_f32 v13, -v18, v14, v13
	v_cmp_ge_f32_e64 s0, |v5|, v8
	v_cvt_u32_f32_e32 v18, v18
	v_fma_f32 v2, -v19, v3, v2
	v_cvt_u32_f32_e32 v19, v19
	s_delay_alu instid0(VALU_DEP_4) | instskip(SKIP_1) | instid1(VALU_DEP_2)
	v_add_co_ci_u32_e64 v5, s0, 0, v16, s0
	v_cmp_ge_f32_e64 s0, |v10|, v11
	v_mad_u16 v4, v5, s3, v4
	s_delay_alu instid0(VALU_DEP_2) | instskip(SKIP_1) | instid1(VALU_DEP_1)
	v_add_co_ci_u32_e64 v8, s0, 0, v17, s0
	v_cmp_ge_f32_e64 s0, |v13|, v14
	v_add_co_ci_u32_e64 v10, s0, 0, v18, s0
	v_cmp_ge_f32_e64 s0, |v2|, v3
	s_delay_alu instid0(VALU_DEP_4) | instskip(NEXT) | instid1(VALU_DEP_3)
	v_mad_u16 v3, v8, s3, v9
	v_mad_u16 v8, v10, s3, v12
	s_delay_alu instid0(VALU_DEP_3) | instskip(NEXT) | instid1(VALU_DEP_3)
	v_add_co_ci_u32_e64 v2, s0, 0, v19, s0
	v_and_b32_e32 v3, 0xff, v3
	s_delay_alu instid0(VALU_DEP_3) | instskip(SKIP_1) | instid1(VALU_DEP_4)
	v_and_b32_e32 v5, 0xff, v8
	v_cmp_lt_u64_e64 s0, 0xffff, v[0:1]
	v_mad_u16 v2, v2, s3, v15
	s_delay_alu instid0(VALU_DEP_4) | instskip(NEXT) | instid1(VALU_DEP_4)
	v_perm_b32 v3, v3, v4, 0x6050400
	v_lshlrev_b32_e32 v4, 16, v5
	s_delay_alu instid0(VALU_DEP_3) | instskip(SKIP_1) | instid1(SALU_CYCLE_1)
	v_lshlrev_b32_e32 v2, 24, v2
	s_or_b32 s0, vcc_lo, s0
	s_and_b32 s0, exec_lo, s0
	s_delay_alu instid0(VALU_DEP_1)
	v_or3_b32 v2, v3, v4, v2
	s_or_b32 s1, s0, s1
	global_store_b32 v[6:7], v2, off
	s_and_not1_b32 exec_lo, exec_lo, s1
	s_cbranch_execnz .LBB66_32
.LBB66_33:
	s_nop 0
	s_sendmsg sendmsg(MSG_DEALLOC_VGPRS)
	s_endpgm
	.section	.rodata,"a",@progbits
	.p2align	6, 0x0
	.amdhsa_kernel _ZN2at6native12_GLOBAL__N_125multi_tensor_apply_kernelINS1_18TensorListMetadataILi3EEENS1_24PointwiseOpScalarFunctorIhLi3ELi3ELi0EEEJSt7dividesIhEhEEEvT_T0_DpT1_
		.amdhsa_group_segment_fixed_size 0
		.amdhsa_private_segment_fixed_size 0
		.amdhsa_kernarg_size 3408
		.amdhsa_user_sgpr_count 15
		.amdhsa_user_sgpr_dispatch_ptr 0
		.amdhsa_user_sgpr_queue_ptr 0
		.amdhsa_user_sgpr_kernarg_segment_ptr 1
		.amdhsa_user_sgpr_dispatch_id 0
		.amdhsa_user_sgpr_private_segment_size 0
		.amdhsa_wavefront_size32 1
		.amdhsa_uses_dynamic_stack 0
		.amdhsa_enable_private_segment 0
		.amdhsa_system_sgpr_workgroup_id_x 1
		.amdhsa_system_sgpr_workgroup_id_y 0
		.amdhsa_system_sgpr_workgroup_id_z 0
		.amdhsa_system_sgpr_workgroup_info 0
		.amdhsa_system_vgpr_workitem_id 0
		.amdhsa_next_free_vgpr 45
		.amdhsa_next_free_sgpr 27
		.amdhsa_reserve_vcc 1
		.amdhsa_float_round_mode_32 0
		.amdhsa_float_round_mode_16_64 0
		.amdhsa_float_denorm_mode_32 3
		.amdhsa_float_denorm_mode_16_64 3
		.amdhsa_dx10_clamp 1
		.amdhsa_ieee_mode 1
		.amdhsa_fp16_overflow 0
		.amdhsa_workgroup_processor_mode 1
		.amdhsa_memory_ordered 1
		.amdhsa_forward_progress 0
		.amdhsa_shared_vgpr_count 0
		.amdhsa_exception_fp_ieee_invalid_op 0
		.amdhsa_exception_fp_denorm_src 0
		.amdhsa_exception_fp_ieee_div_zero 0
		.amdhsa_exception_fp_ieee_overflow 0
		.amdhsa_exception_fp_ieee_underflow 0
		.amdhsa_exception_fp_ieee_inexact 0
		.amdhsa_exception_int_div_zero 0
	.end_amdhsa_kernel
	.section	.text._ZN2at6native12_GLOBAL__N_125multi_tensor_apply_kernelINS1_18TensorListMetadataILi3EEENS1_24PointwiseOpScalarFunctorIhLi3ELi3ELi0EEEJSt7dividesIhEhEEEvT_T0_DpT1_,"axG",@progbits,_ZN2at6native12_GLOBAL__N_125multi_tensor_apply_kernelINS1_18TensorListMetadataILi3EEENS1_24PointwiseOpScalarFunctorIhLi3ELi3ELi0EEEJSt7dividesIhEhEEEvT_T0_DpT1_,comdat
.Lfunc_end66:
	.size	_ZN2at6native12_GLOBAL__N_125multi_tensor_apply_kernelINS1_18TensorListMetadataILi3EEENS1_24PointwiseOpScalarFunctorIhLi3ELi3ELi0EEEJSt7dividesIhEhEEEvT_T0_DpT1_, .Lfunc_end66-_ZN2at6native12_GLOBAL__N_125multi_tensor_apply_kernelINS1_18TensorListMetadataILi3EEENS1_24PointwiseOpScalarFunctorIhLi3ELi3ELi0EEEJSt7dividesIhEhEEEvT_T0_DpT1_
                                        ; -- End function
	.section	.AMDGPU.csdata,"",@progbits
; Kernel info:
; codeLenInByte = 2276
; NumSgprs: 29
; NumVgprs: 45
; ScratchSize: 0
; MemoryBound: 0
; FloatMode: 240
; IeeeMode: 1
; LDSByteSize: 0 bytes/workgroup (compile time only)
; SGPRBlocks: 3
; VGPRBlocks: 5
; NumSGPRsForWavesPerEU: 29
; NumVGPRsForWavesPerEU: 45
; Occupancy: 16
; WaveLimiterHint : 0
; COMPUTE_PGM_RSRC2:SCRATCH_EN: 0
; COMPUTE_PGM_RSRC2:USER_SGPR: 15
; COMPUTE_PGM_RSRC2:TRAP_HANDLER: 0
; COMPUTE_PGM_RSRC2:TGID_X_EN: 1
; COMPUTE_PGM_RSRC2:TGID_Y_EN: 0
; COMPUTE_PGM_RSRC2:TGID_Z_EN: 0
; COMPUTE_PGM_RSRC2:TIDIG_COMP_CNT: 0
	.section	.text._ZN2at6native12_GLOBAL__N_125multi_tensor_apply_kernelINS1_18TensorListMetadataILi3EEENS1_24PointwiseOpScalarFunctorIaLi3ELi3ELi0EEEJSt7dividesIaEaEEEvT_T0_DpT1_,"axG",@progbits,_ZN2at6native12_GLOBAL__N_125multi_tensor_apply_kernelINS1_18TensorListMetadataILi3EEENS1_24PointwiseOpScalarFunctorIaLi3ELi3ELi0EEEJSt7dividesIaEaEEEvT_T0_DpT1_,comdat
	.globl	_ZN2at6native12_GLOBAL__N_125multi_tensor_apply_kernelINS1_18TensorListMetadataILi3EEENS1_24PointwiseOpScalarFunctorIaLi3ELi3ELi0EEEJSt7dividesIaEaEEEvT_T0_DpT1_ ; -- Begin function _ZN2at6native12_GLOBAL__N_125multi_tensor_apply_kernelINS1_18TensorListMetadataILi3EEENS1_24PointwiseOpScalarFunctorIaLi3ELi3ELi0EEEJSt7dividesIaEaEEEvT_T0_DpT1_
	.p2align	8
	.type	_ZN2at6native12_GLOBAL__N_125multi_tensor_apply_kernelINS1_18TensorListMetadataILi3EEENS1_24PointwiseOpScalarFunctorIaLi3ELi3ELi0EEEJSt7dividesIaEaEEEvT_T0_DpT1_,@function
_ZN2at6native12_GLOBAL__N_125multi_tensor_apply_kernelINS1_18TensorListMetadataILi3EEENS1_24PointwiseOpScalarFunctorIaLi3ELi3ELi0EEEJSt7dividesIaEaEEEvT_T0_DpT1_: ; @_ZN2at6native12_GLOBAL__N_125multi_tensor_apply_kernelINS1_18TensorListMetadataILi3EEENS1_24PointwiseOpScalarFunctorIaLi3ELi3ELi0EEEJSt7dividesIaEaEEEvT_T0_DpT1_
; %bb.0:
	v_mov_b32_e32 v1, s15
	s_add_u32 s2, s0, s15
	s_mul_hi_u32 s3, s15, 3
	s_mul_i32 s15, s15, 3
	s_addc_u32 s4, s1, 0
	global_load_u8 v1, v1, s[0:1] offset:1536
	s_load_b32 s20, s[0:1], 0xc48
	s_add_u32 s2, s2, s15
	s_addc_u32 s3, s4, s3
	s_load_b32 s6, s[2:3], 0x740
	s_waitcnt vmcnt(0)
	v_readfirstlane_b32 s2, v1
	s_delay_alu instid0(VALU_DEP_1)
	s_lshl_b32 s7, s2, 3
	s_clause 0x3
	s_load_b64 s[2:3], s[0:1], s7 offset:0x0
	s_load_b64 s[4:5], s[0:1], s7 offset:0x180
	;; [unrolled: 1-line block ×4, first 2 shown]
	s_waitcnt lgkmcnt(0)
	s_ashr_i32 s7, s6, 31
	s_delay_alu instid0(SALU_CYCLE_1) | instskip(NEXT) | instid1(SALU_CYCLE_1)
	s_lshl_b64 s[14:15], s[6:7], 16
	s_add_u32 s6, s2, s14
	s_addc_u32 s7, s3, s15
	s_add_u32 s16, s4, s14
	s_addc_u32 s17, s5, s15
	;; [unrolled: 2-line block ×3, first 2 shown]
	s_or_b32 s8, s18, s16
	s_delay_alu instid0(SALU_CYCLE_1) | instskip(NEXT) | instid1(SALU_CYCLE_1)
	s_and_b32 s8, s8, 3
	s_cmp_eq_u32 s8, 0
	s_cselect_b32 s21, -1, 0
	s_sub_u32 s8, s10, s14
	s_subb_u32 s9, s11, s15
	s_or_b64 s[10:11], s[10:11], s[6:7]
	s_mov_b32 s11, 0
	s_and_b32 s10, s10, 3
	s_delay_alu instid0(SALU_CYCLE_1) | instskip(SKIP_1) | instid1(SALU_CYCLE_1)
	s_cmp_eq_u64 s[10:11], 0
	s_cselect_b32 s10, -1, 0
	s_and_b32 s10, s21, s10
	s_delay_alu instid0(SALU_CYCLE_1)
	s_and_b32 vcc_lo, exec_lo, s10
	s_mov_b32 s10, -1
	s_cbranch_vccnz .LBB67_29
; %bb.1:
	v_cmp_lt_i64_e64 s10, s[8:9], 1
	s_delay_alu instid0(VALU_DEP_1)
	s_and_b32 vcc_lo, exec_lo, s10
	s_cbranch_vccnz .LBB67_28
; %bb.2:
	s_load_b32 s10, s[0:1], 0xc5c
	v_add_co_u32 v21, s11, s14, v0
	s_delay_alu instid0(VALU_DEP_1) | instskip(SKIP_1) | instid1(VALU_DEP_3)
	v_add_co_ci_u32_e64 v22, null, s15, 0, s11
	v_cmp_gt_u64_e64 s11, 0x10000, s[8:9]
	v_add_co_u32 v1, vcc_lo, s2, v21
	s_delay_alu instid0(VALU_DEP_3)
	v_add_co_ci_u32_e32 v2, vcc_lo, s3, v22, vcc_lo
	v_add_co_u32 v3, vcc_lo, s4, v21
	v_add_co_ci_u32_e32 v4, vcc_lo, s5, v22, vcc_lo
	v_add_co_u32 v5, vcc_lo, s12, v21
	v_add_co_ci_u32_e32 v6, vcc_lo, s13, v22, vcc_lo
	s_waitcnt lgkmcnt(0)
	s_and_b32 s22, s10, 0xffff
	s_and_b32 s10, s11, exec_lo
	s_mul_i32 s24, s22, 3
	s_cselect_b32 s11, s9, 0
	s_cselect_b32 s10, s8, 0x10000
	s_lshl_b32 s23, s22, 1
	s_lshl_b32 s21, s22, 2
	s_add_u32 s25, s14, s24
	s_addc_u32 s26, s15, 0
	v_add_co_u32 v11, s25, s25, v0
	s_delay_alu instid0(VALU_DEP_1) | instskip(SKIP_1) | instid1(VALU_DEP_2)
	v_add_co_ci_u32_e64 v12, null, s26, 0, s25
	s_add_u32 s14, s14, s23
	v_add_co_u32 v7, vcc_lo, s2, v11
	s_delay_alu instid0(VALU_DEP_2)
	v_add_co_ci_u32_e32 v8, vcc_lo, s3, v12, vcc_lo
	v_add_co_u32 v9, vcc_lo, s4, v11
	s_addc_u32 s15, s15, 0
	v_add_co_u32 v19, s14, s14, v0
	v_add_co_ci_u32_e32 v10, vcc_lo, s5, v12, vcc_lo
	v_add_co_u32 v11, vcc_lo, s12, v11
	v_add_co_ci_u32_e64 v20, null, s15, 0, s14
	v_add_co_ci_u32_e32 v12, vcc_lo, s13, v12, vcc_lo
	v_add_co_u32 v15, vcc_lo, s2, v19
	s_delay_alu instid0(VALU_DEP_3)
	v_add_co_ci_u32_e32 v16, vcc_lo, s3, v20, vcc_lo
	v_add_co_u32 v17, vcc_lo, s4, v19
	v_add_co_ci_u32_e32 v18, vcc_lo, s5, v20, vcc_lo
	v_add_co_u32 v19, vcc_lo, s12, v19
	;; [unrolled: 2-line block ×3, first 2 shown]
	v_add_co_ci_u32_e32 v28, vcc_lo, 0, v22, vcc_lo
	v_add_co_u32 v13, s14, s24, v0
	s_delay_alu instid0(VALU_DEP_3) | instskip(NEXT) | instid1(VALU_DEP_3)
	v_add_co_u32 v23, vcc_lo, s2, v27
	v_add_co_ci_u32_e32 v24, vcc_lo, s3, v28, vcc_lo
	v_add_co_u32 v25, vcc_lo, s4, v27
	v_add_co_ci_u32_e32 v26, vcc_lo, s5, v28, vcc_lo
	v_add_co_ci_u32_e64 v14, null, 0, 0, s14
	v_add_co_u32 v21, s14, s23, v0
	v_add_co_u32 v27, vcc_lo, s12, v27
	v_add_co_u32 v29, s2, v0, s22
	v_add_co_ci_u32_e64 v22, null, 0, 0, s14
	v_add_co_ci_u32_e32 v28, vcc_lo, s13, v28, vcc_lo
	v_add_co_ci_u32_e64 v30, null, 0, 0, s2
	s_mov_b64 s[12:13], 0
	s_lshr_b32 s14, s20, 16
	s_branch .LBB67_4
.LBB67_3:                               ;   in Loop: Header=BB67_4 Depth=1
	s_or_b32 exec_lo, exec_lo, s2
	s_add_u32 s12, s12, s21
	s_addc_u32 s13, s13, 0
	s_delay_alu instid0(SALU_CYCLE_1) | instskip(SKIP_1) | instid1(VALU_DEP_1)
	v_cmp_lt_i64_e64 s2, s[12:13], s[8:9]
	v_cmp_gt_u64_e64 s3, 0x10000, s[12:13]
	s_and_b32 s2, s2, s3
	s_delay_alu instid0(SALU_CYCLE_1)
	s_and_b32 vcc_lo, exec_lo, s2
	s_cbranch_vccz .LBB67_28
.LBB67_4:                               ; =>This Inner Loop Header: Depth=1
	s_waitcnt vmcnt(1)
	v_add_co_u32 v31, s2, v0, s12
	s_delay_alu instid0(VALU_DEP_1) | instskip(SKIP_2) | instid1(VALU_DEP_2)
	v_add_co_ci_u32_e64 v32, null, 0, s13, s2
	s_waitcnt vmcnt(0)
	v_mov_b32_e32 v34, 0
	v_cmp_gt_u64_e32 vcc_lo, s[10:11], v[31:32]
	v_mov_b32_e32 v32, 0
	s_and_saveexec_b32 s3, vcc_lo
	s_cbranch_execz .LBB67_6
; %bb.5:                                ;   in Loop: Header=BB67_4 Depth=1
	v_add_co_u32 v31, s2, v1, s12
	s_delay_alu instid0(VALU_DEP_1) | instskip(SKIP_1) | instid1(VALU_DEP_1)
	v_add_co_ci_u32_e64 v32, s2, s13, v2, s2
	v_add_co_u32 v33, s2, v3, s12
	v_add_co_ci_u32_e64 v34, s2, s13, v4, s2
	global_load_u8 v32, v[31:32], off
	global_load_u8 v34, v[33:34], off
.LBB67_6:                               ;   in Loop: Header=BB67_4 Depth=1
	s_or_b32 exec_lo, exec_lo, s3
	v_mov_b32_e32 v31, 0
	v_mov_b32_e32 v37, 0
	s_and_saveexec_b32 s3, vcc_lo
	s_cbranch_execz .LBB67_8
; %bb.7:                                ;   in Loop: Header=BB67_4 Depth=1
	v_add_co_u32 v35, s2, v5, s12
	s_delay_alu instid0(VALU_DEP_1)
	v_add_co_ci_u32_e64 v36, s2, s13, v6, s2
	global_load_u8 v37, v[35:36], off
.LBB67_8:                               ;   in Loop: Header=BB67_4 Depth=1
	s_or_b32 exec_lo, exec_lo, s3
	v_add_co_u32 v35, s2, v29, s12
	s_delay_alu instid0(VALU_DEP_1) | instskip(NEXT) | instid1(VALU_DEP_1)
	v_add_co_ci_u32_e64 v36, s2, s13, v30, s2
	v_cmp_gt_u64_e64 s2, s[10:11], v[35:36]
	v_mov_b32_e32 v36, 0
	s_delay_alu instid0(VALU_DEP_2)
	s_and_saveexec_b32 s4, s2
	s_cbranch_execz .LBB67_10
; %bb.9:                                ;   in Loop: Header=BB67_4 Depth=1
	v_add_co_u32 v35, s3, v23, s12
	s_delay_alu instid0(VALU_DEP_1) | instskip(SKIP_1) | instid1(VALU_DEP_1)
	v_add_co_ci_u32_e64 v36, s3, s13, v24, s3
	v_add_co_u32 v38, s3, v25, s12
	v_add_co_ci_u32_e64 v39, s3, s13, v26, s3
	global_load_u8 v31, v[35:36], off
	global_load_u8 v36, v[38:39], off
.LBB67_10:                              ;   in Loop: Header=BB67_4 Depth=1
	s_or_b32 exec_lo, exec_lo, s4
	v_mov_b32_e32 v33, 0
	v_mov_b32_e32 v39, 0
	s_and_saveexec_b32 s4, s2
	s_cbranch_execz .LBB67_12
; %bb.11:                               ;   in Loop: Header=BB67_4 Depth=1
	v_add_co_u32 v38, s3, v27, s12
	s_delay_alu instid0(VALU_DEP_1)
	v_add_co_ci_u32_e64 v39, s3, s13, v28, s3
	global_load_u8 v39, v[38:39], off
.LBB67_12:                              ;   in Loop: Header=BB67_4 Depth=1
	s_or_b32 exec_lo, exec_lo, s4
	v_add_co_u32 v40, s3, v21, s12
	s_delay_alu instid0(VALU_DEP_1) | instskip(SKIP_1) | instid1(VALU_DEP_2)
	v_add_co_ci_u32_e64 v41, s3, s13, v22, s3
	v_mov_b32_e32 v38, 0
	v_cmp_gt_u64_e64 s3, s[10:11], v[40:41]
	s_delay_alu instid0(VALU_DEP_1)
	s_and_saveexec_b32 s5, s3
	s_cbranch_execz .LBB67_14
; %bb.13:                               ;   in Loop: Header=BB67_4 Depth=1
	v_add_co_u32 v40, s4, v15, s12
	s_delay_alu instid0(VALU_DEP_1) | instskip(SKIP_1) | instid1(VALU_DEP_1)
	v_add_co_ci_u32_e64 v41, s4, s13, v16, s4
	v_add_co_u32 v42, s4, v17, s12
	v_add_co_ci_u32_e64 v43, s4, s13, v18, s4
	global_load_u8 v33, v[40:41], off
	global_load_u8 v38, v[42:43], off
.LBB67_14:                              ;   in Loop: Header=BB67_4 Depth=1
	s_or_b32 exec_lo, exec_lo, s5
	v_mov_b32_e32 v35, 0
	v_mov_b32_e32 v41, 0
	s_and_saveexec_b32 s5, s3
	s_cbranch_execz .LBB67_16
; %bb.15:                               ;   in Loop: Header=BB67_4 Depth=1
	v_add_co_u32 v40, s4, v19, s12
	s_delay_alu instid0(VALU_DEP_1)
	v_add_co_ci_u32_e64 v41, s4, s13, v20, s4
	global_load_u8 v41, v[40:41], off
.LBB67_16:                              ;   in Loop: Header=BB67_4 Depth=1
	s_or_b32 exec_lo, exec_lo, s5
	v_add_co_u32 v42, s4, v13, s12
	s_delay_alu instid0(VALU_DEP_1) | instskip(SKIP_1) | instid1(VALU_DEP_2)
	v_add_co_ci_u32_e64 v43, s4, s13, v14, s4
	v_mov_b32_e32 v40, 0
	v_cmp_gt_u64_e64 s4, s[10:11], v[42:43]
	s_delay_alu instid0(VALU_DEP_1)
	s_and_saveexec_b32 s15, s4
	s_cbranch_execnz .LBB67_22
; %bb.17:                               ;   in Loop: Header=BB67_4 Depth=1
	s_or_b32 exec_lo, exec_lo, s15
	v_mov_b32_e32 v42, 0
	s_and_saveexec_b32 s15, s4
	s_cbranch_execnz .LBB67_23
.LBB67_18:                              ;   in Loop: Header=BB67_4 Depth=1
	s_or_b32 exec_lo, exec_lo, s15
	s_and_saveexec_b32 s5, vcc_lo
	s_cbranch_execnz .LBB67_24
.LBB67_19:                              ;   in Loop: Header=BB67_4 Depth=1
	s_or_b32 exec_lo, exec_lo, s5
	s_and_saveexec_b32 s5, s2
	s_cbranch_execnz .LBB67_25
.LBB67_20:                              ;   in Loop: Header=BB67_4 Depth=1
	s_or_b32 exec_lo, exec_lo, s5
	s_and_saveexec_b32 s2, s3
	s_cbranch_execnz .LBB67_26
.LBB67_21:                              ;   in Loop: Header=BB67_4 Depth=1
	s_or_b32 exec_lo, exec_lo, s2
	s_and_saveexec_b32 s2, s4
	s_cbranch_execz .LBB67_3
	s_branch .LBB67_27
.LBB67_22:                              ;   in Loop: Header=BB67_4 Depth=1
	v_add_co_u32 v42, s5, v7, s12
	s_delay_alu instid0(VALU_DEP_1) | instskip(SKIP_1) | instid1(VALU_DEP_1)
	v_add_co_ci_u32_e64 v43, s5, s13, v8, s5
	v_add_co_u32 v44, s5, v9, s12
	v_add_co_ci_u32_e64 v45, s5, s13, v10, s5
	global_load_u8 v35, v[42:43], off
	global_load_u8 v40, v[44:45], off
	s_or_b32 exec_lo, exec_lo, s15
	v_mov_b32_e32 v42, 0
	s_and_saveexec_b32 s15, s4
	s_cbranch_execz .LBB67_18
.LBB67_23:                              ;   in Loop: Header=BB67_4 Depth=1
	v_add_co_u32 v42, s5, v11, s12
	s_delay_alu instid0(VALU_DEP_1)
	v_add_co_ci_u32_e64 v43, s5, s13, v12, s5
	global_load_u8 v42, v[42:43], off
	s_or_b32 exec_lo, exec_lo, s15
	s_and_saveexec_b32 s5, vcc_lo
	s_cbranch_execz .LBB67_19
.LBB67_24:                              ;   in Loop: Header=BB67_4 Depth=1
	s_waitcnt vmcnt(0)
	v_bfe_i32 v37, v37, 0, 8
	v_bfe_i32 v34, v34, 0, 8
	s_delay_alu instid0(VALU_DEP_2) | instskip(NEXT) | instid1(VALU_DEP_2)
	v_cvt_f32_i32_e32 v43, v37
	v_cvt_f32_i32_e32 v45, v34
	v_xor_b32_e32 v34, v34, v37
	s_delay_alu instid0(VALU_DEP_3) | instskip(NEXT) | instid1(VALU_DEP_1)
	v_rcp_iflag_f32_e32 v44, v43
	v_ashrrev_i32_e32 v34, 30, v34
	s_delay_alu instid0(VALU_DEP_1) | instskip(SKIP_2) | instid1(VALU_DEP_1)
	v_or_b32_e32 v34, 1, v34
	s_waitcnt_depctr 0xfff
	v_mul_f32_e32 v44, v45, v44
	v_trunc_f32_e32 v37, v44
	s_delay_alu instid0(VALU_DEP_1) | instskip(SKIP_1) | instid1(VALU_DEP_2)
	v_fma_f32 v44, -v37, v43, v45
	v_cvt_i32_f32_e32 v37, v37
	v_cmp_ge_f32_e64 vcc_lo, |v44|, |v43|
	v_cndmask_b32_e32 v34, 0, v34, vcc_lo
	v_add_co_u32 v43, vcc_lo, v1, s12
	v_add_co_ci_u32_e32 v44, vcc_lo, s13, v2, vcc_lo
	s_delay_alu instid0(VALU_DEP_3) | instskip(NEXT) | instid1(VALU_DEP_1)
	v_add_nc_u32_e32 v34, v37, v34
	v_mad_u16 v32, v34, s14, v32
	global_store_b8 v[43:44], v32, off
	s_or_b32 exec_lo, exec_lo, s5
	s_and_saveexec_b32 s5, s2
	s_cbranch_execz .LBB67_20
.LBB67_25:                              ;   in Loop: Header=BB67_4 Depth=1
	s_waitcnt vmcnt(0)
	v_bfe_i32 v32, v39, 0, 8
	v_bfe_i32 v36, v36, 0, 8
	s_delay_alu instid0(VALU_DEP_2) | instskip(NEXT) | instid1(VALU_DEP_2)
	v_cvt_f32_i32_e32 v34, v32
	v_xor_b32_e32 v32, v36, v32
	v_cvt_f32_i32_e32 v39, v36
	s_delay_alu instid0(VALU_DEP_3) | instskip(NEXT) | instid1(VALU_DEP_2)
	v_rcp_iflag_f32_e32 v37, v34
	v_ashrrev_i32_e32 v32, 30, v32
	s_delay_alu instid0(VALU_DEP_1) | instskip(SKIP_2) | instid1(VALU_DEP_1)
	v_or_b32_e32 v32, 1, v32
	s_waitcnt_depctr 0xfff
	v_mul_f32_e32 v37, v39, v37
	v_trunc_f32_e32 v36, v37
	s_delay_alu instid0(VALU_DEP_1) | instskip(SKIP_1) | instid1(VALU_DEP_2)
	v_fma_f32 v37, -v36, v34, v39
	v_cvt_i32_f32_e32 v36, v36
	v_cmp_ge_f32_e64 vcc_lo, |v37|, |v34|
	v_cndmask_b32_e32 v32, 0, v32, vcc_lo
	s_delay_alu instid0(VALU_DEP_1) | instskip(NEXT) | instid1(VALU_DEP_1)
	v_add_nc_u32_e32 v32, v36, v32
	v_mad_u16 v34, v32, s14, v31
	v_add_co_u32 v31, vcc_lo, v23, s12
	v_add_co_ci_u32_e32 v32, vcc_lo, s13, v24, vcc_lo
	global_store_b8 v[31:32], v34, off
	s_or_b32 exec_lo, exec_lo, s5
	s_and_saveexec_b32 s2, s3
	s_cbranch_execz .LBB67_21
.LBB67_26:                              ;   in Loop: Header=BB67_4 Depth=1
	s_waitcnt vmcnt(0)
	v_bfe_i32 v31, v41, 0, 8
	v_bfe_i32 v34, v38, 0, 8
	s_delay_alu instid0(VALU_DEP_2) | instskip(NEXT) | instid1(VALU_DEP_2)
	v_cvt_f32_i32_e32 v32, v31
	v_xor_b32_e32 v31, v34, v31
	v_cvt_f32_i32_e32 v37, v34
	s_delay_alu instid0(VALU_DEP_3) | instskip(NEXT) | instid1(VALU_DEP_2)
	v_rcp_iflag_f32_e32 v36, v32
	v_ashrrev_i32_e32 v31, 30, v31
	s_delay_alu instid0(VALU_DEP_1) | instskip(SKIP_2) | instid1(VALU_DEP_1)
	v_or_b32_e32 v31, 1, v31
	s_waitcnt_depctr 0xfff
	v_mul_f32_e32 v36, v37, v36
	v_trunc_f32_e32 v34, v36
	s_delay_alu instid0(VALU_DEP_1) | instskip(SKIP_1) | instid1(VALU_DEP_2)
	v_fma_f32 v36, -v34, v32, v37
	v_cvt_i32_f32_e32 v34, v34
	v_cmp_ge_f32_e64 vcc_lo, |v36|, |v32|
	v_cndmask_b32_e32 v31, 0, v31, vcc_lo
	s_delay_alu instid0(VALU_DEP_1) | instskip(NEXT) | instid1(VALU_DEP_1)
	v_add_nc_u32_e32 v31, v34, v31
	v_mad_u16 v33, v31, s14, v33
	v_add_co_u32 v31, vcc_lo, v15, s12
	v_add_co_ci_u32_e32 v32, vcc_lo, s13, v16, vcc_lo
	global_store_b8 v[31:32], v33, off
	s_or_b32 exec_lo, exec_lo, s2
	s_and_saveexec_b32 s2, s4
	s_cbranch_execz .LBB67_3
.LBB67_27:                              ;   in Loop: Header=BB67_4 Depth=1
	s_waitcnt vmcnt(0)
	v_bfe_i32 v31, v42, 0, 8
	v_bfe_i32 v33, v40, 0, 8
	s_delay_alu instid0(VALU_DEP_2) | instskip(NEXT) | instid1(VALU_DEP_2)
	v_cvt_f32_i32_e32 v32, v31
	v_xor_b32_e32 v31, v33, v31
	v_cvt_f32_i32_e32 v36, v33
	s_delay_alu instid0(VALU_DEP_3) | instskip(NEXT) | instid1(VALU_DEP_2)
	v_rcp_iflag_f32_e32 v34, v32
	v_ashrrev_i32_e32 v31, 30, v31
	s_delay_alu instid0(VALU_DEP_1) | instskip(SKIP_2) | instid1(VALU_DEP_1)
	v_or_b32_e32 v31, 1, v31
	s_waitcnt_depctr 0xfff
	v_mul_f32_e32 v34, v36, v34
	v_trunc_f32_e32 v33, v34
	s_delay_alu instid0(VALU_DEP_1) | instskip(SKIP_1) | instid1(VALU_DEP_2)
	v_fma_f32 v34, -v33, v32, v36
	v_cvt_i32_f32_e32 v33, v33
	v_cmp_ge_f32_e64 vcc_lo, |v34|, |v32|
	v_cndmask_b32_e32 v31, 0, v31, vcc_lo
	s_delay_alu instid0(VALU_DEP_1) | instskip(NEXT) | instid1(VALU_DEP_1)
	v_add_nc_u32_e32 v31, v33, v31
	v_mad_u16 v33, v31, s14, v35
	v_add_co_u32 v31, vcc_lo, v7, s12
	v_add_co_ci_u32_e32 v32, vcc_lo, s13, v8, vcc_lo
	global_store_b8 v[31:32], v33, off
	s_branch .LBB67_3
.LBB67_28:
	s_mov_b32 s10, 0
.LBB67_29:
	s_delay_alu instid0(SALU_CYCLE_1)
	s_and_not1_b32 vcc_lo, exec_lo, s10
	s_cbranch_vccnz .LBB67_33
; %bb.30:
	v_dual_mov_b32 v1, 0 :: v_dual_lshlrev_b32 v0, 2, v0
	s_mov_b32 s2, exec_lo
	s_delay_alu instid0(VALU_DEP_1)
	v_cmpx_gt_i64_e64 s[8:9], v[0:1]
	s_cbranch_execz .LBB67_33
; %bb.31:
	s_load_b32 s0, s[0:1], 0xc5c
	s_mov_b32 s1, 0
	s_lshr_b32 s3, s20, 16
	s_waitcnt lgkmcnt(0)
	s_and_b32 s0, s0, 0xffff
	s_delay_alu instid0(SALU_CYCLE_1)
	s_lshl_b32 s2, s0, 2
.LBB67_32:                              ; =>This Inner Loop Header: Depth=1
	v_add_co_u32 v2, vcc_lo, s16, v0
	v_add_co_ci_u32_e32 v3, vcc_lo, s17, v1, vcc_lo
	v_add_co_u32 v4, vcc_lo, s18, v0
	v_add_co_ci_u32_e32 v5, vcc_lo, s19, v1, vcc_lo
	;; [unrolled: 2-line block ×3, first 2 shown]
	global_load_b32 v2, v[2:3], off
	global_load_b32 v3, v[4:5], off
	;; [unrolled: 1-line block ×3, first 2 shown]
	v_add_co_u32 v0, vcc_lo, s2, v0
	v_add_co_ci_u32_e32 v1, vcc_lo, 0, v1, vcc_lo
	s_delay_alu instid0(VALU_DEP_1)
	v_cmp_le_i64_e32 vcc_lo, s[8:9], v[0:1]
	s_waitcnt vmcnt(2)
	v_bfe_i32 v5, v2, 0, 8
	s_waitcnt vmcnt(1)
	v_bfe_i32 v8, v3, 0, 8
	v_bfe_i32 v10, v2, 8, 8
	;; [unrolled: 1-line block ×5, first 2 shown]
	v_xor_b32_e32 v16, v5, v8
	v_cvt_f32_i32_e32 v8, v8
	v_xor_b32_e32 v17, v10, v11
	v_cvt_f32_i32_e32 v11, v11
	v_ashrrev_i32_e32 v2, 24, v2
	v_ashrrev_i32_e32 v3, 24, v3
	v_xor_b32_e32 v18, v13, v14
	v_cvt_f32_i32_e32 v14, v14
	v_rcp_iflag_f32_e32 v20, v8
	v_rcp_iflag_f32_e32 v21, v11
	v_cvt_f32_i32_e32 v5, v5
	v_cvt_f32_i32_e32 v10, v10
	v_xor_b32_e32 v19, v2, v3
	v_cvt_f32_i32_e32 v3, v3
	v_rcp_iflag_f32_e32 v22, v14
	v_cvt_f32_i32_e32 v13, v13
	v_cvt_f32_i32_e32 v2, v2
	v_ashrrev_i32_e32 v17, 30, v17
	v_rcp_iflag_f32_e32 v23, v3
	v_dual_mul_f32 v20, v5, v20 :: v_dual_mul_f32 v21, v10, v21
	v_ashrrev_i32_e32 v18, 30, v18
	s_delay_alu instid0(VALU_DEP_3) | instskip(SKIP_1) | instid1(TRANS32_DEP_2)
	v_or_b32_e32 v17, 1, v17
	v_ashrrev_i32_e32 v16, 30, v16
	v_mul_f32_e32 v22, v13, v22
	v_trunc_f32_e32 v21, v21
	v_trunc_f32_e32 v20, v20
	v_or_b32_e32 v18, 1, v18
	s_delay_alu instid0(TRANS32_DEP_1)
	v_mul_f32_e32 v23, v2, v23
	v_trunc_f32_e32 v22, v22
	v_fma_f32 v10, -v21, v11, v10
	v_fma_f32 v5, -v20, v8, v5
	v_ashrrev_i32_e32 v19, 30, v19
	v_trunc_f32_e32 v23, v23
	v_fma_f32 v13, -v22, v14, v13
	v_cmp_ge_f32_e64 s0, |v10|, |v11|
	v_or_b32_e32 v16, 1, v16
	v_or_b32_e32 v19, 1, v19
	v_fma_f32 v2, -v23, v3, v2
	v_cvt_i32_f32_e32 v21, v21
	v_cndmask_b32_e64 v10, 0, v17, s0
	v_cmp_ge_f32_e64 s0, |v13|, |v14|
	v_cvt_i32_f32_e32 v22, v22
	s_waitcnt vmcnt(0)
	v_lshrrev_b32_e32 v9, 8, v4
	v_lshrrev_b32_e32 v12, 16, v4
	v_cvt_i32_f32_e32 v20, v20
	v_cndmask_b32_e64 v11, 0, v18, s0
	v_cmp_ge_f32_e64 s0, |v5|, |v8|
	v_cvt_i32_f32_e32 v23, v23
	v_lshrrev_b32_e32 v15, 24, v4
	s_delay_alu instid0(VALU_DEP_4) | instskip(NEXT) | instid1(VALU_DEP_4)
	v_add_nc_u32_e32 v8, v22, v11
	v_cndmask_b32_e64 v5, 0, v16, s0
	v_cmp_ge_f32_e64 s0, |v2|, |v3|
	v_add_nc_u32_e32 v3, v21, v10
	s_delay_alu instid0(VALU_DEP_4) | instskip(NEXT) | instid1(VALU_DEP_4)
	v_mad_u16 v8, v8, s3, v12
	v_add_nc_u32_e32 v5, v20, v5
	s_delay_alu instid0(VALU_DEP_4) | instskip(NEXT) | instid1(VALU_DEP_4)
	v_cndmask_b32_e64 v2, 0, v19, s0
	v_mad_u16 v3, v3, s3, v9
	v_cmp_lt_u64_e64 s0, 0xffff, v[0:1]
	s_delay_alu instid0(VALU_DEP_4) | instskip(NEXT) | instid1(VALU_DEP_4)
	v_mad_u16 v4, v5, s3, v4
	v_add_nc_u32_e32 v2, v23, v2
	s_delay_alu instid0(VALU_DEP_4) | instskip(SKIP_2) | instid1(VALU_DEP_3)
	v_and_b32_e32 v3, 0xff, v3
	v_and_b32_e32 v5, 0xff, v8
	s_or_b32 s0, vcc_lo, s0
	v_mad_u16 v2, v2, s3, v15
	s_delay_alu instid0(VALU_DEP_3) | instskip(NEXT) | instid1(VALU_DEP_3)
	v_perm_b32 v3, v3, v4, 0x6050400
	v_lshlrev_b32_e32 v4, 16, v5
	s_and_b32 s0, exec_lo, s0
	s_delay_alu instid0(VALU_DEP_3) | instskip(SKIP_1) | instid1(VALU_DEP_1)
	v_lshlrev_b32_e32 v2, 24, v2
	s_or_b32 s1, s0, s1
	v_or3_b32 v2, v3, v4, v2
	global_store_b32 v[6:7], v2, off
	s_and_not1_b32 exec_lo, exec_lo, s1
	s_cbranch_execnz .LBB67_32
.LBB67_33:
	s_nop 0
	s_sendmsg sendmsg(MSG_DEALLOC_VGPRS)
	s_endpgm
	.section	.rodata,"a",@progbits
	.p2align	6, 0x0
	.amdhsa_kernel _ZN2at6native12_GLOBAL__N_125multi_tensor_apply_kernelINS1_18TensorListMetadataILi3EEENS1_24PointwiseOpScalarFunctorIaLi3ELi3ELi0EEEJSt7dividesIaEaEEEvT_T0_DpT1_
		.amdhsa_group_segment_fixed_size 0
		.amdhsa_private_segment_fixed_size 0
		.amdhsa_kernarg_size 3408
		.amdhsa_user_sgpr_count 15
		.amdhsa_user_sgpr_dispatch_ptr 0
		.amdhsa_user_sgpr_queue_ptr 0
		.amdhsa_user_sgpr_kernarg_segment_ptr 1
		.amdhsa_user_sgpr_dispatch_id 0
		.amdhsa_user_sgpr_private_segment_size 0
		.amdhsa_wavefront_size32 1
		.amdhsa_uses_dynamic_stack 0
		.amdhsa_enable_private_segment 0
		.amdhsa_system_sgpr_workgroup_id_x 1
		.amdhsa_system_sgpr_workgroup_id_y 0
		.amdhsa_system_sgpr_workgroup_id_z 0
		.amdhsa_system_sgpr_workgroup_info 0
		.amdhsa_system_vgpr_workitem_id 0
		.amdhsa_next_free_vgpr 46
		.amdhsa_next_free_sgpr 27
		.amdhsa_reserve_vcc 1
		.amdhsa_float_round_mode_32 0
		.amdhsa_float_round_mode_16_64 0
		.amdhsa_float_denorm_mode_32 3
		.amdhsa_float_denorm_mode_16_64 3
		.amdhsa_dx10_clamp 1
		.amdhsa_ieee_mode 1
		.amdhsa_fp16_overflow 0
		.amdhsa_workgroup_processor_mode 1
		.amdhsa_memory_ordered 1
		.amdhsa_forward_progress 0
		.amdhsa_shared_vgpr_count 0
		.amdhsa_exception_fp_ieee_invalid_op 0
		.amdhsa_exception_fp_denorm_src 0
		.amdhsa_exception_fp_ieee_div_zero 0
		.amdhsa_exception_fp_ieee_overflow 0
		.amdhsa_exception_fp_ieee_underflow 0
		.amdhsa_exception_fp_ieee_inexact 0
		.amdhsa_exception_int_div_zero 0
	.end_amdhsa_kernel
	.section	.text._ZN2at6native12_GLOBAL__N_125multi_tensor_apply_kernelINS1_18TensorListMetadataILi3EEENS1_24PointwiseOpScalarFunctorIaLi3ELi3ELi0EEEJSt7dividesIaEaEEEvT_T0_DpT1_,"axG",@progbits,_ZN2at6native12_GLOBAL__N_125multi_tensor_apply_kernelINS1_18TensorListMetadataILi3EEENS1_24PointwiseOpScalarFunctorIaLi3ELi3ELi0EEEJSt7dividesIaEaEEEvT_T0_DpT1_,comdat
.Lfunc_end67:
	.size	_ZN2at6native12_GLOBAL__N_125multi_tensor_apply_kernelINS1_18TensorListMetadataILi3EEENS1_24PointwiseOpScalarFunctorIaLi3ELi3ELi0EEEJSt7dividesIaEaEEEvT_T0_DpT1_, .Lfunc_end67-_ZN2at6native12_GLOBAL__N_125multi_tensor_apply_kernelINS1_18TensorListMetadataILi3EEENS1_24PointwiseOpScalarFunctorIaLi3ELi3ELi0EEEJSt7dividesIaEaEEEvT_T0_DpT1_
                                        ; -- End function
	.section	.AMDGPU.csdata,"",@progbits
; Kernel info:
; codeLenInByte = 2548
; NumSgprs: 29
; NumVgprs: 46
; ScratchSize: 0
; MemoryBound: 0
; FloatMode: 240
; IeeeMode: 1
; LDSByteSize: 0 bytes/workgroup (compile time only)
; SGPRBlocks: 3
; VGPRBlocks: 5
; NumSGPRsForWavesPerEU: 29
; NumVGPRsForWavesPerEU: 46
; Occupancy: 16
; WaveLimiterHint : 0
; COMPUTE_PGM_RSRC2:SCRATCH_EN: 0
; COMPUTE_PGM_RSRC2:USER_SGPR: 15
; COMPUTE_PGM_RSRC2:TRAP_HANDLER: 0
; COMPUTE_PGM_RSRC2:TGID_X_EN: 1
; COMPUTE_PGM_RSRC2:TGID_Y_EN: 0
; COMPUTE_PGM_RSRC2:TGID_Z_EN: 0
; COMPUTE_PGM_RSRC2:TIDIG_COMP_CNT: 0
	.section	.text._ZN2at6native12_GLOBAL__N_125multi_tensor_apply_kernelINS1_18TensorListMetadataILi3EEENS1_24PointwiseOpScalarFunctorIiLi3ELi3ELi0EEEJSt7dividesIiEiEEEvT_T0_DpT1_,"axG",@progbits,_ZN2at6native12_GLOBAL__N_125multi_tensor_apply_kernelINS1_18TensorListMetadataILi3EEENS1_24PointwiseOpScalarFunctorIiLi3ELi3ELi0EEEJSt7dividesIiEiEEEvT_T0_DpT1_,comdat
	.globl	_ZN2at6native12_GLOBAL__N_125multi_tensor_apply_kernelINS1_18TensorListMetadataILi3EEENS1_24PointwiseOpScalarFunctorIiLi3ELi3ELi0EEEJSt7dividesIiEiEEEvT_T0_DpT1_ ; -- Begin function _ZN2at6native12_GLOBAL__N_125multi_tensor_apply_kernelINS1_18TensorListMetadataILi3EEENS1_24PointwiseOpScalarFunctorIiLi3ELi3ELi0EEEJSt7dividesIiEiEEEvT_T0_DpT1_
	.p2align	8
	.type	_ZN2at6native12_GLOBAL__N_125multi_tensor_apply_kernelINS1_18TensorListMetadataILi3EEENS1_24PointwiseOpScalarFunctorIiLi3ELi3ELi0EEEJSt7dividesIiEiEEEvT_T0_DpT1_,@function
_ZN2at6native12_GLOBAL__N_125multi_tensor_apply_kernelINS1_18TensorListMetadataILi3EEENS1_24PointwiseOpScalarFunctorIiLi3ELi3ELi0EEEJSt7dividesIiEiEEEvT_T0_DpT1_: ; @_ZN2at6native12_GLOBAL__N_125multi_tensor_apply_kernelINS1_18TensorListMetadataILi3EEENS1_24PointwiseOpScalarFunctorIiLi3ELi3ELi0EEEJSt7dividesIiEiEEEvT_T0_DpT1_
; %bb.0:
	v_mov_b32_e32 v1, s15
	s_add_u32 s2, s0, s15
	s_mul_hi_u32 s3, s15, 3
	s_mul_i32 s15, s15, 3
	s_addc_u32 s4, s1, 0
	global_load_u8 v1, v1, s[0:1] offset:1536
	s_add_u32 s2, s2, s15
	s_addc_u32 s3, s4, s3
	s_mov_b32 s23, 0
	s_load_b32 s6, s[2:3], 0x740
	s_waitcnt vmcnt(0)
	v_readfirstlane_b32 s2, v1
	s_delay_alu instid0(VALU_DEP_1)
	s_lshl_b32 s7, s2, 3
	s_clause 0x3
	s_load_b64 s[2:3], s[0:1], s7 offset:0x0
	s_load_b64 s[4:5], s[0:1], s7 offset:0x180
	;; [unrolled: 1-line block ×4, first 2 shown]
	s_waitcnt lgkmcnt(0)
	s_ashr_i32 s7, s6, 31
	s_delay_alu instid0(SALU_CYCLE_1) | instskip(NEXT) | instid1(SALU_CYCLE_1)
	s_lshl_b64 s[8:9], s[6:7], 18
	s_add_u32 s14, s2, s8
	s_addc_u32 s15, s3, s9
	s_and_b32 s22, s14, 15
	s_add_u32 s16, s4, s8
	s_addc_u32 s17, s5, s9
	s_add_u32 s18, s12, s8
	s_addc_u32 s19, s13, s9
	s_or_b32 s20, s18, s16
	s_delay_alu instid0(SALU_CYCLE_1) | instskip(NEXT) | instid1(SALU_CYCLE_1)
	s_and_b32 s20, s20, 15
	s_cmp_eq_u32 s20, 0
	s_load_b32 s20, s[0:1], 0xc4c
	s_cselect_b32 s21, -1, 0
	s_lshl_b64 s[6:7], s[6:7], 16
	s_delay_alu instid0(SALU_CYCLE_1) | instskip(SKIP_3) | instid1(SALU_CYCLE_1)
	s_sub_u32 s6, s10, s6
	s_subb_u32 s7, s11, s7
	s_and_b32 s10, s10, 3
	s_mov_b32 s11, s23
	s_or_b64 s[10:11], s[22:23], s[10:11]
	s_delay_alu instid0(SALU_CYCLE_1) | instskip(SKIP_1) | instid1(SALU_CYCLE_1)
	s_cmp_eq_u64 s[10:11], 0
	s_cselect_b32 s10, -1, 0
	s_and_b32 s10, s21, s10
	s_delay_alu instid0(SALU_CYCLE_1)
	s_and_b32 vcc_lo, exec_lo, s10
	s_mov_b32 s10, -1
	s_cbranch_vccnz .LBB68_29
; %bb.1:
	v_cmp_lt_i64_e64 s10, s[6:7], 1
	s_delay_alu instid0(VALU_DEP_1)
	s_and_b32 vcc_lo, exec_lo, s10
	s_cbranch_vccnz .LBB68_28
; %bb.2:
	s_load_b32 s10, s[0:1], 0xc5c
	v_dual_mov_b32 v2, 0 :: v_dual_lshlrev_b32 v1, 2, v0
	v_cmp_gt_u64_e64 s11, 0x10000, s[6:7]
	s_delay_alu instid0(VALU_DEP_2) | instskip(NEXT) | instid1(VALU_DEP_1)
	v_add_co_u32 v5, s21, s2, v1
	v_add_co_ci_u32_e64 v6, null, s3, 0, s21
	v_add_co_u32 v7, s21, s4, v1
	s_delay_alu instid0(VALU_DEP_1)
	v_add_co_ci_u32_e64 v8, null, s5, 0, s21
	s_waitcnt lgkmcnt(0)
	s_and_b32 s22, s10, 0xffff
	v_add_co_u32 v9, s10, s12, v1
	v_mad_u64_u32 v[3:4], null, s22, 12, v[1:2]
	v_add_co_ci_u32_e64 v10, null, s13, 0, s10
	s_and_b32 s10, s11, exec_lo
	s_cselect_b32 s11, s7, 0
	s_cselect_b32 s10, s6, 0x10000
	s_lshl_b32 s24, s22, 3
	s_delay_alu instid0(VALU_DEP_2) | instskip(NEXT) | instid1(VALU_DEP_3)
	v_add_co_u32 v11, vcc_lo, s2, v3
	v_add_co_ci_u32_e32 v12, vcc_lo, s3, v4, vcc_lo
	v_add_co_u32 v13, vcc_lo, s4, v3
	v_add_co_u32 v1, s24, s24, v1
	v_add_co_ci_u32_e32 v14, vcc_lo, s5, v4, vcc_lo
	s_mul_i32 s23, s22, 3
	v_add_co_u32 v15, vcc_lo, s12, v3
	v_add_co_ci_u32_e64 v2, null, 0, 0, s24
	v_add_co_ci_u32_e32 v16, vcc_lo, s13, v4, vcc_lo
	v_add_co_u32 v17, s23, s23, v0
	v_add_co_u32 v19, vcc_lo, s2, v1
	v_add_co_ci_u32_e64 v18, null, 0, 0, s23
	v_add_co_u32 v23, s23, v0, s22
	v_add_co_ci_u32_e32 v20, vcc_lo, s3, v2, vcc_lo
	v_add_co_u32 v21, vcc_lo, s4, v1
	v_add_co_ci_u32_e32 v22, vcc_lo, s5, v2, vcc_lo
	v_add_co_u32 v24, vcc_lo, s12, v1
	v_lshlrev_b32_e32 v1, 2, v23
	s_lshl_b32 s21, s22, 1
	v_add_co_ci_u32_e32 v25, vcc_lo, s13, v2, vcc_lo
	v_add_co_u32 v27, s21, s21, v0
	s_delay_alu instid0(VALU_DEP_3) | instskip(NEXT) | instid1(VALU_DEP_1)
	v_add_co_u32 v29, s2, s2, v1
	v_add_co_ci_u32_e64 v30, null, s3, 0, s2
	v_add_co_u32 v31, s2, s4, v1
	s_delay_alu instid0(VALU_DEP_1)
	v_add_co_ci_u32_e64 v32, null, s5, 0, s2
	v_add_co_u32 v33, s2, s12, v1
	v_add_co_ci_u32_e64 v26, null, 0, 0, s23
	v_add_co_ci_u32_e64 v28, null, 0, 0, s21
	;; [unrolled: 1-line block ×3, first 2 shown]
	s_lshl_b32 s21, s22, 2
	s_lshl_b32 s22, s22, 4
	s_mov_b64 s[12:13], 0
	s_branch .LBB68_4
.LBB68_3:                               ;   in Loop: Header=BB68_4 Depth=1
	s_or_b32 exec_lo, exec_lo, s2
	v_add_co_u32 v5, vcc_lo, v5, s22
	v_add_co_ci_u32_e32 v6, vcc_lo, 0, v6, vcc_lo
	v_add_co_u32 v7, vcc_lo, v7, s22
	v_add_co_ci_u32_e32 v8, vcc_lo, 0, v8, vcc_lo
	;; [unrolled: 2-line block ×9, first 2 shown]
	s_add_u32 s12, s12, s21
	v_add_co_u32 v29, vcc_lo, v29, s22
	s_addc_u32 s13, s13, 0
	v_add_co_ci_u32_e32 v30, vcc_lo, 0, v30, vcc_lo
	v_cmp_lt_i64_e64 s2, s[12:13], s[6:7]
	v_cmp_gt_u64_e64 s3, 0x10000, s[12:13]
	v_add_co_u32 v31, vcc_lo, v31, s22
	v_add_co_ci_u32_e32 v32, vcc_lo, 0, v32, vcc_lo
	v_add_co_u32 v33, vcc_lo, v33, s22
	v_add_co_ci_u32_e32 v34, vcc_lo, 0, v34, vcc_lo
	s_and_b32 s2, s2, s3
	s_delay_alu instid0(SALU_CYCLE_1)
	s_and_b32 vcc_lo, exec_lo, s2
	s_cbranch_vccz .LBB68_28
.LBB68_4:                               ; =>This Inner Loop Header: Depth=1
	s_waitcnt vmcnt(1)
	v_add_co_u32 v1, s2, v0, s12
	s_delay_alu instid0(VALU_DEP_1) | instskip(SKIP_3) | instid1(VALU_DEP_3)
	v_add_co_ci_u32_e64 v2, null, 0, s13, s2
	v_mov_b32_e32 v4, 0
	s_waitcnt vmcnt(0)
	v_mov_b32_e32 v38, 0
	v_cmp_gt_u64_e64 s4, s[10:11], v[1:2]
	s_delay_alu instid0(VALU_DEP_1)
	s_and_saveexec_b32 s2, s4
	s_cbranch_execz .LBB68_6
; %bb.5:                                ;   in Loop: Header=BB68_4 Depth=1
	v_add_co_u32 v1, vcc_lo, v5, s8
	v_add_co_ci_u32_e32 v2, vcc_lo, s9, v6, vcc_lo
	v_add_co_u32 v35, vcc_lo, v7, s8
	v_add_co_ci_u32_e32 v36, vcc_lo, s9, v8, vcc_lo
	global_load_b32 v4, v[1:2], off
	global_load_b32 v38, v[35:36], off
.LBB68_6:                               ;   in Loop: Header=BB68_4 Depth=1
	s_or_b32 exec_lo, exec_lo, s2
	v_dual_mov_b32 v3, 0 :: v_dual_mov_b32 v42, 0
	s_and_saveexec_b32 s2, s4
	s_cbranch_execz .LBB68_8
; %bb.7:                                ;   in Loop: Header=BB68_4 Depth=1
	v_add_co_u32 v1, vcc_lo, v9, s8
	v_add_co_ci_u32_e32 v2, vcc_lo, s9, v10, vcc_lo
	global_load_b32 v42, v[1:2], off
.LBB68_8:                               ;   in Loop: Header=BB68_4 Depth=1
	s_or_b32 exec_lo, exec_lo, s2
	v_add_co_u32 v1, vcc_lo, v23, s12
	v_add_co_ci_u32_e32 v2, vcc_lo, s13, v26, vcc_lo
	v_mov_b32_e32 v37, 0
	s_delay_alu instid0(VALU_DEP_2) | instskip(NEXT) | instid1(VALU_DEP_1)
	v_cmp_gt_u64_e64 s3, s[10:11], v[1:2]
	s_and_saveexec_b32 s2, s3
	s_cbranch_execz .LBB68_10
; %bb.9:                                ;   in Loop: Header=BB68_4 Depth=1
	v_add_co_u32 v1, vcc_lo, v29, s8
	v_add_co_ci_u32_e32 v2, vcc_lo, s9, v30, vcc_lo
	v_add_co_u32 v35, vcc_lo, v31, s8
	v_add_co_ci_u32_e32 v36, vcc_lo, s9, v32, vcc_lo
	global_load_b32 v3, v[1:2], off
	global_load_b32 v37, v[35:36], off
.LBB68_10:                              ;   in Loop: Header=BB68_4 Depth=1
	s_or_b32 exec_lo, exec_lo, s2
	v_dual_mov_b32 v2, 0 :: v_dual_mov_b32 v41, 0
	s_and_saveexec_b32 s2, s3
	s_cbranch_execz .LBB68_12
; %bb.11:                               ;   in Loop: Header=BB68_4 Depth=1
	v_add_co_u32 v35, vcc_lo, v33, s8
	v_add_co_ci_u32_e32 v36, vcc_lo, s9, v34, vcc_lo
	global_load_b32 v41, v[35:36], off
.LBB68_12:                              ;   in Loop: Header=BB68_4 Depth=1
	s_or_b32 exec_lo, exec_lo, s2
	v_add_co_u32 v35, vcc_lo, v27, s12
	v_add_co_ci_u32_e32 v36, vcc_lo, s13, v28, vcc_lo
	s_delay_alu instid0(VALU_DEP_1) | instskip(SKIP_1) | instid1(VALU_DEP_2)
	v_cmp_gt_u64_e64 s2, s[10:11], v[35:36]
	v_mov_b32_e32 v36, 0
	s_and_saveexec_b32 s5, s2
	s_cbranch_execz .LBB68_14
; %bb.13:                               ;   in Loop: Header=BB68_4 Depth=1
	v_add_co_u32 v1, vcc_lo, v19, s8
	v_add_co_ci_u32_e32 v2, vcc_lo, s9, v20, vcc_lo
	v_add_co_u32 v35, vcc_lo, v21, s8
	v_add_co_ci_u32_e32 v36, vcc_lo, s9, v22, vcc_lo
	global_load_b32 v2, v[1:2], off
	global_load_b32 v36, v[35:36], off
.LBB68_14:                              ;   in Loop: Header=BB68_4 Depth=1
	s_or_b32 exec_lo, exec_lo, s5
	v_dual_mov_b32 v1, 0 :: v_dual_mov_b32 v40, 0
	s_and_saveexec_b32 s5, s2
	s_cbranch_execz .LBB68_16
; %bb.15:                               ;   in Loop: Header=BB68_4 Depth=1
	v_add_co_u32 v39, vcc_lo, v24, s8
	v_add_co_ci_u32_e32 v40, vcc_lo, s9, v25, vcc_lo
	global_load_b32 v40, v[39:40], off
.LBB68_16:                              ;   in Loop: Header=BB68_4 Depth=1
	s_or_b32 exec_lo, exec_lo, s5
	v_add_co_u32 v43, vcc_lo, v17, s12
	v_add_co_ci_u32_e32 v44, vcc_lo, s13, v18, vcc_lo
	v_mov_b32_e32 v35, 0
	s_delay_alu instid0(VALU_DEP_2)
	v_cmp_gt_u64_e32 vcc_lo, s[10:11], v[43:44]
	s_and_saveexec_b32 s23, vcc_lo
	s_cbranch_execnz .LBB68_22
; %bb.17:                               ;   in Loop: Header=BB68_4 Depth=1
	s_or_b32 exec_lo, exec_lo, s23
	v_mov_b32_e32 v39, 0
	s_and_saveexec_b32 s23, vcc_lo
	s_cbranch_execnz .LBB68_23
.LBB68_18:                              ;   in Loop: Header=BB68_4 Depth=1
	s_or_b32 exec_lo, exec_lo, s23
	s_and_saveexec_b32 s5, s4
	s_cbranch_execnz .LBB68_24
.LBB68_19:                              ;   in Loop: Header=BB68_4 Depth=1
	s_or_b32 exec_lo, exec_lo, s5
	s_and_saveexec_b32 s4, s3
	s_cbranch_execnz .LBB68_25
.LBB68_20:                              ;   in Loop: Header=BB68_4 Depth=1
	s_or_b32 exec_lo, exec_lo, s4
	s_and_saveexec_b32 s3, s2
	s_cbranch_execnz .LBB68_26
.LBB68_21:                              ;   in Loop: Header=BB68_4 Depth=1
	s_or_b32 exec_lo, exec_lo, s3
	s_and_saveexec_b32 s2, vcc_lo
	s_cbranch_execz .LBB68_3
	s_branch .LBB68_27
.LBB68_22:                              ;   in Loop: Header=BB68_4 Depth=1
	v_add_co_u32 v43, s5, v11, s8
	s_delay_alu instid0(VALU_DEP_1) | instskip(SKIP_1) | instid1(VALU_DEP_1)
	v_add_co_ci_u32_e64 v44, s5, s9, v12, s5
	v_add_co_u32 v45, s5, v13, s8
	v_add_co_ci_u32_e64 v46, s5, s9, v14, s5
	global_load_b32 v1, v[43:44], off
	global_load_b32 v35, v[45:46], off
	s_or_b32 exec_lo, exec_lo, s23
	v_mov_b32_e32 v39, 0
	s_and_saveexec_b32 s23, vcc_lo
	s_cbranch_execz .LBB68_18
.LBB68_23:                              ;   in Loop: Header=BB68_4 Depth=1
	v_add_co_u32 v43, s5, v15, s8
	s_delay_alu instid0(VALU_DEP_1)
	v_add_co_ci_u32_e64 v44, s5, s9, v16, s5
	global_load_b32 v39, v[43:44], off
	s_or_b32 exec_lo, exec_lo, s23
	s_and_saveexec_b32 s5, s4
	s_cbranch_execz .LBB68_19
.LBB68_24:                              ;   in Loop: Header=BB68_4 Depth=1
	s_waitcnt vmcnt(0)
	v_sub_nc_u32_e32 v43, 0, v42
	v_sub_nc_u32_e32 v46, 0, v38
	s_delay_alu instid0(VALU_DEP_2) | instskip(NEXT) | instid1(VALU_DEP_2)
	v_max_i32_e32 v43, v42, v43
	v_max_i32_e32 v46, v38, v46
	v_xor_b32_e32 v38, v38, v42
	s_delay_alu instid0(VALU_DEP_3) | instskip(SKIP_1) | instid1(VALU_DEP_3)
	v_cvt_f32_u32_e32 v44, v43
	v_sub_nc_u32_e32 v45, 0, v43
	v_ashrrev_i32_e32 v38, 31, v38
	s_delay_alu instid0(VALU_DEP_3) | instskip(SKIP_2) | instid1(VALU_DEP_1)
	v_rcp_iflag_f32_e32 v44, v44
	s_waitcnt_depctr 0xfff
	v_mul_f32_e32 v44, 0x4f7ffffe, v44
	v_cvt_u32_f32_e32 v44, v44
	s_delay_alu instid0(VALU_DEP_1) | instskip(NEXT) | instid1(VALU_DEP_1)
	v_mul_lo_u32 v45, v45, v44
	v_mul_hi_u32 v45, v44, v45
	s_delay_alu instid0(VALU_DEP_1) | instskip(NEXT) | instid1(VALU_DEP_1)
	v_add_nc_u32_e32 v44, v44, v45
	v_mul_hi_u32 v44, v46, v44
	s_delay_alu instid0(VALU_DEP_1) | instskip(NEXT) | instid1(VALU_DEP_1)
	v_mul_lo_u32 v45, v44, v43
	v_sub_nc_u32_e32 v45, v46, v45
	v_add_nc_u32_e32 v46, 1, v44
	s_delay_alu instid0(VALU_DEP_2) | instskip(SKIP_1) | instid1(VALU_DEP_1)
	v_sub_nc_u32_e32 v47, v45, v43
	v_cmp_ge_u32_e64 s4, v45, v43
	v_cndmask_b32_e64 v44, v44, v46, s4
	s_delay_alu instid0(VALU_DEP_3) | instskip(NEXT) | instid1(VALU_DEP_2)
	v_cndmask_b32_e64 v42, v45, v47, s4
	v_add_nc_u32_e32 v45, 1, v44
	s_delay_alu instid0(VALU_DEP_2) | instskip(NEXT) | instid1(VALU_DEP_1)
	v_cmp_ge_u32_e64 s4, v42, v43
	v_cndmask_b32_e64 v42, v44, v45, s4
	s_delay_alu instid0(VALU_DEP_1) | instskip(NEXT) | instid1(VALU_DEP_1)
	v_xor_b32_e32 v42, v42, v38
	v_sub_nc_u32_e32 v38, v42, v38
	s_delay_alu instid0(VALU_DEP_1) | instskip(SKIP_1) | instid1(VALU_DEP_1)
	v_mad_u64_u32 v[42:43], null, v38, s20, v[4:5]
	v_add_co_u32 v43, s4, v5, s8
	v_add_co_ci_u32_e64 v44, s4, s9, v6, s4
	global_store_b32 v[43:44], v42, off
	s_or_b32 exec_lo, exec_lo, s5
	s_and_saveexec_b32 s4, s3
	s_cbranch_execz .LBB68_20
.LBB68_25:                              ;   in Loop: Header=BB68_4 Depth=1
	s_waitcnt vmcnt(0)
	v_sub_nc_u32_e32 v4, 0, v41
	v_sub_nc_u32_e32 v43, 0, v37
	s_delay_alu instid0(VALU_DEP_2) | instskip(NEXT) | instid1(VALU_DEP_2)
	v_max_i32_e32 v4, v41, v4
	v_max_i32_e32 v43, v37, v43
	v_xor_b32_e32 v37, v37, v41
	s_delay_alu instid0(VALU_DEP_3) | instskip(SKIP_1) | instid1(VALU_DEP_3)
	v_cvt_f32_u32_e32 v38, v4
	v_sub_nc_u32_e32 v42, 0, v4
	v_ashrrev_i32_e32 v37, 31, v37
	s_delay_alu instid0(VALU_DEP_3) | instskip(SKIP_2) | instid1(VALU_DEP_1)
	v_rcp_iflag_f32_e32 v38, v38
	s_waitcnt_depctr 0xfff
	v_mul_f32_e32 v38, 0x4f7ffffe, v38
	v_cvt_u32_f32_e32 v38, v38
	s_delay_alu instid0(VALU_DEP_1) | instskip(NEXT) | instid1(VALU_DEP_1)
	v_mul_lo_u32 v42, v42, v38
	v_mul_hi_u32 v42, v38, v42
	s_delay_alu instid0(VALU_DEP_1) | instskip(NEXT) | instid1(VALU_DEP_1)
	v_add_nc_u32_e32 v38, v38, v42
	v_mul_hi_u32 v38, v43, v38
	s_delay_alu instid0(VALU_DEP_1) | instskip(NEXT) | instid1(VALU_DEP_1)
	v_mul_lo_u32 v42, v38, v4
	v_sub_nc_u32_e32 v42, v43, v42
	v_add_nc_u32_e32 v43, 1, v38
	s_delay_alu instid0(VALU_DEP_2) | instskip(SKIP_1) | instid1(VALU_DEP_1)
	v_sub_nc_u32_e32 v44, v42, v4
	v_cmp_ge_u32_e64 s3, v42, v4
	v_cndmask_b32_e64 v38, v38, v43, s3
	s_delay_alu instid0(VALU_DEP_3) | instskip(NEXT) | instid1(VALU_DEP_2)
	v_cndmask_b32_e64 v41, v42, v44, s3
	v_add_nc_u32_e32 v42, 1, v38
	s_delay_alu instid0(VALU_DEP_2) | instskip(NEXT) | instid1(VALU_DEP_1)
	v_cmp_ge_u32_e64 s3, v41, v4
	v_cndmask_b32_e64 v4, v38, v42, s3
	s_delay_alu instid0(VALU_DEP_1) | instskip(NEXT) | instid1(VALU_DEP_1)
	v_xor_b32_e32 v4, v4, v37
	v_sub_nc_u32_e32 v4, v4, v37
	s_delay_alu instid0(VALU_DEP_1) | instskip(SKIP_1) | instid1(VALU_DEP_1)
	v_mad_u64_u32 v[37:38], null, v4, s20, v[3:4]
	v_add_co_u32 v3, s3, v29, s8
	v_add_co_ci_u32_e64 v4, s3, s9, v30, s3
	global_store_b32 v[3:4], v37, off
	s_or_b32 exec_lo, exec_lo, s4
	s_and_saveexec_b32 s3, s2
	s_cbranch_execz .LBB68_21
.LBB68_26:                              ;   in Loop: Header=BB68_4 Depth=1
	s_waitcnt vmcnt(0)
	v_sub_nc_u32_e32 v3, 0, v40
	v_sub_nc_u32_e32 v38, 0, v36
	s_delay_alu instid0(VALU_DEP_2) | instskip(NEXT) | instid1(VALU_DEP_2)
	v_max_i32_e32 v3, v40, v3
	v_max_i32_e32 v38, v36, v38
	v_xor_b32_e32 v36, v36, v40
	s_delay_alu instid0(VALU_DEP_3) | instskip(SKIP_1) | instid1(VALU_DEP_3)
	v_cvt_f32_u32_e32 v4, v3
	v_sub_nc_u32_e32 v37, 0, v3
	v_ashrrev_i32_e32 v36, 31, v36
	s_delay_alu instid0(VALU_DEP_3) | instskip(SKIP_2) | instid1(VALU_DEP_1)
	v_rcp_iflag_f32_e32 v4, v4
	s_waitcnt_depctr 0xfff
	v_mul_f32_e32 v4, 0x4f7ffffe, v4
	v_cvt_u32_f32_e32 v4, v4
	s_delay_alu instid0(VALU_DEP_1) | instskip(NEXT) | instid1(VALU_DEP_1)
	v_mul_lo_u32 v37, v37, v4
	v_mul_hi_u32 v37, v4, v37
	s_delay_alu instid0(VALU_DEP_1) | instskip(NEXT) | instid1(VALU_DEP_1)
	v_add_nc_u32_e32 v4, v4, v37
	v_mul_hi_u32 v4, v38, v4
	s_delay_alu instid0(VALU_DEP_1) | instskip(NEXT) | instid1(VALU_DEP_1)
	v_mul_lo_u32 v37, v4, v3
	v_sub_nc_u32_e32 v37, v38, v37
	v_add_nc_u32_e32 v38, 1, v4
	s_delay_alu instid0(VALU_DEP_2) | instskip(SKIP_1) | instid1(VALU_DEP_1)
	v_sub_nc_u32_e32 v41, v37, v3
	v_cmp_ge_u32_e64 s2, v37, v3
	v_cndmask_b32_e64 v4, v4, v38, s2
	s_delay_alu instid0(VALU_DEP_3) | instskip(NEXT) | instid1(VALU_DEP_2)
	v_cndmask_b32_e64 v37, v37, v41, s2
	v_add_nc_u32_e32 v38, 1, v4
	s_delay_alu instid0(VALU_DEP_2) | instskip(NEXT) | instid1(VALU_DEP_1)
	v_cmp_ge_u32_e64 s2, v37, v3
	v_cndmask_b32_e64 v3, v4, v38, s2
	s_delay_alu instid0(VALU_DEP_1) | instskip(NEXT) | instid1(VALU_DEP_1)
	v_xor_b32_e32 v3, v3, v36
	v_sub_nc_u32_e32 v36, v3, v36
	s_delay_alu instid0(VALU_DEP_1) | instskip(SKIP_1) | instid1(VALU_DEP_1)
	v_mad_u64_u32 v[3:4], null, v36, s20, v[2:3]
	v_add_co_u32 v36, s2, v19, s8
	v_add_co_ci_u32_e64 v37, s2, s9, v20, s2
	global_store_b32 v[36:37], v3, off
	s_or_b32 exec_lo, exec_lo, s3
	s_and_saveexec_b32 s2, vcc_lo
	s_cbranch_execz .LBB68_3
.LBB68_27:                              ;   in Loop: Header=BB68_4 Depth=1
	s_waitcnt vmcnt(0)
	v_sub_nc_u32_e32 v2, 0, v39
	v_sub_nc_u32_e32 v36, 0, v35
	s_delay_alu instid0(VALU_DEP_2) | instskip(NEXT) | instid1(VALU_DEP_2)
	v_max_i32_e32 v2, v39, v2
	v_max_i32_e32 v36, v35, v36
	v_xor_b32_e32 v35, v35, v39
	s_delay_alu instid0(VALU_DEP_3) | instskip(SKIP_1) | instid1(VALU_DEP_3)
	v_cvt_f32_u32_e32 v3, v2
	v_sub_nc_u32_e32 v4, 0, v2
	v_ashrrev_i32_e32 v35, 31, v35
	s_delay_alu instid0(VALU_DEP_3) | instskip(SKIP_2) | instid1(VALU_DEP_1)
	v_rcp_iflag_f32_e32 v3, v3
	s_waitcnt_depctr 0xfff
	v_mul_f32_e32 v3, 0x4f7ffffe, v3
	v_cvt_u32_f32_e32 v3, v3
	s_delay_alu instid0(VALU_DEP_1) | instskip(NEXT) | instid1(VALU_DEP_1)
	v_mul_lo_u32 v4, v4, v3
	v_mul_hi_u32 v4, v3, v4
	s_delay_alu instid0(VALU_DEP_1) | instskip(NEXT) | instid1(VALU_DEP_1)
	v_add_nc_u32_e32 v3, v3, v4
	v_mul_hi_u32 v3, v36, v3
	s_delay_alu instid0(VALU_DEP_1) | instskip(NEXT) | instid1(VALU_DEP_1)
	v_mul_lo_u32 v4, v3, v2
	v_sub_nc_u32_e32 v4, v36, v4
	v_add_nc_u32_e32 v36, 1, v3
	s_delay_alu instid0(VALU_DEP_2) | instskip(SKIP_1) | instid1(VALU_DEP_2)
	v_sub_nc_u32_e32 v37, v4, v2
	v_cmp_ge_u32_e32 vcc_lo, v4, v2
	v_dual_cndmask_b32 v4, v4, v37 :: v_dual_cndmask_b32 v3, v3, v36
	s_delay_alu instid0(VALU_DEP_1) | instskip(NEXT) | instid1(VALU_DEP_2)
	v_cmp_ge_u32_e32 vcc_lo, v4, v2
	v_add_nc_u32_e32 v36, 1, v3
	s_delay_alu instid0(VALU_DEP_1) | instskip(NEXT) | instid1(VALU_DEP_1)
	v_cndmask_b32_e32 v2, v3, v36, vcc_lo
	v_xor_b32_e32 v2, v2, v35
	s_delay_alu instid0(VALU_DEP_1) | instskip(NEXT) | instid1(VALU_DEP_1)
	v_sub_nc_u32_e32 v4, v2, v35
	v_mad_u64_u32 v[2:3], null, v4, s20, v[1:2]
	v_add_co_u32 v3, vcc_lo, v11, s8
	v_add_co_ci_u32_e32 v4, vcc_lo, s9, v12, vcc_lo
	global_store_b32 v[3:4], v2, off
	s_branch .LBB68_3
.LBB68_28:
	s_mov_b32 s10, 0
.LBB68_29:
	s_delay_alu instid0(SALU_CYCLE_1)
	s_and_not1_b32 vcc_lo, exec_lo, s10
	s_cbranch_vccnz .LBB68_33
; %bb.30:
	s_waitcnt vmcnt(1)
	v_dual_mov_b32 v2, 0 :: v_dual_lshlrev_b32 v1, 2, v0
	s_mov_b32 s3, 0
	s_mov_b32 s2, exec_lo
	s_delay_alu instid0(VALU_DEP_1)
	v_cmpx_gt_i64_e64 s[6:7], v[1:2]
	s_cbranch_execz .LBB68_33
; %bb.31:
	s_load_b32 s0, s[0:1], 0xc5c
	s_waitcnt lgkmcnt(0)
	s_and_b32 s0, s0, 0xffff
	s_delay_alu instid0(SALU_CYCLE_1)
	v_add_lshl_u32 v1, v0, s0, 2
	v_lshlrev_b32_e32 v0, 4, v0
	s_lshl_b32 s4, s0, 2
	s_lshl_b32 s5, s0, 4
.LBB68_32:                              ; =>This Inner Loop Header: Depth=1
	s_delay_alu instid0(VALU_DEP_1) | instskip(NEXT) | instid1(VALU_DEP_1)
	v_add_co_u32 v3, s0, s16, v0
	v_add_co_ci_u32_e64 v4, null, s17, 0, s0
	v_add_co_u32 v7, s0, s18, v0
	s_delay_alu instid0(VALU_DEP_1) | instskip(SKIP_1) | instid1(VALU_DEP_1)
	v_add_co_ci_u32_e64 v8, null, s19, 0, s0
	v_add_co_u32 v15, s0, s14, v0
	v_add_co_ci_u32_e64 v16, null, s15, 0, s0
	global_load_b128 v[3:6], v[3:4], off
	global_load_b128 v[7:10], v[7:8], off
	;; [unrolled: 1-line block ×3, first 2 shown]
	v_cmp_le_i64_e32 vcc_lo, s[6:7], v[1:2]
	v_cmp_lt_u64_e64 s0, 0xffff, v[1:2]
	v_add_co_u32 v1, s1, v1, s4
	s_delay_alu instid0(VALU_DEP_1) | instskip(NEXT) | instid1(VALU_DEP_3)
	v_add_co_ci_u32_e64 v2, s1, 0, v2, s1
	s_or_b32 s8, vcc_lo, s0
	s_add_u32 s14, s14, s5
	s_addc_u32 s15, s15, 0
	s_add_u32 s18, s18, s5
	s_addc_u32 s19, s19, 0
	;; [unrolled: 2-line block ×3, first 2 shown]
	s_waitcnt vmcnt(2)
	v_sub_nc_u32_e32 v22, 0, v4
	s_waitcnt vmcnt(1)
	v_sub_nc_u32_e32 v20, 0, v7
	v_xor_b32_e32 v18, v3, v7
	v_xor_b32_e32 v21, v4, v8
	v_sub_nc_u32_e32 v23, 0, v8
	v_max_i32_e32 v4, v4, v22
	v_max_i32_e32 v7, v7, v20
	v_sub_nc_u32_e32 v29, 0, v10
	v_xor_b32_e32 v27, v6, v10
	v_max_i32_e32 v8, v8, v23
	v_sub_nc_u32_e32 v28, 0, v6
	v_cvt_f32_u32_e32 v22, v7
	v_sub_nc_u32_e32 v23, 0, v7
	v_max_i32_e32 v10, v10, v29
	v_sub_nc_u32_e32 v19, 0, v3
	v_max_i32_e32 v6, v6, v28
	v_rcp_iflag_f32_e32 v22, v22
	s_waitcnt vmcnt(0)
	v_mov_b32_e32 v17, v14
	v_cvt_f32_u32_e32 v28, v10
	v_max_i32_e32 v3, v3, v19
	v_xor_b32_e32 v24, v5, v9
	v_sub_nc_u32_e32 v29, 0, v10
	v_sub_nc_u32_e32 v26, 0, v9
	v_rcp_iflag_f32_e32 v28, v28
	v_sub_nc_u32_e32 v25, 0, v5
	v_ashrrev_i32_e32 v20, 31, v24
	v_mul_f32_e32 v22, 0x4f7ffffe, v22
	v_cvt_f32_u32_e32 v24, v8
	v_max_i32_e32 v9, v9, v26
	v_max_i32_e32 v5, v5, v25
	v_sub_nc_u32_e32 v25, 0, v8
	v_cvt_u32_f32_e32 v22, v22
	v_rcp_iflag_f32_e32 v24, v24
	v_cvt_f32_u32_e32 v26, v9
	v_ashrrev_i32_e32 v19, 31, v21
	v_ashrrev_i32_e32 v21, 31, v27
	v_mul_lo_u32 v23, v23, v22
	v_sub_nc_u32_e32 v27, 0, v9
	v_rcp_iflag_f32_e32 v26, v26
	v_ashrrev_i32_e32 v18, 31, v18
	s_delay_alu instid0(VALU_DEP_3) | instskip(NEXT) | instid1(VALU_DEP_1)
	v_mul_hi_u32 v23, v22, v23
	v_add_nc_u32_e32 v22, v22, v23
	s_delay_alu instid0(VALU_DEP_1) | instskip(SKIP_1) | instid1(VALU_DEP_1)
	v_mul_hi_u32 v22, v3, v22
	v_mul_f32_e32 v28, 0x4f7ffffe, v28
	v_cvt_u32_f32_e32 v28, v28
	s_delay_alu instid0(VALU_DEP_1) | instskip(NEXT) | instid1(VALU_DEP_1)
	v_mul_lo_u32 v29, v29, v28
	v_mul_hi_u32 v29, v28, v29
	v_mul_f32_e32 v24, 0x4f7ffffe, v24
	s_delay_alu instid0(VALU_DEP_1) | instskip(NEXT) | instid1(VALU_DEP_1)
	v_cvt_u32_f32_e32 v24, v24
	v_mul_lo_u32 v25, v25, v24
	s_delay_alu instid0(VALU_DEP_1) | instskip(NEXT) | instid1(VALU_DEP_1)
	v_mul_hi_u32 v25, v24, v25
	v_dual_mul_f32 v26, 0x4f7ffffe, v26 :: v_dual_add_nc_u32 v23, v24, v25
	s_delay_alu instid0(VALU_DEP_1) | instskip(SKIP_1) | instid1(VALU_DEP_3)
	v_cvt_u32_f32_e32 v26, v26
	v_add_nc_u32_e32 v25, v28, v29
	v_mul_hi_u32 v23, v4, v23
	s_delay_alu instid0(VALU_DEP_3) | instskip(NEXT) | instid1(VALU_DEP_3)
	v_mul_lo_u32 v27, v27, v26
	v_mul_hi_u32 v25, v6, v25
	s_delay_alu instid0(VALU_DEP_3) | instskip(NEXT) | instid1(VALU_DEP_3)
	v_mul_lo_u32 v28, v23, v8
	;; [unrolled: 3-line block ×3, first 2 shown]
	v_sub_nc_u32_e32 v4, v4, v28
	s_delay_alu instid0(VALU_DEP_3)
	v_add_nc_u32_e32 v24, v26, v27
	v_mul_lo_u32 v26, v22, v7
	v_add_nc_u32_e32 v27, 1, v22
	v_sub_nc_u32_e32 v6, v6, v30
	v_cmp_ge_u32_e64 s0, v4, v8
	v_mul_hi_u32 v24, v5, v24
	s_delay_alu instid0(VALU_DEP_3) | instskip(SKIP_1) | instid1(VALU_DEP_3)
	v_cmp_ge_u32_e64 s2, v6, v10
	v_sub_nc_u32_e32 v3, v3, v26
	v_mul_lo_u32 v29, v24, v9
	s_delay_alu instid0(VALU_DEP_2) | instskip(SKIP_2) | instid1(VALU_DEP_2)
	v_cmp_ge_u32_e32 vcc_lo, v3, v7
	v_sub_nc_u32_e32 v26, v3, v7
	v_dual_cndmask_b32 v22, v22, v27 :: v_dual_add_nc_u32 v33, 1, v25
	v_cndmask_b32_e32 v3, v3, v26, vcc_lo
	v_sub_nc_u32_e32 v5, v5, v29
	v_sub_nc_u32_e32 v29, v6, v10
	s_delay_alu instid0(VALU_DEP_4)
	v_cndmask_b32_e64 v25, v25, v33, s2
	v_add_nc_u32_e32 v26, 1, v22
	v_cmp_ge_u32_e32 vcc_lo, v3, v7
	v_cmp_ge_u32_e64 s1, v5, v9
	v_sub_nc_u32_e32 v28, v5, v9
	v_cndmask_b32_e64 v6, v6, v29, s2
	v_dual_cndmask_b32 v3, v22, v26 :: v_dual_add_nc_u32 v32, 1, v24
	v_sub_nc_u32_e32 v27, v4, v8
	s_delay_alu instid0(VALU_DEP_4)
	v_cndmask_b32_e64 v5, v5, v28, s1
	v_add_nc_u32_e32 v28, 1, v25
	v_cmp_ge_u32_e32 vcc_lo, v6, v10
	v_add_nc_u32_e32 v31, 1, v23
	v_cndmask_b32_e64 v4, v4, v27, s0
	v_cndmask_b32_e64 v24, v24, v32, s1
	v_xor_b32_e32 v3, v3, v18
	v_cndmask_b32_e32 v6, v25, v28, vcc_lo
	v_cndmask_b32_e64 v23, v23, v31, s0
	v_cmp_ge_u32_e32 vcc_lo, v4, v8
	s_and_b32 s0, exec_lo, s8
	s_delay_alu instid0(VALU_DEP_3) | instskip(NEXT) | instid1(VALU_DEP_3)
	v_xor_b32_e32 v6, v6, v21
	v_add_nc_u32_e32 v27, 1, v23
	v_add_nc_u32_e32 v29, 1, v24
	s_or_b32 s3, s0, s3
	s_delay_alu instid0(VALU_DEP_3) | instskip(NEXT) | instid1(VALU_DEP_3)
	v_sub_nc_u32_e32 v6, v6, v21
	v_cndmask_b32_e32 v4, v23, v27, vcc_lo
	v_cmp_ge_u32_e32 vcc_lo, v5, v9
	v_sub_nc_u32_e32 v9, v3, v18
	s_delay_alu instid0(VALU_DEP_3) | instskip(SKIP_1) | instid1(VALU_DEP_2)
	v_xor_b32_e32 v4, v4, v19
	v_cndmask_b32_e32 v5, v24, v29, vcc_lo
	v_sub_nc_u32_e32 v10, v4, v19
	s_delay_alu instid0(VALU_DEP_2) | instskip(SKIP_1) | instid1(VALU_DEP_2)
	v_xor_b32_e32 v5, v5, v20
	v_mad_u64_u32 v[3:4], null, v9, s20, v[11:12]
	v_sub_nc_u32_e32 v18, v5, v20
	s_delay_alu instid0(VALU_DEP_4) | instskip(NEXT) | instid1(VALU_DEP_2)
	v_mad_u64_u32 v[4:5], null, v10, s20, v[12:13]
	v_mad_u64_u32 v[7:8], null, v6, s20, v[17:18]
	;; [unrolled: 1-line block ×3, first 2 shown]
	s_delay_alu instid0(VALU_DEP_2)
	v_mov_b32_e32 v6, v7
	global_store_b128 v[15:16], v[3:6], off
	s_and_not1_b32 exec_lo, exec_lo, s3
	s_cbranch_execnz .LBB68_32
.LBB68_33:
	s_nop 0
	s_sendmsg sendmsg(MSG_DEALLOC_VGPRS)
	s_endpgm
	.section	.rodata,"a",@progbits
	.p2align	6, 0x0
	.amdhsa_kernel _ZN2at6native12_GLOBAL__N_125multi_tensor_apply_kernelINS1_18TensorListMetadataILi3EEENS1_24PointwiseOpScalarFunctorIiLi3ELi3ELi0EEEJSt7dividesIiEiEEEvT_T0_DpT1_
		.amdhsa_group_segment_fixed_size 0
		.amdhsa_private_segment_fixed_size 0
		.amdhsa_kernarg_size 3408
		.amdhsa_user_sgpr_count 15
		.amdhsa_user_sgpr_dispatch_ptr 0
		.amdhsa_user_sgpr_queue_ptr 0
		.amdhsa_user_sgpr_kernarg_segment_ptr 1
		.amdhsa_user_sgpr_dispatch_id 0
		.amdhsa_user_sgpr_private_segment_size 0
		.amdhsa_wavefront_size32 1
		.amdhsa_uses_dynamic_stack 0
		.amdhsa_enable_private_segment 0
		.amdhsa_system_sgpr_workgroup_id_x 1
		.amdhsa_system_sgpr_workgroup_id_y 0
		.amdhsa_system_sgpr_workgroup_id_z 0
		.amdhsa_system_sgpr_workgroup_info 0
		.amdhsa_system_vgpr_workitem_id 0
		.amdhsa_next_free_vgpr 48
		.amdhsa_next_free_sgpr 25
		.amdhsa_reserve_vcc 1
		.amdhsa_float_round_mode_32 0
		.amdhsa_float_round_mode_16_64 0
		.amdhsa_float_denorm_mode_32 3
		.amdhsa_float_denorm_mode_16_64 3
		.amdhsa_dx10_clamp 1
		.amdhsa_ieee_mode 1
		.amdhsa_fp16_overflow 0
		.amdhsa_workgroup_processor_mode 1
		.amdhsa_memory_ordered 1
		.amdhsa_forward_progress 0
		.amdhsa_shared_vgpr_count 0
		.amdhsa_exception_fp_ieee_invalid_op 0
		.amdhsa_exception_fp_denorm_src 0
		.amdhsa_exception_fp_ieee_div_zero 0
		.amdhsa_exception_fp_ieee_overflow 0
		.amdhsa_exception_fp_ieee_underflow 0
		.amdhsa_exception_fp_ieee_inexact 0
		.amdhsa_exception_int_div_zero 0
	.end_amdhsa_kernel
	.section	.text._ZN2at6native12_GLOBAL__N_125multi_tensor_apply_kernelINS1_18TensorListMetadataILi3EEENS1_24PointwiseOpScalarFunctorIiLi3ELi3ELi0EEEJSt7dividesIiEiEEEvT_T0_DpT1_,"axG",@progbits,_ZN2at6native12_GLOBAL__N_125multi_tensor_apply_kernelINS1_18TensorListMetadataILi3EEENS1_24PointwiseOpScalarFunctorIiLi3ELi3ELi0EEEJSt7dividesIiEiEEEvT_T0_DpT1_,comdat
.Lfunc_end68:
	.size	_ZN2at6native12_GLOBAL__N_125multi_tensor_apply_kernelINS1_18TensorListMetadataILi3EEENS1_24PointwiseOpScalarFunctorIiLi3ELi3ELi0EEEJSt7dividesIiEiEEEvT_T0_DpT1_, .Lfunc_end68-_ZN2at6native12_GLOBAL__N_125multi_tensor_apply_kernelINS1_18TensorListMetadataILi3EEENS1_24PointwiseOpScalarFunctorIiLi3ELi3ELi0EEEJSt7dividesIiEiEEEvT_T0_DpT1_
                                        ; -- End function
	.section	.AMDGPU.csdata,"",@progbits
; Kernel info:
; codeLenInByte = 3276
; NumSgprs: 27
; NumVgprs: 48
; ScratchSize: 0
; MemoryBound: 0
; FloatMode: 240
; IeeeMode: 1
; LDSByteSize: 0 bytes/workgroup (compile time only)
; SGPRBlocks: 3
; VGPRBlocks: 5
; NumSGPRsForWavesPerEU: 27
; NumVGPRsForWavesPerEU: 48
; Occupancy: 16
; WaveLimiterHint : 0
; COMPUTE_PGM_RSRC2:SCRATCH_EN: 0
; COMPUTE_PGM_RSRC2:USER_SGPR: 15
; COMPUTE_PGM_RSRC2:TRAP_HANDLER: 0
; COMPUTE_PGM_RSRC2:TGID_X_EN: 1
; COMPUTE_PGM_RSRC2:TGID_Y_EN: 0
; COMPUTE_PGM_RSRC2:TGID_Z_EN: 0
; COMPUTE_PGM_RSRC2:TIDIG_COMP_CNT: 0
	.section	.text._ZN2at6native12_GLOBAL__N_125multi_tensor_apply_kernelINS1_18TensorListMetadataILi3EEENS1_24PointwiseOpScalarFunctorIlLi3ELi3ELi0EEEJSt7dividesIlElEEEvT_T0_DpT1_,"axG",@progbits,_ZN2at6native12_GLOBAL__N_125multi_tensor_apply_kernelINS1_18TensorListMetadataILi3EEENS1_24PointwiseOpScalarFunctorIlLi3ELi3ELi0EEEJSt7dividesIlElEEEvT_T0_DpT1_,comdat
	.globl	_ZN2at6native12_GLOBAL__N_125multi_tensor_apply_kernelINS1_18TensorListMetadataILi3EEENS1_24PointwiseOpScalarFunctorIlLi3ELi3ELi0EEEJSt7dividesIlElEEEvT_T0_DpT1_ ; -- Begin function _ZN2at6native12_GLOBAL__N_125multi_tensor_apply_kernelINS1_18TensorListMetadataILi3EEENS1_24PointwiseOpScalarFunctorIlLi3ELi3ELi0EEEJSt7dividesIlElEEEvT_T0_DpT1_
	.p2align	8
	.type	_ZN2at6native12_GLOBAL__N_125multi_tensor_apply_kernelINS1_18TensorListMetadataILi3EEENS1_24PointwiseOpScalarFunctorIlLi3ELi3ELi0EEEJSt7dividesIlElEEEvT_T0_DpT1_,@function
_ZN2at6native12_GLOBAL__N_125multi_tensor_apply_kernelINS1_18TensorListMetadataILi3EEENS1_24PointwiseOpScalarFunctorIlLi3ELi3ELi0EEEJSt7dividesIlElEEEvT_T0_DpT1_: ; @_ZN2at6native12_GLOBAL__N_125multi_tensor_apply_kernelINS1_18TensorListMetadataILi3EEENS1_24PointwiseOpScalarFunctorIlLi3ELi3ELi0EEEJSt7dividesIlElEEEvT_T0_DpT1_
; %bb.0:
	v_mov_b32_e32 v1, s15
	s_add_u32 s2, s0, s15
	s_mul_hi_u32 s3, s15, 3
	s_mul_i32 s15, s15, 3
	s_addc_u32 s4, s1, 0
	global_load_u8 v1, v1, s[0:1] offset:1536
	s_add_u32 s2, s2, s15
	s_addc_u32 s3, s4, s3
	s_mov_b32 s17, 0
	s_load_b32 s10, s[2:3], 0x740
	s_waitcnt lgkmcnt(0)
	s_ashr_i32 s11, s10, 31
	s_delay_alu instid0(SALU_CYCLE_1) | instskip(SKIP_2) | instid1(VALU_DEP_1)
	s_lshl_b64 s[12:13], s[10:11], 19
	s_waitcnt vmcnt(0)
	v_readfirstlane_b32 s2, v1
	s_lshl_b32 s8, s2, 3
	s_clause 0x3
	s_load_b64 s[2:3], s[0:1], s8 offset:0x0
	s_load_b64 s[4:5], s[0:1], s8 offset:0x180
	;; [unrolled: 1-line block ×4, first 2 shown]
	s_waitcnt lgkmcnt(0)
	s_add_u32 s18, s2, s12
	s_addc_u32 s19, s3, s13
	s_and_b32 s16, s18, 31
	s_add_u32 s20, s4, s12
	s_addc_u32 s21, s5, s13
	s_add_u32 s22, s6, s12
	s_addc_u32 s23, s7, s13
	s_or_b32 s8, s22, s20
	s_delay_alu instid0(SALU_CYCLE_1) | instskip(NEXT) | instid1(SALU_CYCLE_1)
	s_and_b32 s8, s8, 31
	s_cmp_eq_u32 s8, 0
	s_load_b64 s[8:9], s[0:1], 0xc50
	s_cselect_b32 s24, -1, 0
	s_lshl_b64 s[10:11], s[10:11], 16
	s_delay_alu instid0(SALU_CYCLE_1) | instskip(SKIP_3) | instid1(SALU_CYCLE_1)
	s_sub_u32 s10, s14, s10
	s_subb_u32 s11, s15, s11
	s_and_b32 s14, s14, 3
	s_mov_b32 s15, s17
	s_or_b64 s[14:15], s[16:17], s[14:15]
	s_delay_alu instid0(SALU_CYCLE_1) | instskip(SKIP_1) | instid1(SALU_CYCLE_1)
	s_cmp_eq_u64 s[14:15], 0
	s_cselect_b32 s14, -1, 0
	s_and_b32 s14, s24, s14
	s_delay_alu instid0(SALU_CYCLE_1)
	s_and_b32 vcc_lo, exec_lo, s14
	s_mov_b32 s14, -1
	s_cbranch_vccnz .LBB69_45
; %bb.1:
	v_cmp_lt_i64_e64 s14, s[10:11], 1
	s_delay_alu instid0(VALU_DEP_1)
	s_and_b32 vcc_lo, exec_lo, s14
	s_cbranch_vccnz .LBB69_44
; %bb.2:
	s_load_b32 s14, s[0:1], 0xc64
	v_dual_mov_b32 v1, 0 :: v_dual_lshlrev_b32 v2, 3, v0
	v_cmp_gt_u64_e64 s15, 0x10000, s[10:11]
	s_delay_alu instid0(VALU_DEP_2) | instskip(NEXT) | instid1(VALU_DEP_1)
	v_add_co_u32 v29, s16, s2, v2
	v_add_co_ci_u32_e64 v30, null, s3, 0, s16
	v_add_co_u32 v31, s16, s4, v2
	s_delay_alu instid0(VALU_DEP_1)
	v_add_co_ci_u32_e64 v32, null, s5, 0, s16
	s_waitcnt lgkmcnt(0)
	s_and_b32 s16, s14, 0xffff
	v_add_co_u32 v33, s14, s6, v2
	s_mul_i32 s24, s16, 3
	v_add_co_ci_u32_e64 v34, null, s7, 0, s14
	v_add_co_u32 v41, s24, s24, v0
	s_delay_alu instid0(VALU_DEP_1)
	v_add_co_ci_u32_e64 v42, null, 0, 0, s24
	v_add_co_u32 v47, s24, v0, s16
	v_mov_b32_e32 v3, v1
	s_and_b32 s14, s15, exec_lo
	s_cselect_b32 s15, s11, 0
	s_cselect_b32 s14, s10, 0x10000
	s_lshl_b32 s25, s16, 4
	v_mad_u64_u32 v[4:5], null, s16, 24, v[2:3]
	v_add_co_u32 v2, s25, s25, v2
	s_delay_alu instid0(VALU_DEP_1) | instskip(SKIP_2) | instid1(VALU_DEP_4)
	v_add_co_ci_u32_e64 v3, null, 0, 0, s25
	s_lshl_b32 s17, s16, 1
	v_add_co_ci_u32_e64 v50, null, 0, 0, s24
	v_add_co_u32 v35, vcc_lo, s2, v4
	v_add_co_ci_u32_e32 v36, vcc_lo, s3, v5, vcc_lo
	v_add_co_u32 v37, vcc_lo, s4, v4
	v_add_co_ci_u32_e32 v38, vcc_lo, s5, v5, vcc_lo
	v_add_co_u32 v39, vcc_lo, s6, v4
	v_add_co_ci_u32_e32 v40, vcc_lo, s7, v5, vcc_lo
	v_add_co_u32 v43, vcc_lo, s2, v2
	v_add_co_ci_u32_e32 v44, vcc_lo, s3, v3, vcc_lo
	v_add_co_u32 v45, vcc_lo, s4, v2
	v_add_co_ci_u32_e32 v46, vcc_lo, s5, v3, vcc_lo
	v_add_co_u32 v48, vcc_lo, s6, v2
	v_lshlrev_b32_e32 v2, 3, v47
	v_add_co_u32 v51, s17, s17, v0
	v_add_co_ci_u32_e32 v49, vcc_lo, s7, v3, vcc_lo
	s_delay_alu instid0(VALU_DEP_3) | instskip(NEXT) | instid1(VALU_DEP_1)
	v_add_co_u32 v53, s2, s2, v2
	v_add_co_ci_u32_e64 v54, null, s3, 0, s2
	v_add_co_u32 v55, s2, s4, v2
	s_delay_alu instid0(VALU_DEP_1)
	v_add_co_ci_u32_e64 v56, null, s5, 0, s2
	v_add_co_u32 v57, s2, s6, v2
	v_add_co_ci_u32_e64 v52, null, 0, 0, s17
	v_add_co_ci_u32_e64 v58, null, s7, 0, s2
	s_lshl_b32 s7, s16, 2
	s_lshl_b32 s24, s16, 5
	s_mov_b64 s[16:17], 0
	s_branch .LBB69_4
.LBB69_3:                               ;   in Loop: Header=BB69_4 Depth=1
	s_or_b32 exec_lo, exec_lo, s2
	v_add_co_u32 v29, vcc_lo, v29, s24
	v_add_co_ci_u32_e32 v30, vcc_lo, 0, v30, vcc_lo
	v_add_co_u32 v31, vcc_lo, v31, s24
	v_add_co_ci_u32_e32 v32, vcc_lo, 0, v32, vcc_lo
	;; [unrolled: 2-line block ×9, first 2 shown]
	s_add_u32 s16, s16, s7
	v_add_co_u32 v53, vcc_lo, v53, s24
	s_addc_u32 s17, s17, 0
	v_add_co_ci_u32_e32 v54, vcc_lo, 0, v54, vcc_lo
	v_cmp_lt_i64_e64 s2, s[16:17], s[10:11]
	v_cmp_gt_u64_e64 s3, 0x10000, s[16:17]
	v_add_co_u32 v55, vcc_lo, v55, s24
	v_add_co_ci_u32_e32 v56, vcc_lo, 0, v56, vcc_lo
	v_add_co_u32 v57, vcc_lo, v57, s24
	v_add_co_ci_u32_e32 v58, vcc_lo, 0, v58, vcc_lo
	s_and_b32 s2, s2, s3
	s_delay_alu instid0(SALU_CYCLE_1)
	s_and_b32 vcc_lo, exec_lo, s2
	s_cbranch_vccz .LBB69_44
.LBB69_4:                               ; =>This Inner Loop Header: Depth=1
	v_add_co_u32 v2, s2, v0, s16
	s_delay_alu instid0(VALU_DEP_1) | instskip(SKIP_2) | instid1(VALU_DEP_2)
	v_add_co_ci_u32_e64 v3, null, 0, s17, s2
	v_mov_b32_e32 v13, 0
	v_mov_b32_e32 v14, 0
	;; [unrolled: 1-line block ×3, first 2 shown]
	s_delay_alu instid0(VALU_DEP_4) | instskip(NEXT) | instid1(VALU_DEP_3)
	v_cmp_gt_u64_e64 s5, s[14:15], v[2:3]
	v_dual_mov_b32 v3, v13 :: v_dual_mov_b32 v4, v14
	v_mov_b32_e32 v12, v14
	s_delay_alu instid0(VALU_DEP_3)
	s_and_saveexec_b32 s2, s5
	s_cbranch_execz .LBB69_6
; %bb.5:                                ;   in Loop: Header=BB69_4 Depth=1
	v_add_co_u32 v2, vcc_lo, v29, s12
	v_add_co_ci_u32_e32 v3, vcc_lo, s13, v30, vcc_lo
	v_add_co_u32 v5, vcc_lo, v31, s12
	v_add_co_ci_u32_e32 v6, vcc_lo, s13, v32, vcc_lo
	global_load_b64 v[3:4], v[2:3], off
	global_load_b64 v[11:12], v[5:6], off
.LBB69_6:                               ;   in Loop: Header=BB69_4 Depth=1
	s_or_b32 exec_lo, exec_lo, s2
	s_and_saveexec_b32 s2, s5
	s_cbranch_execz .LBB69_8
; %bb.7:                                ;   in Loop: Header=BB69_4 Depth=1
	v_add_co_u32 v5, vcc_lo, v33, s12
	v_add_co_ci_u32_e32 v6, vcc_lo, s13, v34, vcc_lo
	global_load_b64 v[13:14], v[5:6], off
.LBB69_8:                               ;   in Loop: Header=BB69_4 Depth=1
	s_or_b32 exec_lo, exec_lo, s2
	v_add_co_u32 v5, vcc_lo, v47, s16
	v_add_co_ci_u32_e32 v6, vcc_lo, s17, v50, vcc_lo
	v_mov_b32_e32 v27, 0
	v_mov_b32_e32 v28, 0
	s_delay_alu instid0(VALU_DEP_2) | instskip(NEXT) | instid1(VALU_DEP_4)
	v_mov_b32_e32 v21, v27
	v_cmp_gt_u64_e64 s2, s[14:15], v[5:6]
	s_delay_alu instid0(VALU_DEP_3) | instskip(SKIP_1) | instid1(VALU_DEP_3)
	v_dual_mov_b32 v5, v27 :: v_dual_mov_b32 v6, v28
	v_mov_b32_e32 v22, v28
	s_and_saveexec_b32 s3, s2
	s_cbranch_execz .LBB69_10
; %bb.9:                                ;   in Loop: Header=BB69_4 Depth=1
	v_add_co_u32 v5, vcc_lo, v53, s12
	v_add_co_ci_u32_e32 v6, vcc_lo, s13, v54, vcc_lo
	v_add_co_u32 v7, vcc_lo, v55, s12
	v_add_co_ci_u32_e32 v8, vcc_lo, s13, v56, vcc_lo
	global_load_b64 v[5:6], v[5:6], off
	global_load_b64 v[21:22], v[7:8], off
.LBB69_10:                              ;   in Loop: Header=BB69_4 Depth=1
	s_or_b32 exec_lo, exec_lo, s3
	s_and_saveexec_b32 s3, s2
	s_cbranch_execz .LBB69_12
; %bb.11:                               ;   in Loop: Header=BB69_4 Depth=1
	v_add_co_u32 v7, vcc_lo, v57, s12
	v_add_co_ci_u32_e32 v8, vcc_lo, s13, v58, vcc_lo
	global_load_b64 v[27:28], v[7:8], off
.LBB69_12:                              ;   in Loop: Header=BB69_4 Depth=1
	s_or_b32 exec_lo, exec_lo, s3
	v_add_co_u32 v7, vcc_lo, v51, s16
	v_add_co_ci_u32_e32 v8, vcc_lo, s17, v52, vcc_lo
	v_mov_b32_e32 v25, 0
	v_mov_b32_e32 v26, 0
	s_delay_alu instid0(VALU_DEP_2) | instskip(NEXT) | instid1(VALU_DEP_4)
	v_mov_b32_e32 v23, v25
	v_cmp_gt_u64_e64 s3, s[14:15], v[7:8]
	s_delay_alu instid0(VALU_DEP_3) | instskip(SKIP_1) | instid1(VALU_DEP_3)
	v_dual_mov_b32 v7, v25 :: v_dual_mov_b32 v8, v26
	v_mov_b32_e32 v24, v26
	s_and_saveexec_b32 s4, s3
	s_cbranch_execz .LBB69_14
; %bb.13:                               ;   in Loop: Header=BB69_4 Depth=1
	v_add_co_u32 v7, vcc_lo, v43, s12
	v_add_co_ci_u32_e32 v8, vcc_lo, s13, v44, vcc_lo
	v_add_co_u32 v9, vcc_lo, v45, s12
	v_add_co_ci_u32_e32 v10, vcc_lo, s13, v46, vcc_lo
	global_load_b64 v[7:8], v[7:8], off
	global_load_b64 v[23:24], v[9:10], off
.LBB69_14:                              ;   in Loop: Header=BB69_4 Depth=1
	s_or_b32 exec_lo, exec_lo, s4
	s_and_saveexec_b32 s4, s3
	s_cbranch_execz .LBB69_16
; %bb.15:                               ;   in Loop: Header=BB69_4 Depth=1
	v_add_co_u32 v9, vcc_lo, v48, s12
	v_add_co_ci_u32_e32 v10, vcc_lo, s13, v49, vcc_lo
	global_load_b64 v[25:26], v[9:10], off
.LBB69_16:                              ;   in Loop: Header=BB69_4 Depth=1
	s_or_b32 exec_lo, exec_lo, s4
	v_add_co_u32 v9, vcc_lo, v41, s16
	v_add_co_ci_u32_e32 v10, vcc_lo, s17, v42, vcc_lo
	v_mov_b32_e32 v19, 0
	v_mov_b32_e32 v20, 0
	s_delay_alu instid0(VALU_DEP_2) | instskip(NEXT) | instid1(VALU_DEP_4)
	v_mov_b32_e32 v17, v19
	v_cmp_gt_u64_e64 s4, s[14:15], v[9:10]
	s_delay_alu instid0(VALU_DEP_3) | instskip(SKIP_1) | instid1(VALU_DEP_3)
	v_dual_mov_b32 v9, v19 :: v_dual_mov_b32 v10, v20
	v_mov_b32_e32 v18, v20
	s_and_saveexec_b32 s6, s4
	s_cbranch_execz .LBB69_18
; %bb.17:                               ;   in Loop: Header=BB69_4 Depth=1
	v_add_co_u32 v9, vcc_lo, v35, s12
	v_add_co_ci_u32_e32 v10, vcc_lo, s13, v36, vcc_lo
	v_add_co_u32 v15, vcc_lo, v37, s12
	v_add_co_ci_u32_e32 v16, vcc_lo, s13, v38, vcc_lo
	global_load_b64 v[9:10], v[9:10], off
	global_load_b64 v[17:18], v[15:16], off
.LBB69_18:                              ;   in Loop: Header=BB69_4 Depth=1
	s_or_b32 exec_lo, exec_lo, s6
	s_and_saveexec_b32 s6, s4
	s_cbranch_execz .LBB69_20
; %bb.19:                               ;   in Loop: Header=BB69_4 Depth=1
	v_add_co_u32 v15, vcc_lo, v39, s12
	v_add_co_ci_u32_e32 v16, vcc_lo, s13, v40, vcc_lo
	global_load_b64 v[19:20], v[15:16], off
.LBB69_20:                              ;   in Loop: Header=BB69_4 Depth=1
	s_or_b32 exec_lo, exec_lo, s6
	s_waitcnt vmcnt(0)
	v_or_b32_e32 v2, v22, v28
                                        ; implicit-def: $vgpr15_vgpr16
	s_mov_b32 s6, exec_lo
	s_delay_alu instid0(VALU_DEP_1)
	v_cmpx_ne_u64_e32 0, v[1:2]
	s_xor_b32 s25, exec_lo, s6
	s_cbranch_execz .LBB69_22
; %bb.21:                               ;   in Loop: Header=BB69_4 Depth=1
	v_ashrrev_i32_e32 v2, 31, v28
	s_delay_alu instid0(VALU_DEP_1) | instskip(SKIP_1) | instid1(VALU_DEP_2)
	v_add_co_u32 v15, vcc_lo, v27, v2
	v_add_co_ci_u32_e32 v16, vcc_lo, v28, v2, vcc_lo
	v_xor_b32_e32 v61, v15, v2
	s_delay_alu instid0(VALU_DEP_2) | instskip(NEXT) | instid1(VALU_DEP_2)
	v_xor_b32_e32 v62, v16, v2
	v_cvt_f32_u32_e32 v15, v61
	v_sub_co_u32 v63, vcc_lo, 0, v61
	s_delay_alu instid0(VALU_DEP_3) | instskip(SKIP_1) | instid1(VALU_DEP_2)
	v_cvt_f32_u32_e32 v16, v62
	v_sub_co_ci_u32_e32 v64, vcc_lo, 0, v62, vcc_lo
	v_fmac_f32_e32 v15, 0x4f800000, v16
	s_delay_alu instid0(VALU_DEP_1) | instskip(SKIP_2) | instid1(VALU_DEP_1)
	v_rcp_f32_e32 v15, v15
	s_waitcnt_depctr 0xfff
	v_mul_f32_e32 v15, 0x5f7ffffc, v15
	v_mul_f32_e32 v16, 0x2f800000, v15
	s_delay_alu instid0(VALU_DEP_1) | instskip(NEXT) | instid1(VALU_DEP_1)
	v_trunc_f32_e32 v16, v16
	v_fmac_f32_e32 v15, 0xcf800000, v16
	v_cvt_u32_f32_e32 v65, v16
	s_delay_alu instid0(VALU_DEP_2) | instskip(NEXT) | instid1(VALU_DEP_2)
	v_cvt_u32_f32_e32 v66, v15
	v_mul_lo_u32 v27, v63, v65
	s_delay_alu instid0(VALU_DEP_2) | instskip(SKIP_1) | instid1(VALU_DEP_1)
	v_mul_lo_u32 v28, v64, v66
	v_mad_u64_u32 v[15:16], null, v63, v66, 0
	v_add3_u32 v67, v16, v27, v28
	s_delay_alu instid0(VALU_DEP_2) | instskip(SKIP_1) | instid1(VALU_DEP_3)
	v_mul_hi_u32 v68, v66, v15
	v_mad_u64_u32 v[59:60], null, v65, v15, 0
	v_mad_u64_u32 v[27:28], null, v66, v67, 0
	;; [unrolled: 1-line block ×3, first 2 shown]
	s_delay_alu instid0(VALU_DEP_2) | instskip(NEXT) | instid1(VALU_DEP_3)
	v_add_co_u32 v27, vcc_lo, v68, v27
	v_add_co_ci_u32_e32 v28, vcc_lo, 0, v28, vcc_lo
	s_delay_alu instid0(VALU_DEP_2) | instskip(NEXT) | instid1(VALU_DEP_2)
	v_add_co_u32 v27, vcc_lo, v27, v59
	v_add_co_ci_u32_e32 v27, vcc_lo, v28, v60, vcc_lo
	v_add_co_ci_u32_e32 v16, vcc_lo, 0, v16, vcc_lo
	s_delay_alu instid0(VALU_DEP_2) | instskip(NEXT) | instid1(VALU_DEP_2)
	v_add_co_u32 v15, vcc_lo, v27, v15
	v_add_co_ci_u32_e32 v16, vcc_lo, 0, v16, vcc_lo
	s_delay_alu instid0(VALU_DEP_2) | instskip(NEXT) | instid1(VALU_DEP_2)
	v_add_co_u32 v66, vcc_lo, v66, v15
	v_add_co_ci_u32_e32 v65, vcc_lo, v65, v16, vcc_lo
	s_delay_alu instid0(VALU_DEP_2) | instskip(SKIP_1) | instid1(VALU_DEP_3)
	v_mul_lo_u32 v27, v64, v66
	v_mad_u64_u32 v[15:16], null, v63, v66, 0
	v_mul_lo_u32 v28, v63, v65
	s_delay_alu instid0(VALU_DEP_2) | instskip(SKIP_1) | instid1(VALU_DEP_3)
	v_mul_hi_u32 v64, v66, v15
	v_mad_u64_u32 v[59:60], null, v65, v15, 0
	v_add3_u32 v63, v16, v28, v27
	s_delay_alu instid0(VALU_DEP_1) | instskip(SKIP_2) | instid1(VALU_DEP_3)
	v_mad_u64_u32 v[27:28], null, v66, v63, 0
	v_mad_u64_u32 v[15:16], null, v65, v63, 0
	v_ashrrev_i32_e32 v63, 31, v22
	v_add_co_u32 v27, vcc_lo, v64, v27
	s_delay_alu instid0(VALU_DEP_4) | instskip(NEXT) | instid1(VALU_DEP_3)
	v_add_co_ci_u32_e32 v28, vcc_lo, 0, v28, vcc_lo
	v_xor_b32_e32 v2, v63, v2
	s_delay_alu instid0(VALU_DEP_3) | instskip(NEXT) | instid1(VALU_DEP_3)
	v_add_co_u32 v27, vcc_lo, v27, v59
	v_add_co_ci_u32_e32 v27, vcc_lo, v28, v60, vcc_lo
	v_add_co_ci_u32_e32 v16, vcc_lo, 0, v16, vcc_lo
	v_add_co_u32 v21, vcc_lo, v21, v63
	v_add_co_ci_u32_e32 v22, vcc_lo, v22, v63, vcc_lo
	s_delay_alu instid0(VALU_DEP_4) | instskip(NEXT) | instid1(VALU_DEP_4)
	v_add_co_u32 v15, vcc_lo, v27, v15
	v_add_co_ci_u32_e32 v16, vcc_lo, 0, v16, vcc_lo
	s_delay_alu instid0(VALU_DEP_4) | instskip(NEXT) | instid1(VALU_DEP_3)
	v_xor_b32_e32 v59, v21, v63
	v_add_co_u32 v27, vcc_lo, v66, v15
	s_delay_alu instid0(VALU_DEP_3) | instskip(SKIP_1) | instid1(VALU_DEP_3)
	v_add_co_ci_u32_e32 v60, vcc_lo, v65, v16, vcc_lo
	v_xor_b32_e32 v64, v22, v63
	v_mul_hi_u32 v65, v59, v27
	s_delay_alu instid0(VALU_DEP_3) | instskip(NEXT) | instid1(VALU_DEP_3)
	v_mad_u64_u32 v[15:16], null, v59, v60, 0
	v_mad_u64_u32 v[21:22], null, v64, v27, 0
	;; [unrolled: 1-line block ×3, first 2 shown]
	s_delay_alu instid0(VALU_DEP_3) | instskip(NEXT) | instid1(VALU_DEP_4)
	v_add_co_u32 v15, vcc_lo, v65, v15
	v_add_co_ci_u32_e32 v16, vcc_lo, 0, v16, vcc_lo
	s_delay_alu instid0(VALU_DEP_2) | instskip(NEXT) | instid1(VALU_DEP_2)
	v_add_co_u32 v15, vcc_lo, v15, v21
	v_add_co_ci_u32_e32 v15, vcc_lo, v16, v22, vcc_lo
	v_add_co_ci_u32_e32 v16, vcc_lo, 0, v28, vcc_lo
	s_delay_alu instid0(VALU_DEP_2) | instskip(NEXT) | instid1(VALU_DEP_2)
	v_add_co_u32 v21, vcc_lo, v15, v27
	v_add_co_ci_u32_e32 v22, vcc_lo, 0, v16, vcc_lo
	s_delay_alu instid0(VALU_DEP_2) | instskip(SKIP_1) | instid1(VALU_DEP_3)
	v_mul_lo_u32 v27, v62, v21
	v_mad_u64_u32 v[15:16], null, v61, v21, 0
	v_mul_lo_u32 v28, v61, v22
	s_delay_alu instid0(VALU_DEP_2) | instskip(NEXT) | instid1(VALU_DEP_2)
	v_sub_co_u32 v15, vcc_lo, v59, v15
	v_add3_u32 v16, v16, v28, v27
	s_delay_alu instid0(VALU_DEP_1) | instskip(NEXT) | instid1(VALU_DEP_1)
	v_sub_nc_u32_e32 v27, v64, v16
	v_sub_co_ci_u32_e64 v27, s6, v27, v62, vcc_lo
	v_add_co_u32 v28, s6, v21, 2
	s_delay_alu instid0(VALU_DEP_1) | instskip(SKIP_3) | instid1(VALU_DEP_3)
	v_add_co_ci_u32_e64 v59, s6, 0, v22, s6
	v_sub_co_u32 v60, s6, v15, v61
	v_sub_co_ci_u32_e32 v16, vcc_lo, v64, v16, vcc_lo
	v_subrev_co_ci_u32_e64 v27, s6, 0, v27, s6
	v_cmp_ge_u32_e32 vcc_lo, v60, v61
	s_delay_alu instid0(VALU_DEP_3) | instskip(SKIP_1) | instid1(VALU_DEP_4)
	v_cmp_eq_u32_e64 s6, v16, v62
	v_cndmask_b32_e64 v60, 0, -1, vcc_lo
	v_cmp_ge_u32_e32 vcc_lo, v27, v62
	v_cndmask_b32_e64 v64, 0, -1, vcc_lo
	v_cmp_ge_u32_e32 vcc_lo, v15, v61
	v_cndmask_b32_e64 v15, 0, -1, vcc_lo
	v_cmp_ge_u32_e32 vcc_lo, v16, v62
	v_cndmask_b32_e64 v61, 0, -1, vcc_lo
	v_cmp_eq_u32_e32 vcc_lo, v27, v62
	s_delay_alu instid0(VALU_DEP_2) | instskip(SKIP_3) | instid1(VALU_DEP_3)
	v_cndmask_b32_e64 v15, v61, v15, s6
	v_cndmask_b32_e32 v27, v64, v60, vcc_lo
	v_add_co_u32 v60, vcc_lo, v21, 1
	v_add_co_ci_u32_e32 v64, vcc_lo, 0, v22, vcc_lo
	v_cmp_ne_u32_e32 vcc_lo, 0, v27
	s_delay_alu instid0(VALU_DEP_2) | instskip(NEXT) | instid1(VALU_DEP_4)
	v_cndmask_b32_e32 v16, v64, v59, vcc_lo
	v_cndmask_b32_e32 v27, v60, v28, vcc_lo
	v_cmp_ne_u32_e32 vcc_lo, 0, v15
	s_delay_alu instid0(VALU_DEP_2) | instskip(NEXT) | instid1(VALU_DEP_1)
	v_dual_cndmask_b32 v15, v22, v16 :: v_dual_cndmask_b32 v16, v21, v27
                                        ; implicit-def: $vgpr27_vgpr28
	v_xor_b32_e32 v21, v15, v2
	s_delay_alu instid0(VALU_DEP_2) | instskip(NEXT) | instid1(VALU_DEP_1)
	v_xor_b32_e32 v16, v16, v2
	v_sub_co_u32 v15, vcc_lo, v16, v2
	s_delay_alu instid0(VALU_DEP_3)
	v_sub_co_ci_u32_e32 v16, vcc_lo, v21, v2, vcc_lo
                                        ; implicit-def: $vgpr21_vgpr22
.LBB69_22:                              ;   in Loop: Header=BB69_4 Depth=1
	s_and_not1_saveexec_b32 s6, s25
	s_cbranch_execz .LBB69_24
; %bb.23:                               ;   in Loop: Header=BB69_4 Depth=1
	v_cvt_f32_u32_e32 v2, v27
	v_sub_nc_u32_e32 v15, 0, v27
	s_delay_alu instid0(VALU_DEP_2) | instskip(SKIP_2) | instid1(VALU_DEP_1)
	v_rcp_iflag_f32_e32 v2, v2
	s_waitcnt_depctr 0xfff
	v_mul_f32_e32 v2, 0x4f7ffffe, v2
	v_cvt_u32_f32_e32 v2, v2
	s_delay_alu instid0(VALU_DEP_1) | instskip(NEXT) | instid1(VALU_DEP_1)
	v_mul_lo_u32 v15, v15, v2
	v_mul_hi_u32 v15, v2, v15
	s_delay_alu instid0(VALU_DEP_1) | instskip(NEXT) | instid1(VALU_DEP_1)
	v_add_nc_u32_e32 v2, v2, v15
	v_mul_hi_u32 v2, v21, v2
	s_delay_alu instid0(VALU_DEP_1) | instskip(SKIP_1) | instid1(VALU_DEP_2)
	v_mul_lo_u32 v15, v2, v27
	v_add_nc_u32_e32 v16, 1, v2
	v_sub_nc_u32_e32 v15, v21, v15
	s_delay_alu instid0(VALU_DEP_1) | instskip(SKIP_1) | instid1(VALU_DEP_2)
	v_sub_nc_u32_e32 v21, v15, v27
	v_cmp_ge_u32_e32 vcc_lo, v15, v27
	v_dual_cndmask_b32 v15, v15, v21 :: v_dual_cndmask_b32 v2, v2, v16
	s_delay_alu instid0(VALU_DEP_1) | instskip(NEXT) | instid1(VALU_DEP_2)
	v_cmp_ge_u32_e32 vcc_lo, v15, v27
	v_add_nc_u32_e32 v16, 1, v2
	s_delay_alu instid0(VALU_DEP_1)
	v_dual_cndmask_b32 v15, v2, v16 :: v_dual_mov_b32 v16, v1
.LBB69_24:                              ;   in Loop: Header=BB69_4 Depth=1
	s_or_b32 exec_lo, exec_lo, s6
	v_or_b32_e32 v2, v24, v26
                                        ; implicit-def: $vgpr21_vgpr22
	s_mov_b32 s6, exec_lo
	s_delay_alu instid0(VALU_DEP_1)
	v_cmpx_ne_u64_e32 0, v[1:2]
	s_xor_b32 s25, exec_lo, s6
	s_cbranch_execz .LBB69_26
; %bb.25:                               ;   in Loop: Header=BB69_4 Depth=1
	v_ashrrev_i32_e32 v2, 31, v26
	s_delay_alu instid0(VALU_DEP_1) | instskip(SKIP_1) | instid1(VALU_DEP_2)
	v_add_co_u32 v21, vcc_lo, v25, v2
	v_add_co_ci_u32_e32 v22, vcc_lo, v26, v2, vcc_lo
	v_xor_b32_e32 v59, v21, v2
	s_delay_alu instid0(VALU_DEP_2) | instskip(NEXT) | instid1(VALU_DEP_2)
	v_xor_b32_e32 v60, v22, v2
	v_cvt_f32_u32_e32 v21, v59
	v_sub_co_u32 v61, vcc_lo, 0, v59
	s_delay_alu instid0(VALU_DEP_3) | instskip(SKIP_1) | instid1(VALU_DEP_2)
	v_cvt_f32_u32_e32 v22, v60
	v_sub_co_ci_u32_e32 v62, vcc_lo, 0, v60, vcc_lo
	v_fmac_f32_e32 v21, 0x4f800000, v22
	s_delay_alu instid0(VALU_DEP_1) | instskip(SKIP_2) | instid1(VALU_DEP_1)
	v_rcp_f32_e32 v21, v21
	s_waitcnt_depctr 0xfff
	v_mul_f32_e32 v21, 0x5f7ffffc, v21
	v_mul_f32_e32 v22, 0x2f800000, v21
	s_delay_alu instid0(VALU_DEP_1) | instskip(NEXT) | instid1(VALU_DEP_1)
	v_trunc_f32_e32 v22, v22
	v_fmac_f32_e32 v21, 0xcf800000, v22
	v_cvt_u32_f32_e32 v63, v22
	s_delay_alu instid0(VALU_DEP_2) | instskip(NEXT) | instid1(VALU_DEP_2)
	v_cvt_u32_f32_e32 v64, v21
	v_mul_lo_u32 v25, v61, v63
	s_delay_alu instid0(VALU_DEP_2) | instskip(SKIP_1) | instid1(VALU_DEP_1)
	v_mul_lo_u32 v26, v62, v64
	v_mad_u64_u32 v[21:22], null, v61, v64, 0
	v_add3_u32 v65, v22, v25, v26
	s_delay_alu instid0(VALU_DEP_2) | instskip(SKIP_1) | instid1(VALU_DEP_3)
	v_mul_hi_u32 v66, v64, v21
	v_mad_u64_u32 v[27:28], null, v63, v21, 0
	v_mad_u64_u32 v[25:26], null, v64, v65, 0
	;; [unrolled: 1-line block ×3, first 2 shown]
	s_delay_alu instid0(VALU_DEP_2) | instskip(NEXT) | instid1(VALU_DEP_3)
	v_add_co_u32 v25, vcc_lo, v66, v25
	v_add_co_ci_u32_e32 v26, vcc_lo, 0, v26, vcc_lo
	s_delay_alu instid0(VALU_DEP_2) | instskip(NEXT) | instid1(VALU_DEP_2)
	v_add_co_u32 v25, vcc_lo, v25, v27
	v_add_co_ci_u32_e32 v25, vcc_lo, v26, v28, vcc_lo
	v_add_co_ci_u32_e32 v22, vcc_lo, 0, v22, vcc_lo
	s_delay_alu instid0(VALU_DEP_2) | instskip(NEXT) | instid1(VALU_DEP_2)
	v_add_co_u32 v21, vcc_lo, v25, v21
	v_add_co_ci_u32_e32 v22, vcc_lo, 0, v22, vcc_lo
	s_delay_alu instid0(VALU_DEP_2) | instskip(NEXT) | instid1(VALU_DEP_2)
	v_add_co_u32 v64, vcc_lo, v64, v21
	v_add_co_ci_u32_e32 v63, vcc_lo, v63, v22, vcc_lo
	s_delay_alu instid0(VALU_DEP_2) | instskip(SKIP_1) | instid1(VALU_DEP_3)
	v_mul_lo_u32 v25, v62, v64
	v_mad_u64_u32 v[21:22], null, v61, v64, 0
	v_mul_lo_u32 v26, v61, v63
	s_delay_alu instid0(VALU_DEP_2) | instskip(SKIP_1) | instid1(VALU_DEP_3)
	v_mul_hi_u32 v62, v64, v21
	v_mad_u64_u32 v[27:28], null, v63, v21, 0
	v_add3_u32 v61, v22, v26, v25
	s_delay_alu instid0(VALU_DEP_1) | instskip(SKIP_2) | instid1(VALU_DEP_3)
	v_mad_u64_u32 v[25:26], null, v64, v61, 0
	v_mad_u64_u32 v[21:22], null, v63, v61, 0
	v_ashrrev_i32_e32 v61, 31, v24
	v_add_co_u32 v25, vcc_lo, v62, v25
	s_delay_alu instid0(VALU_DEP_4) | instskip(NEXT) | instid1(VALU_DEP_3)
	v_add_co_ci_u32_e32 v26, vcc_lo, 0, v26, vcc_lo
	v_xor_b32_e32 v2, v61, v2
	s_delay_alu instid0(VALU_DEP_3) | instskip(NEXT) | instid1(VALU_DEP_3)
	v_add_co_u32 v25, vcc_lo, v25, v27
	v_add_co_ci_u32_e32 v25, vcc_lo, v26, v28, vcc_lo
	v_add_co_ci_u32_e32 v22, vcc_lo, 0, v22, vcc_lo
	v_add_co_u32 v23, vcc_lo, v23, v61
	v_add_co_ci_u32_e32 v24, vcc_lo, v24, v61, vcc_lo
	s_delay_alu instid0(VALU_DEP_4) | instskip(NEXT) | instid1(VALU_DEP_4)
	v_add_co_u32 v21, vcc_lo, v25, v21
	v_add_co_ci_u32_e32 v22, vcc_lo, 0, v22, vcc_lo
	s_delay_alu instid0(VALU_DEP_4) | instskip(NEXT) | instid1(VALU_DEP_3)
	v_xor_b32_e32 v27, v23, v61
	v_add_co_u32 v25, vcc_lo, v64, v21
	s_delay_alu instid0(VALU_DEP_3) | instskip(SKIP_1) | instid1(VALU_DEP_3)
	v_add_co_ci_u32_e32 v28, vcc_lo, v63, v22, vcc_lo
	v_xor_b32_e32 v62, v24, v61
	v_mul_hi_u32 v63, v27, v25
	s_delay_alu instid0(VALU_DEP_3) | instskip(NEXT) | instid1(VALU_DEP_3)
	v_mad_u64_u32 v[21:22], null, v27, v28, 0
	v_mad_u64_u32 v[23:24], null, v62, v25, 0
	;; [unrolled: 1-line block ×3, first 2 shown]
	s_delay_alu instid0(VALU_DEP_3) | instskip(NEXT) | instid1(VALU_DEP_4)
	v_add_co_u32 v21, vcc_lo, v63, v21
	v_add_co_ci_u32_e32 v22, vcc_lo, 0, v22, vcc_lo
	s_delay_alu instid0(VALU_DEP_2) | instskip(NEXT) | instid1(VALU_DEP_2)
	v_add_co_u32 v21, vcc_lo, v21, v23
	v_add_co_ci_u32_e32 v21, vcc_lo, v22, v24, vcc_lo
	v_add_co_ci_u32_e32 v22, vcc_lo, 0, v26, vcc_lo
	s_delay_alu instid0(VALU_DEP_2) | instskip(NEXT) | instid1(VALU_DEP_2)
	v_add_co_u32 v23, vcc_lo, v21, v25
	v_add_co_ci_u32_e32 v24, vcc_lo, 0, v22, vcc_lo
	s_delay_alu instid0(VALU_DEP_2) | instskip(SKIP_1) | instid1(VALU_DEP_3)
	v_mul_lo_u32 v25, v60, v23
	v_mad_u64_u32 v[21:22], null, v59, v23, 0
	v_mul_lo_u32 v26, v59, v24
	s_delay_alu instid0(VALU_DEP_2) | instskip(NEXT) | instid1(VALU_DEP_2)
	v_sub_co_u32 v21, vcc_lo, v27, v21
	v_add3_u32 v22, v22, v26, v25
	s_delay_alu instid0(VALU_DEP_1) | instskip(NEXT) | instid1(VALU_DEP_1)
	v_sub_nc_u32_e32 v25, v62, v22
	v_sub_co_ci_u32_e64 v25, s6, v25, v60, vcc_lo
	v_add_co_u32 v26, s6, v23, 2
	s_delay_alu instid0(VALU_DEP_1) | instskip(SKIP_3) | instid1(VALU_DEP_3)
	v_add_co_ci_u32_e64 v27, s6, 0, v24, s6
	v_sub_co_u32 v28, s6, v21, v59
	v_sub_co_ci_u32_e32 v22, vcc_lo, v62, v22, vcc_lo
	v_subrev_co_ci_u32_e64 v25, s6, 0, v25, s6
	v_cmp_ge_u32_e32 vcc_lo, v28, v59
	s_delay_alu instid0(VALU_DEP_3) | instskip(SKIP_1) | instid1(VALU_DEP_4)
	v_cmp_eq_u32_e64 s6, v22, v60
	v_cndmask_b32_e64 v28, 0, -1, vcc_lo
	v_cmp_ge_u32_e32 vcc_lo, v25, v60
	v_cndmask_b32_e64 v62, 0, -1, vcc_lo
	v_cmp_ge_u32_e32 vcc_lo, v21, v59
	;; [unrolled: 2-line block ×3, first 2 shown]
	v_cndmask_b32_e64 v59, 0, -1, vcc_lo
	v_cmp_eq_u32_e32 vcc_lo, v25, v60
	s_delay_alu instid0(VALU_DEP_2) | instskip(SKIP_3) | instid1(VALU_DEP_3)
	v_cndmask_b32_e64 v21, v59, v21, s6
	v_cndmask_b32_e32 v25, v62, v28, vcc_lo
	v_add_co_u32 v28, vcc_lo, v23, 1
	v_add_co_ci_u32_e32 v62, vcc_lo, 0, v24, vcc_lo
	v_cmp_ne_u32_e32 vcc_lo, 0, v25
	s_delay_alu instid0(VALU_DEP_2) | instskip(SKIP_1) | instid1(VALU_DEP_2)
	v_dual_cndmask_b32 v22, v62, v27 :: v_dual_cndmask_b32 v25, v28, v26
	v_cmp_ne_u32_e32 vcc_lo, 0, v21
	v_dual_cndmask_b32 v21, v24, v22 :: v_dual_cndmask_b32 v22, v23, v25
                                        ; implicit-def: $vgpr25_vgpr26
	s_delay_alu instid0(VALU_DEP_1) | instskip(NEXT) | instid1(VALU_DEP_2)
	v_xor_b32_e32 v23, v21, v2
	v_xor_b32_e32 v22, v22, v2
	s_delay_alu instid0(VALU_DEP_1) | instskip(NEXT) | instid1(VALU_DEP_3)
	v_sub_co_u32 v21, vcc_lo, v22, v2
	v_sub_co_ci_u32_e32 v22, vcc_lo, v23, v2, vcc_lo
                                        ; implicit-def: $vgpr23_vgpr24
.LBB69_26:                              ;   in Loop: Header=BB69_4 Depth=1
	s_and_not1_saveexec_b32 s6, s25
	s_cbranch_execz .LBB69_28
; %bb.27:                               ;   in Loop: Header=BB69_4 Depth=1
	v_cvt_f32_u32_e32 v2, v25
	v_sub_nc_u32_e32 v21, 0, v25
	s_delay_alu instid0(VALU_DEP_2) | instskip(SKIP_2) | instid1(VALU_DEP_1)
	v_rcp_iflag_f32_e32 v2, v2
	s_waitcnt_depctr 0xfff
	v_mul_f32_e32 v2, 0x4f7ffffe, v2
	v_cvt_u32_f32_e32 v2, v2
	s_delay_alu instid0(VALU_DEP_1) | instskip(NEXT) | instid1(VALU_DEP_1)
	v_mul_lo_u32 v21, v21, v2
	v_mul_hi_u32 v21, v2, v21
	s_delay_alu instid0(VALU_DEP_1) | instskip(NEXT) | instid1(VALU_DEP_1)
	v_add_nc_u32_e32 v2, v2, v21
	v_mul_hi_u32 v2, v23, v2
	s_delay_alu instid0(VALU_DEP_1) | instskip(SKIP_1) | instid1(VALU_DEP_2)
	v_mul_lo_u32 v21, v2, v25
	v_add_nc_u32_e32 v22, 1, v2
	v_sub_nc_u32_e32 v21, v23, v21
	s_delay_alu instid0(VALU_DEP_1) | instskip(SKIP_1) | instid1(VALU_DEP_2)
	v_sub_nc_u32_e32 v23, v21, v25
	v_cmp_ge_u32_e32 vcc_lo, v21, v25
	v_dual_cndmask_b32 v21, v21, v23 :: v_dual_cndmask_b32 v2, v2, v22
	s_delay_alu instid0(VALU_DEP_1) | instskip(NEXT) | instid1(VALU_DEP_2)
	v_cmp_ge_u32_e32 vcc_lo, v21, v25
	v_add_nc_u32_e32 v22, 1, v2
	s_delay_alu instid0(VALU_DEP_1)
	v_dual_cndmask_b32 v21, v2, v22 :: v_dual_mov_b32 v22, v1
.LBB69_28:                              ;   in Loop: Header=BB69_4 Depth=1
	s_or_b32 exec_lo, exec_lo, s6
	v_or_b32_e32 v2, v18, v20
                                        ; implicit-def: $vgpr23_vgpr24
	s_mov_b32 s6, exec_lo
	s_delay_alu instid0(VALU_DEP_1)
	v_cmpx_ne_u64_e32 0, v[1:2]
	s_xor_b32 s25, exec_lo, s6
	s_cbranch_execnz .LBB69_34
; %bb.29:                               ;   in Loop: Header=BB69_4 Depth=1
	s_and_not1_saveexec_b32 s6, s25
	s_cbranch_execnz .LBB69_35
.LBB69_30:                              ;   in Loop: Header=BB69_4 Depth=1
	s_or_b32 exec_lo, exec_lo, s6
	s_and_saveexec_b32 s6, s5
	s_cbranch_execnz .LBB69_36
.LBB69_31:                              ;   in Loop: Header=BB69_4 Depth=1
	s_or_b32 exec_lo, exec_lo, s6
	s_and_saveexec_b32 s5, s2
	s_cbranch_execnz .LBB69_41
.LBB69_32:                              ;   in Loop: Header=BB69_4 Depth=1
	s_or_b32 exec_lo, exec_lo, s5
	s_and_saveexec_b32 s2, s3
	s_cbranch_execnz .LBB69_42
.LBB69_33:                              ;   in Loop: Header=BB69_4 Depth=1
	s_or_b32 exec_lo, exec_lo, s2
	s_and_saveexec_b32 s2, s4
	s_cbranch_execz .LBB69_3
	s_branch .LBB69_43
.LBB69_34:                              ;   in Loop: Header=BB69_4 Depth=1
	v_ashrrev_i32_e32 v2, 31, v20
	s_delay_alu instid0(VALU_DEP_1) | instskip(SKIP_1) | instid1(VALU_DEP_2)
	v_add_co_u32 v19, vcc_lo, v19, v2
	v_add_co_ci_u32_e32 v20, vcc_lo, v20, v2, vcc_lo
	v_xor_b32_e32 v27, v19, v2
	s_delay_alu instid0(VALU_DEP_2) | instskip(NEXT) | instid1(VALU_DEP_2)
	v_xor_b32_e32 v28, v20, v2
	v_cvt_f32_u32_e32 v19, v27
	v_sub_co_u32 v59, vcc_lo, 0, v27
	s_delay_alu instid0(VALU_DEP_3) | instskip(SKIP_1) | instid1(VALU_DEP_2)
	v_cvt_f32_u32_e32 v20, v28
	v_sub_co_ci_u32_e32 v60, vcc_lo, 0, v28, vcc_lo
	v_fmac_f32_e32 v19, 0x4f800000, v20
	s_delay_alu instid0(VALU_DEP_1) | instskip(SKIP_2) | instid1(VALU_DEP_1)
	v_rcp_f32_e32 v19, v19
	s_waitcnt_depctr 0xfff
	v_mul_f32_e32 v19, 0x5f7ffffc, v19
	v_mul_f32_e32 v20, 0x2f800000, v19
	s_delay_alu instid0(VALU_DEP_1) | instskip(NEXT) | instid1(VALU_DEP_1)
	v_trunc_f32_e32 v20, v20
	v_fmac_f32_e32 v19, 0xcf800000, v20
	v_cvt_u32_f32_e32 v61, v20
	s_delay_alu instid0(VALU_DEP_2) | instskip(NEXT) | instid1(VALU_DEP_2)
	v_cvt_u32_f32_e32 v62, v19
	v_mul_lo_u32 v23, v59, v61
	s_delay_alu instid0(VALU_DEP_2) | instskip(SKIP_1) | instid1(VALU_DEP_1)
	v_mul_lo_u32 v24, v60, v62
	v_mad_u64_u32 v[19:20], null, v59, v62, 0
	v_add3_u32 v63, v20, v23, v24
	s_delay_alu instid0(VALU_DEP_2) | instskip(SKIP_1) | instid1(VALU_DEP_3)
	v_mul_hi_u32 v64, v62, v19
	v_mad_u64_u32 v[25:26], null, v61, v19, 0
	v_mad_u64_u32 v[23:24], null, v62, v63, 0
	;; [unrolled: 1-line block ×3, first 2 shown]
	s_delay_alu instid0(VALU_DEP_2) | instskip(NEXT) | instid1(VALU_DEP_3)
	v_add_co_u32 v23, vcc_lo, v64, v23
	v_add_co_ci_u32_e32 v24, vcc_lo, 0, v24, vcc_lo
	s_delay_alu instid0(VALU_DEP_2) | instskip(NEXT) | instid1(VALU_DEP_2)
	v_add_co_u32 v23, vcc_lo, v23, v25
	v_add_co_ci_u32_e32 v23, vcc_lo, v24, v26, vcc_lo
	v_add_co_ci_u32_e32 v20, vcc_lo, 0, v20, vcc_lo
	s_delay_alu instid0(VALU_DEP_2) | instskip(NEXT) | instid1(VALU_DEP_2)
	v_add_co_u32 v19, vcc_lo, v23, v19
	v_add_co_ci_u32_e32 v20, vcc_lo, 0, v20, vcc_lo
	s_delay_alu instid0(VALU_DEP_2) | instskip(NEXT) | instid1(VALU_DEP_2)
	v_add_co_u32 v62, vcc_lo, v62, v19
	v_add_co_ci_u32_e32 v61, vcc_lo, v61, v20, vcc_lo
	s_delay_alu instid0(VALU_DEP_2) | instskip(SKIP_1) | instid1(VALU_DEP_3)
	v_mul_lo_u32 v23, v60, v62
	v_mad_u64_u32 v[19:20], null, v59, v62, 0
	v_mul_lo_u32 v24, v59, v61
	s_delay_alu instid0(VALU_DEP_2) | instskip(SKIP_1) | instid1(VALU_DEP_3)
	v_mul_hi_u32 v60, v62, v19
	v_mad_u64_u32 v[25:26], null, v61, v19, 0
	v_add3_u32 v59, v20, v24, v23
	s_delay_alu instid0(VALU_DEP_1) | instskip(SKIP_2) | instid1(VALU_DEP_3)
	v_mad_u64_u32 v[23:24], null, v62, v59, 0
	v_mad_u64_u32 v[19:20], null, v61, v59, 0
	v_ashrrev_i32_e32 v59, 31, v18
	v_add_co_u32 v23, vcc_lo, v60, v23
	s_delay_alu instid0(VALU_DEP_4) | instskip(NEXT) | instid1(VALU_DEP_3)
	v_add_co_ci_u32_e32 v24, vcc_lo, 0, v24, vcc_lo
	v_xor_b32_e32 v2, v59, v2
	s_delay_alu instid0(VALU_DEP_3) | instskip(NEXT) | instid1(VALU_DEP_3)
	v_add_co_u32 v23, vcc_lo, v23, v25
	v_add_co_ci_u32_e32 v23, vcc_lo, v24, v26, vcc_lo
	v_add_co_ci_u32_e32 v20, vcc_lo, 0, v20, vcc_lo
	v_add_co_u32 v17, vcc_lo, v17, v59
	v_add_co_ci_u32_e32 v18, vcc_lo, v18, v59, vcc_lo
	s_delay_alu instid0(VALU_DEP_4) | instskip(NEXT) | instid1(VALU_DEP_4)
	v_add_co_u32 v19, vcc_lo, v23, v19
	v_add_co_ci_u32_e32 v20, vcc_lo, 0, v20, vcc_lo
	s_delay_alu instid0(VALU_DEP_4) | instskip(NEXT) | instid1(VALU_DEP_3)
	v_xor_b32_e32 v25, v17, v59
	v_add_co_u32 v23, vcc_lo, v62, v19
	s_delay_alu instid0(VALU_DEP_3) | instskip(SKIP_1) | instid1(VALU_DEP_3)
	v_add_co_ci_u32_e32 v26, vcc_lo, v61, v20, vcc_lo
	v_xor_b32_e32 v60, v18, v59
	v_mul_hi_u32 v61, v25, v23
	s_delay_alu instid0(VALU_DEP_3) | instskip(NEXT) | instid1(VALU_DEP_3)
	v_mad_u64_u32 v[17:18], null, v25, v26, 0
	v_mad_u64_u32 v[19:20], null, v60, v23, 0
	;; [unrolled: 1-line block ×3, first 2 shown]
	s_delay_alu instid0(VALU_DEP_3) | instskip(NEXT) | instid1(VALU_DEP_4)
	v_add_co_u32 v17, vcc_lo, v61, v17
	v_add_co_ci_u32_e32 v18, vcc_lo, 0, v18, vcc_lo
	s_delay_alu instid0(VALU_DEP_2) | instskip(NEXT) | instid1(VALU_DEP_2)
	v_add_co_u32 v17, vcc_lo, v17, v19
	v_add_co_ci_u32_e32 v17, vcc_lo, v18, v20, vcc_lo
	v_add_co_ci_u32_e32 v18, vcc_lo, 0, v24, vcc_lo
	s_delay_alu instid0(VALU_DEP_2) | instskip(NEXT) | instid1(VALU_DEP_2)
	v_add_co_u32 v19, vcc_lo, v17, v23
	v_add_co_ci_u32_e32 v20, vcc_lo, 0, v18, vcc_lo
	s_delay_alu instid0(VALU_DEP_2) | instskip(SKIP_1) | instid1(VALU_DEP_3)
	v_mul_lo_u32 v23, v28, v19
	v_mad_u64_u32 v[17:18], null, v27, v19, 0
	v_mul_lo_u32 v24, v27, v20
	s_delay_alu instid0(VALU_DEP_2) | instskip(NEXT) | instid1(VALU_DEP_2)
	v_sub_co_u32 v17, vcc_lo, v25, v17
	v_add3_u32 v18, v18, v24, v23
	s_delay_alu instid0(VALU_DEP_1) | instskip(NEXT) | instid1(VALU_DEP_1)
	v_sub_nc_u32_e32 v23, v60, v18
	v_sub_co_ci_u32_e64 v23, s6, v23, v28, vcc_lo
	v_add_co_u32 v24, s6, v19, 2
	s_delay_alu instid0(VALU_DEP_1) | instskip(SKIP_3) | instid1(VALU_DEP_3)
	v_add_co_ci_u32_e64 v25, s6, 0, v20, s6
	v_sub_co_u32 v26, s6, v17, v27
	v_sub_co_ci_u32_e32 v18, vcc_lo, v60, v18, vcc_lo
	v_subrev_co_ci_u32_e64 v23, s6, 0, v23, s6
	v_cmp_ge_u32_e32 vcc_lo, v26, v27
	s_delay_alu instid0(VALU_DEP_3) | instskip(SKIP_1) | instid1(VALU_DEP_4)
	v_cmp_eq_u32_e64 s6, v18, v28
	v_cndmask_b32_e64 v26, 0, -1, vcc_lo
	v_cmp_ge_u32_e32 vcc_lo, v23, v28
	v_cndmask_b32_e64 v60, 0, -1, vcc_lo
	v_cmp_ge_u32_e32 vcc_lo, v17, v27
	;; [unrolled: 2-line block ×3, first 2 shown]
	v_cndmask_b32_e64 v27, 0, -1, vcc_lo
	v_cmp_eq_u32_e32 vcc_lo, v23, v28
	s_delay_alu instid0(VALU_DEP_2) | instskip(SKIP_3) | instid1(VALU_DEP_3)
	v_cndmask_b32_e64 v17, v27, v17, s6
	v_cndmask_b32_e32 v23, v60, v26, vcc_lo
	v_add_co_u32 v26, vcc_lo, v19, 1
	v_add_co_ci_u32_e32 v60, vcc_lo, 0, v20, vcc_lo
	v_cmp_ne_u32_e32 vcc_lo, 0, v23
	s_delay_alu instid0(VALU_DEP_2) | instskip(SKIP_1) | instid1(VALU_DEP_2)
	v_dual_cndmask_b32 v18, v60, v25 :: v_dual_cndmask_b32 v23, v26, v24
	v_cmp_ne_u32_e32 vcc_lo, 0, v17
	v_dual_cndmask_b32 v17, v20, v18 :: v_dual_cndmask_b32 v18, v19, v23
                                        ; implicit-def: $vgpr19_vgpr20
	s_delay_alu instid0(VALU_DEP_1) | instskip(NEXT) | instid1(VALU_DEP_2)
	v_xor_b32_e32 v17, v17, v2
	v_xor_b32_e32 v18, v18, v2
	s_delay_alu instid0(VALU_DEP_1) | instskip(NEXT) | instid1(VALU_DEP_3)
	v_sub_co_u32 v23, vcc_lo, v18, v2
	v_sub_co_ci_u32_e32 v24, vcc_lo, v17, v2, vcc_lo
                                        ; implicit-def: $vgpr17_vgpr18
	s_and_not1_saveexec_b32 s6, s25
	s_cbranch_execz .LBB69_30
.LBB69_35:                              ;   in Loop: Header=BB69_4 Depth=1
	v_cvt_f32_u32_e32 v2, v19
	v_sub_nc_u32_e32 v18, 0, v19
	v_mov_b32_e32 v24, v1
	s_delay_alu instid0(VALU_DEP_3) | instskip(SKIP_2) | instid1(VALU_DEP_1)
	v_rcp_iflag_f32_e32 v2, v2
	s_waitcnt_depctr 0xfff
	v_mul_f32_e32 v2, 0x4f7ffffe, v2
	v_cvt_u32_f32_e32 v2, v2
	s_delay_alu instid0(VALU_DEP_1) | instskip(NEXT) | instid1(VALU_DEP_1)
	v_mul_lo_u32 v18, v18, v2
	v_mul_hi_u32 v18, v2, v18
	s_delay_alu instid0(VALU_DEP_1) | instskip(NEXT) | instid1(VALU_DEP_1)
	v_add_nc_u32_e32 v2, v2, v18
	v_mul_hi_u32 v2, v17, v2
	s_delay_alu instid0(VALU_DEP_1) | instskip(NEXT) | instid1(VALU_DEP_1)
	v_mul_lo_u32 v18, v2, v19
	v_sub_nc_u32_e32 v17, v17, v18
	v_add_nc_u32_e32 v18, 1, v2
	s_delay_alu instid0(VALU_DEP_2) | instskip(SKIP_1) | instid1(VALU_DEP_2)
	v_sub_nc_u32_e32 v20, v17, v19
	v_cmp_ge_u32_e32 vcc_lo, v17, v19
	v_dual_cndmask_b32 v17, v17, v20 :: v_dual_cndmask_b32 v2, v2, v18
	s_delay_alu instid0(VALU_DEP_1) | instskip(NEXT) | instid1(VALU_DEP_2)
	v_cmp_ge_u32_e32 vcc_lo, v17, v19
	v_add_nc_u32_e32 v18, 1, v2
	s_delay_alu instid0(VALU_DEP_1)
	v_cndmask_b32_e32 v23, v2, v18, vcc_lo
	s_or_b32 exec_lo, exec_lo, s6
	s_and_saveexec_b32 s6, s5
	s_cbranch_execz .LBB69_31
.LBB69_36:                              ;   in Loop: Header=BB69_4 Depth=1
	v_or_b32_e32 v2, v12, v14
                                        ; implicit-def: $vgpr17_vgpr18
	s_mov_b32 s5, exec_lo
	s_delay_alu instid0(VALU_DEP_1)
	v_cmpx_ne_u64_e32 0, v[1:2]
	s_xor_b32 s25, exec_lo, s5
	s_cbranch_execz .LBB69_38
; %bb.37:                               ;   in Loop: Header=BB69_4 Depth=1
	v_ashrrev_i32_e32 v2, 31, v14
	s_delay_alu instid0(VALU_DEP_1) | instskip(SKIP_1) | instid1(VALU_DEP_2)
	v_add_co_u32 v13, vcc_lo, v13, v2
	v_add_co_ci_u32_e32 v14, vcc_lo, v14, v2, vcc_lo
	v_xor_b32_e32 v25, v13, v2
	s_delay_alu instid0(VALU_DEP_2) | instskip(NEXT) | instid1(VALU_DEP_2)
	v_xor_b32_e32 v26, v14, v2
	v_cvt_f32_u32_e32 v13, v25
	v_sub_co_u32 v27, vcc_lo, 0, v25
	s_delay_alu instid0(VALU_DEP_3) | instskip(SKIP_1) | instid1(VALU_DEP_2)
	v_cvt_f32_u32_e32 v14, v26
	v_sub_co_ci_u32_e32 v28, vcc_lo, 0, v26, vcc_lo
	v_fmac_f32_e32 v13, 0x4f800000, v14
	s_delay_alu instid0(VALU_DEP_1) | instskip(SKIP_2) | instid1(VALU_DEP_1)
	v_rcp_f32_e32 v13, v13
	s_waitcnt_depctr 0xfff
	v_mul_f32_e32 v13, 0x5f7ffffc, v13
	v_mul_f32_e32 v14, 0x2f800000, v13
	s_delay_alu instid0(VALU_DEP_1) | instskip(NEXT) | instid1(VALU_DEP_1)
	v_trunc_f32_e32 v14, v14
	v_fmac_f32_e32 v13, 0xcf800000, v14
	v_cvt_u32_f32_e32 v59, v14
	s_delay_alu instid0(VALU_DEP_2) | instskip(NEXT) | instid1(VALU_DEP_2)
	v_cvt_u32_f32_e32 v60, v13
	v_mul_lo_u32 v17, v27, v59
	s_delay_alu instid0(VALU_DEP_2) | instskip(SKIP_1) | instid1(VALU_DEP_1)
	v_mul_lo_u32 v18, v28, v60
	v_mad_u64_u32 v[13:14], null, v27, v60, 0
	v_add3_u32 v61, v14, v17, v18
	s_delay_alu instid0(VALU_DEP_2) | instskip(SKIP_1) | instid1(VALU_DEP_3)
	v_mul_hi_u32 v62, v60, v13
	v_mad_u64_u32 v[19:20], null, v59, v13, 0
	v_mad_u64_u32 v[17:18], null, v60, v61, 0
	v_mad_u64_u32 v[13:14], null, v59, v61, 0
	s_delay_alu instid0(VALU_DEP_2) | instskip(NEXT) | instid1(VALU_DEP_3)
	v_add_co_u32 v17, vcc_lo, v62, v17
	v_add_co_ci_u32_e32 v18, vcc_lo, 0, v18, vcc_lo
	s_delay_alu instid0(VALU_DEP_2) | instskip(NEXT) | instid1(VALU_DEP_2)
	v_add_co_u32 v17, vcc_lo, v17, v19
	v_add_co_ci_u32_e32 v17, vcc_lo, v18, v20, vcc_lo
	v_add_co_ci_u32_e32 v14, vcc_lo, 0, v14, vcc_lo
	s_delay_alu instid0(VALU_DEP_2) | instskip(NEXT) | instid1(VALU_DEP_2)
	v_add_co_u32 v13, vcc_lo, v17, v13
	v_add_co_ci_u32_e32 v14, vcc_lo, 0, v14, vcc_lo
	s_delay_alu instid0(VALU_DEP_2) | instskip(NEXT) | instid1(VALU_DEP_2)
	v_add_co_u32 v60, vcc_lo, v60, v13
	v_add_co_ci_u32_e32 v59, vcc_lo, v59, v14, vcc_lo
	s_delay_alu instid0(VALU_DEP_2) | instskip(SKIP_1) | instid1(VALU_DEP_3)
	v_mul_lo_u32 v17, v28, v60
	v_mad_u64_u32 v[13:14], null, v27, v60, 0
	v_mul_lo_u32 v18, v27, v59
	s_delay_alu instid0(VALU_DEP_2) | instskip(SKIP_1) | instid1(VALU_DEP_3)
	v_mul_hi_u32 v28, v60, v13
	v_mad_u64_u32 v[19:20], null, v59, v13, 0
	v_add3_u32 v27, v14, v18, v17
	s_delay_alu instid0(VALU_DEP_1) | instskip(SKIP_2) | instid1(VALU_DEP_3)
	v_mad_u64_u32 v[17:18], null, v60, v27, 0
	v_mad_u64_u32 v[13:14], null, v59, v27, 0
	v_ashrrev_i32_e32 v27, 31, v12
	v_add_co_u32 v17, vcc_lo, v28, v17
	s_delay_alu instid0(VALU_DEP_4) | instskip(NEXT) | instid1(VALU_DEP_3)
	v_add_co_ci_u32_e32 v18, vcc_lo, 0, v18, vcc_lo
	v_xor_b32_e32 v2, v27, v2
	s_delay_alu instid0(VALU_DEP_3) | instskip(NEXT) | instid1(VALU_DEP_3)
	v_add_co_u32 v17, vcc_lo, v17, v19
	v_add_co_ci_u32_e32 v17, vcc_lo, v18, v20, vcc_lo
	v_add_co_ci_u32_e32 v14, vcc_lo, 0, v14, vcc_lo
	v_add_co_u32 v11, vcc_lo, v11, v27
	v_add_co_ci_u32_e32 v12, vcc_lo, v12, v27, vcc_lo
	s_delay_alu instid0(VALU_DEP_4) | instskip(NEXT) | instid1(VALU_DEP_4)
	v_add_co_u32 v13, vcc_lo, v17, v13
	v_add_co_ci_u32_e32 v14, vcc_lo, 0, v14, vcc_lo
	s_delay_alu instid0(VALU_DEP_4) | instskip(NEXT) | instid1(VALU_DEP_3)
	v_xor_b32_e32 v19, v11, v27
	v_add_co_u32 v17, vcc_lo, v60, v13
	s_delay_alu instid0(VALU_DEP_3) | instskip(SKIP_1) | instid1(VALU_DEP_3)
	v_add_co_ci_u32_e32 v20, vcc_lo, v59, v14, vcc_lo
	v_xor_b32_e32 v28, v12, v27
	v_mul_hi_u32 v59, v19, v17
	s_delay_alu instid0(VALU_DEP_3) | instskip(NEXT) | instid1(VALU_DEP_3)
	v_mad_u64_u32 v[11:12], null, v19, v20, 0
	v_mad_u64_u32 v[13:14], null, v28, v17, 0
	;; [unrolled: 1-line block ×3, first 2 shown]
	s_delay_alu instid0(VALU_DEP_3) | instskip(NEXT) | instid1(VALU_DEP_4)
	v_add_co_u32 v11, vcc_lo, v59, v11
	v_add_co_ci_u32_e32 v12, vcc_lo, 0, v12, vcc_lo
	s_delay_alu instid0(VALU_DEP_2) | instskip(NEXT) | instid1(VALU_DEP_2)
	v_add_co_u32 v11, vcc_lo, v11, v13
	v_add_co_ci_u32_e32 v11, vcc_lo, v12, v14, vcc_lo
	v_add_co_ci_u32_e32 v12, vcc_lo, 0, v18, vcc_lo
	s_delay_alu instid0(VALU_DEP_2) | instskip(NEXT) | instid1(VALU_DEP_2)
	v_add_co_u32 v13, vcc_lo, v11, v17
	v_add_co_ci_u32_e32 v14, vcc_lo, 0, v12, vcc_lo
	s_delay_alu instid0(VALU_DEP_2) | instskip(SKIP_1) | instid1(VALU_DEP_3)
	v_mul_lo_u32 v17, v26, v13
	v_mad_u64_u32 v[11:12], null, v25, v13, 0
	v_mul_lo_u32 v18, v25, v14
	s_delay_alu instid0(VALU_DEP_2) | instskip(NEXT) | instid1(VALU_DEP_2)
	v_sub_co_u32 v11, vcc_lo, v19, v11
	v_add3_u32 v12, v12, v18, v17
	s_delay_alu instid0(VALU_DEP_1) | instskip(NEXT) | instid1(VALU_DEP_1)
	v_sub_nc_u32_e32 v17, v28, v12
	v_sub_co_ci_u32_e64 v17, s5, v17, v26, vcc_lo
	v_add_co_u32 v18, s5, v13, 2
	s_delay_alu instid0(VALU_DEP_1) | instskip(SKIP_3) | instid1(VALU_DEP_3)
	v_add_co_ci_u32_e64 v19, s5, 0, v14, s5
	v_sub_co_u32 v20, s5, v11, v25
	v_sub_co_ci_u32_e32 v12, vcc_lo, v28, v12, vcc_lo
	v_subrev_co_ci_u32_e64 v17, s5, 0, v17, s5
	v_cmp_ge_u32_e32 vcc_lo, v20, v25
	s_delay_alu instid0(VALU_DEP_3) | instskip(SKIP_1) | instid1(VALU_DEP_4)
	v_cmp_eq_u32_e64 s5, v12, v26
	v_cndmask_b32_e64 v20, 0, -1, vcc_lo
	v_cmp_ge_u32_e32 vcc_lo, v17, v26
	v_cndmask_b32_e64 v28, 0, -1, vcc_lo
	v_cmp_ge_u32_e32 vcc_lo, v11, v25
	;; [unrolled: 2-line block ×3, first 2 shown]
	v_cndmask_b32_e64 v25, 0, -1, vcc_lo
	v_cmp_eq_u32_e32 vcc_lo, v17, v26
	s_delay_alu instid0(VALU_DEP_2) | instskip(SKIP_3) | instid1(VALU_DEP_3)
	v_cndmask_b32_e64 v11, v25, v11, s5
	v_cndmask_b32_e32 v17, v28, v20, vcc_lo
	v_add_co_u32 v20, vcc_lo, v13, 1
	v_add_co_ci_u32_e32 v28, vcc_lo, 0, v14, vcc_lo
	v_cmp_ne_u32_e32 vcc_lo, 0, v17
	s_delay_alu instid0(VALU_DEP_2) | instskip(NEXT) | instid1(VALU_DEP_4)
	v_cndmask_b32_e32 v12, v28, v19, vcc_lo
	v_cndmask_b32_e32 v17, v20, v18, vcc_lo
	v_cmp_ne_u32_e32 vcc_lo, 0, v11
	s_delay_alu instid0(VALU_DEP_2) | instskip(NEXT) | instid1(VALU_DEP_1)
	v_dual_cndmask_b32 v11, v14, v12 :: v_dual_cndmask_b32 v12, v13, v17
                                        ; implicit-def: $vgpr13_vgpr14
	v_xor_b32_e32 v11, v11, v2
	s_delay_alu instid0(VALU_DEP_2) | instskip(NEXT) | instid1(VALU_DEP_1)
	v_xor_b32_e32 v12, v12, v2
	v_sub_co_u32 v17, vcc_lo, v12, v2
	s_delay_alu instid0(VALU_DEP_3)
	v_sub_co_ci_u32_e32 v18, vcc_lo, v11, v2, vcc_lo
                                        ; implicit-def: $vgpr11_vgpr12
.LBB69_38:                              ;   in Loop: Header=BB69_4 Depth=1
	s_and_not1_saveexec_b32 s5, s25
	s_cbranch_execz .LBB69_40
; %bb.39:                               ;   in Loop: Header=BB69_4 Depth=1
	v_cvt_f32_u32_e32 v2, v13
	v_sub_nc_u32_e32 v12, 0, v13
	v_mov_b32_e32 v18, v1
	s_delay_alu instid0(VALU_DEP_3) | instskip(SKIP_2) | instid1(VALU_DEP_1)
	v_rcp_iflag_f32_e32 v2, v2
	s_waitcnt_depctr 0xfff
	v_mul_f32_e32 v2, 0x4f7ffffe, v2
	v_cvt_u32_f32_e32 v2, v2
	s_delay_alu instid0(VALU_DEP_1) | instskip(NEXT) | instid1(VALU_DEP_1)
	v_mul_lo_u32 v12, v12, v2
	v_mul_hi_u32 v12, v2, v12
	s_delay_alu instid0(VALU_DEP_1) | instskip(NEXT) | instid1(VALU_DEP_1)
	v_add_nc_u32_e32 v2, v2, v12
	v_mul_hi_u32 v2, v11, v2
	s_delay_alu instid0(VALU_DEP_1) | instskip(NEXT) | instid1(VALU_DEP_1)
	v_mul_lo_u32 v12, v2, v13
	v_sub_nc_u32_e32 v11, v11, v12
	v_add_nc_u32_e32 v12, 1, v2
	s_delay_alu instid0(VALU_DEP_2) | instskip(SKIP_1) | instid1(VALU_DEP_2)
	v_sub_nc_u32_e32 v14, v11, v13
	v_cmp_ge_u32_e32 vcc_lo, v11, v13
	v_dual_cndmask_b32 v11, v11, v14 :: v_dual_cndmask_b32 v2, v2, v12
	s_delay_alu instid0(VALU_DEP_1) | instskip(NEXT) | instid1(VALU_DEP_2)
	v_cmp_ge_u32_e32 vcc_lo, v11, v13
	v_add_nc_u32_e32 v12, 1, v2
	s_delay_alu instid0(VALU_DEP_1)
	v_cndmask_b32_e32 v17, v2, v12, vcc_lo
.LBB69_40:                              ;   in Loop: Header=BB69_4 Depth=1
	s_or_b32 exec_lo, exec_lo, s5
	s_delay_alu instid0(VALU_DEP_1) | instskip(SKIP_4) | instid1(VALU_DEP_3)
	v_mad_u64_u32 v[11:12], null, v17, s8, v[3:4]
	v_mul_lo_u32 v4, v17, s9
	v_mul_lo_u32 v13, v18, s8
	v_add_co_u32 v2, vcc_lo, v29, s12
	v_add_co_ci_u32_e32 v3, vcc_lo, s13, v30, vcc_lo
	v_add3_u32 v12, v13, v12, v4
	global_store_b64 v[2:3], v[11:12], off
	s_or_b32 exec_lo, exec_lo, s6
	s_and_saveexec_b32 s5, s2
	s_cbranch_execz .LBB69_32
.LBB69_41:                              ;   in Loop: Header=BB69_4 Depth=1
	v_mad_u64_u32 v[2:3], null, v15, s8, v[5:6]
	v_mul_lo_u32 v4, v15, s9
	v_mul_lo_u32 v5, v16, s8
	s_delay_alu instid0(VALU_DEP_1)
	v_add3_u32 v3, v5, v3, v4
	v_add_co_u32 v4, vcc_lo, v53, s12
	v_add_co_ci_u32_e32 v5, vcc_lo, s13, v54, vcc_lo
	global_store_b64 v[4:5], v[2:3], off
	s_or_b32 exec_lo, exec_lo, s5
	s_and_saveexec_b32 s2, s3
	s_cbranch_execz .LBB69_33
.LBB69_42:                              ;   in Loop: Header=BB69_4 Depth=1
	v_mad_u64_u32 v[2:3], null, v21, s8, v[7:8]
	v_mul_lo_u32 v4, v21, s9
	v_mul_lo_u32 v5, v22, s8
	s_delay_alu instid0(VALU_DEP_1)
	v_add3_u32 v3, v5, v3, v4
	v_add_co_u32 v4, vcc_lo, v43, s12
	v_add_co_ci_u32_e32 v5, vcc_lo, s13, v44, vcc_lo
	global_store_b64 v[4:5], v[2:3], off
	s_or_b32 exec_lo, exec_lo, s2
	s_and_saveexec_b32 s2, s4
	s_cbranch_execz .LBB69_3
.LBB69_43:                              ;   in Loop: Header=BB69_4 Depth=1
	v_mad_u64_u32 v[2:3], null, v23, s8, v[9:10]
	v_mul_lo_u32 v4, v23, s9
	v_mul_lo_u32 v5, v24, s8
	s_delay_alu instid0(VALU_DEP_1)
	v_add3_u32 v3, v5, v3, v4
	v_add_co_u32 v4, vcc_lo, v35, s12
	v_add_co_ci_u32_e32 v5, vcc_lo, s13, v36, vcc_lo
	global_store_b64 v[4:5], v[2:3], off
	s_branch .LBB69_3
.LBB69_44:
	s_mov_b32 s14, 0
.LBB69_45:
	s_delay_alu instid0(SALU_CYCLE_1)
	s_and_not1_b32 vcc_lo, exec_lo, s14
	s_cbranch_vccnz .LBB69_65
; %bb.46:
	v_dual_mov_b32 v24, 0 :: v_dual_lshlrev_b32 v1, 2, v0
	s_mov_b32 s2, 0
	s_mov_b32 s3, exec_lo
	s_delay_alu instid0(VALU_DEP_1) | instskip(NEXT) | instid1(VALU_DEP_1)
	v_mov_b32_e32 v2, v24
	v_cmpx_gt_i64_e64 s[10:11], v[1:2]
	s_cbranch_execz .LBB69_65
; %bb.47:
	s_load_b32 s0, s[0:1], 0xc64
	v_dual_mov_b32 v27, v24 :: v_dual_lshlrev_b32 v32, 5, v0
	s_waitcnt lgkmcnt(0)
	s_and_b32 s0, s0, 0xffff
	s_delay_alu instid0(SALU_CYCLE_1)
	v_add_lshl_u32 v26, v0, s0, 2
	s_lshl_b32 s1, s0, 2
	s_lshl_b32 s3, s0, 5
	s_branch .LBB69_49
.LBB69_48:                              ;   in Loop: Header=BB69_49 Depth=1
	s_or_b32 exec_lo, exec_lo, s0
	v_cmp_le_i64_e32 vcc_lo, s[10:11], v[26:27]
	v_cmp_lt_u64_e64 s0, 0xffff, v[26:27]
	v_mul_lo_u32 v14, v18, s9
	s_waitcnt vmcnt(1)
	v_mad_u64_u32 v[10:11], null, v18, s8, v[0:1]
	v_mul_lo_u32 v0, v16, s9
	v_mul_lo_u32 v1, v17, s8
	s_waitcnt vmcnt(0)
	v_mad_u64_u32 v[17:18], null, v16, s8, v[6:7]
	v_mul_lo_u32 v6, v30, s9
	v_mul_lo_u32 v7, v31, s8
	v_mad_u64_u32 v[15:16], null, v30, s8, v[4:5]
	v_mul_lo_u32 v19, v19, s8
	v_mul_lo_u32 v4, v8, s9
	;; [unrolled: 1-line block ×3, first 2 shown]
	v_mad_u64_u32 v[12:13], null, v8, s8, v[2:3]
	s_or_b32 s0, vcc_lo, s0
	s_add_u32 s18, s18, s3
	s_addc_u32 s19, s19, 0
	s_add_u32 s22, s22, s3
	v_add_co_u32 v26, vcc_lo, v26, s1
	s_addc_u32 s23, s23, 0
	s_add_u32 s20, s20, s3
	v_add3_u32 v18, v1, v18, v0
	v_add3_u32 v16, v7, v16, v6
	v_add_co_ci_u32_e32 v27, vcc_lo, 0, v27, vcc_lo
	s_addc_u32 s21, s21, 0
	v_add3_u32 v11, v19, v11, v14
	v_add3_u32 v13, v5, v13, v4
	s_and_b32 s0, exec_lo, s0
	s_clause 0x1
	global_store_b128 v[28:29], v[15:18], off
	global_store_b128 v[28:29], v[10:13], off offset:16
	s_or_b32 s2, s0, s2
	s_delay_alu instid0(SALU_CYCLE_1)
	s_and_not1_b32 exec_lo, exec_lo, s2
	s_cbranch_execz .LBB69_65
.LBB69_49:                              ; =>This Inner Loop Header: Depth=1
	v_add_co_u32 v0, s0, s20, v32
	s_delay_alu instid0(VALU_DEP_1) | instskip(SKIP_1) | instid1(VALU_DEP_1)
	v_add_co_ci_u32_e64 v1, null, s21, 0, s0
	v_add_co_u32 v2, s0, s22, v32
	v_add_co_ci_u32_e64 v3, null, s23, 0, s0
	v_add_co_u32 v28, s0, s18, v32
	global_load_b128 v[16:19], v[0:1], off
	global_load_b128 v[20:23], v[2:3], off
	v_add_co_ci_u32_e64 v29, null, s19, 0, s0
	global_load_b128 v[8:11], v[0:1], off offset:16
	global_load_b128 v[12:15], v[2:3], off offset:16
	s_clause 0x1
	global_load_b128 v[0:3], v[28:29], off offset:16
	global_load_b128 v[4:7], v[28:29], off
                                        ; implicit-def: $vgpr30_vgpr31
	s_mov_b32 s0, exec_lo
	s_waitcnt vmcnt(4)
	v_or_b32_e32 v25, v17, v21
	s_delay_alu instid0(VALU_DEP_1)
	v_cmpx_ne_u64_e32 0, v[24:25]
	s_xor_b32 s4, exec_lo, s0
	s_cbranch_execz .LBB69_51
; %bb.50:                               ;   in Loop: Header=BB69_49 Depth=1
	v_ashrrev_i32_e32 v25, 31, v21
	s_delay_alu instid0(VALU_DEP_1) | instskip(SKIP_1) | instid1(VALU_DEP_2)
	v_add_co_u32 v20, vcc_lo, v20, v25
	v_add_co_ci_u32_e32 v21, vcc_lo, v21, v25, vcc_lo
	v_xor_b32_e32 v35, v20, v25
	s_delay_alu instid0(VALU_DEP_2) | instskip(NEXT) | instid1(VALU_DEP_2)
	v_xor_b32_e32 v36, v21, v25
	v_cvt_f32_u32_e32 v20, v35
	v_sub_co_u32 v37, vcc_lo, 0, v35
	s_delay_alu instid0(VALU_DEP_3) | instskip(SKIP_1) | instid1(VALU_DEP_2)
	v_cvt_f32_u32_e32 v21, v36
	v_sub_co_ci_u32_e32 v38, vcc_lo, 0, v36, vcc_lo
	v_fmac_f32_e32 v20, 0x4f800000, v21
	s_delay_alu instid0(VALU_DEP_1) | instskip(SKIP_2) | instid1(VALU_DEP_1)
	v_rcp_f32_e32 v20, v20
	s_waitcnt_depctr 0xfff
	v_mul_f32_e32 v20, 0x5f7ffffc, v20
	v_mul_f32_e32 v21, 0x2f800000, v20
	s_delay_alu instid0(VALU_DEP_1) | instskip(NEXT) | instid1(VALU_DEP_1)
	v_trunc_f32_e32 v21, v21
	v_fmac_f32_e32 v20, 0xcf800000, v21
	v_cvt_u32_f32_e32 v39, v21
	s_delay_alu instid0(VALU_DEP_2) | instskip(NEXT) | instid1(VALU_DEP_2)
	v_cvt_u32_f32_e32 v40, v20
	v_mul_lo_u32 v30, v37, v39
	s_delay_alu instid0(VALU_DEP_2) | instskip(SKIP_1) | instid1(VALU_DEP_1)
	v_mul_lo_u32 v31, v38, v40
	v_mad_u64_u32 v[20:21], null, v37, v40, 0
	v_add3_u32 v41, v21, v30, v31
	s_delay_alu instid0(VALU_DEP_2) | instskip(SKIP_1) | instid1(VALU_DEP_3)
	v_mul_hi_u32 v42, v40, v20
	v_mad_u64_u32 v[33:34], null, v39, v20, 0
	v_mad_u64_u32 v[30:31], null, v40, v41, 0
	;; [unrolled: 1-line block ×3, first 2 shown]
	s_delay_alu instid0(VALU_DEP_2) | instskip(NEXT) | instid1(VALU_DEP_3)
	v_add_co_u32 v30, vcc_lo, v42, v30
	v_add_co_ci_u32_e32 v31, vcc_lo, 0, v31, vcc_lo
	s_delay_alu instid0(VALU_DEP_2) | instskip(NEXT) | instid1(VALU_DEP_2)
	v_add_co_u32 v30, vcc_lo, v30, v33
	v_add_co_ci_u32_e32 v30, vcc_lo, v31, v34, vcc_lo
	v_add_co_ci_u32_e32 v21, vcc_lo, 0, v21, vcc_lo
	s_delay_alu instid0(VALU_DEP_2) | instskip(NEXT) | instid1(VALU_DEP_2)
	v_add_co_u32 v20, vcc_lo, v30, v20
	v_add_co_ci_u32_e32 v21, vcc_lo, 0, v21, vcc_lo
	s_delay_alu instid0(VALU_DEP_2) | instskip(NEXT) | instid1(VALU_DEP_2)
	v_add_co_u32 v40, vcc_lo, v40, v20
	v_add_co_ci_u32_e32 v39, vcc_lo, v39, v21, vcc_lo
	s_delay_alu instid0(VALU_DEP_2) | instskip(SKIP_1) | instid1(VALU_DEP_3)
	v_mul_lo_u32 v30, v38, v40
	v_mad_u64_u32 v[20:21], null, v37, v40, 0
	v_mul_lo_u32 v31, v37, v39
	s_delay_alu instid0(VALU_DEP_2) | instskip(SKIP_1) | instid1(VALU_DEP_3)
	v_mul_hi_u32 v38, v40, v20
	v_mad_u64_u32 v[33:34], null, v39, v20, 0
	v_add3_u32 v37, v21, v31, v30
	s_delay_alu instid0(VALU_DEP_1) | instskip(SKIP_2) | instid1(VALU_DEP_3)
	v_mad_u64_u32 v[30:31], null, v40, v37, 0
	v_mad_u64_u32 v[20:21], null, v39, v37, 0
	v_ashrrev_i32_e32 v37, 31, v17
	v_add_co_u32 v30, vcc_lo, v38, v30
	s_delay_alu instid0(VALU_DEP_4) | instskip(NEXT) | instid1(VALU_DEP_2)
	v_add_co_ci_u32_e32 v31, vcc_lo, 0, v31, vcc_lo
	v_add_co_u32 v30, vcc_lo, v30, v33
	s_delay_alu instid0(VALU_DEP_2) | instskip(SKIP_3) | instid1(VALU_DEP_4)
	v_add_co_ci_u32_e32 v30, vcc_lo, v31, v34, vcc_lo
	v_add_co_ci_u32_e32 v21, vcc_lo, 0, v21, vcc_lo
	v_add_co_u32 v16, vcc_lo, v16, v37
	v_add_co_ci_u32_e32 v17, vcc_lo, v17, v37, vcc_lo
	v_add_co_u32 v20, vcc_lo, v30, v20
	s_delay_alu instid0(VALU_DEP_4) | instskip(NEXT) | instid1(VALU_DEP_4)
	v_add_co_ci_u32_e32 v21, vcc_lo, 0, v21, vcc_lo
	v_xor_b32_e32 v33, v16, v37
	s_delay_alu instid0(VALU_DEP_3) | instskip(NEXT) | instid1(VALU_DEP_3)
	v_add_co_u32 v30, vcc_lo, v40, v20
	v_add_co_ci_u32_e32 v34, vcc_lo, v39, v21, vcc_lo
	v_xor_b32_e32 v38, v17, v37
	s_delay_alu instid0(VALU_DEP_3) | instskip(NEXT) | instid1(VALU_DEP_3)
	v_mul_hi_u32 v39, v33, v30
	v_mad_u64_u32 v[16:17], null, v33, v34, 0
	s_delay_alu instid0(VALU_DEP_3) | instskip(SKIP_1) | instid1(VALU_DEP_3)
	v_mad_u64_u32 v[20:21], null, v38, v30, 0
	v_mad_u64_u32 v[30:31], null, v38, v34, 0
	v_add_co_u32 v16, vcc_lo, v39, v16
	s_delay_alu instid0(VALU_DEP_4) | instskip(NEXT) | instid1(VALU_DEP_2)
	v_add_co_ci_u32_e32 v17, vcc_lo, 0, v17, vcc_lo
	v_add_co_u32 v16, vcc_lo, v16, v20
	s_delay_alu instid0(VALU_DEP_2) | instskip(SKIP_1) | instid1(VALU_DEP_2)
	v_add_co_ci_u32_e32 v16, vcc_lo, v17, v21, vcc_lo
	v_add_co_ci_u32_e32 v17, vcc_lo, 0, v31, vcc_lo
	v_add_co_u32 v20, vcc_lo, v16, v30
	s_delay_alu instid0(VALU_DEP_2) | instskip(NEXT) | instid1(VALU_DEP_2)
	v_add_co_ci_u32_e32 v21, vcc_lo, 0, v17, vcc_lo
	v_mul_lo_u32 v30, v36, v20
	v_mad_u64_u32 v[16:17], null, v35, v20, 0
	s_delay_alu instid0(VALU_DEP_3) | instskip(NEXT) | instid1(VALU_DEP_2)
	v_mul_lo_u32 v31, v35, v21
	v_sub_co_u32 v16, vcc_lo, v33, v16
	s_delay_alu instid0(VALU_DEP_2) | instskip(NEXT) | instid1(VALU_DEP_1)
	v_add3_u32 v17, v17, v31, v30
	v_sub_nc_u32_e32 v30, v38, v17
	s_delay_alu instid0(VALU_DEP_1) | instskip(SKIP_1) | instid1(VALU_DEP_1)
	v_sub_co_ci_u32_e64 v30, s0, v30, v36, vcc_lo
	v_add_co_u32 v31, s0, v20, 2
	v_add_co_ci_u32_e64 v33, s0, 0, v21, s0
	v_sub_co_u32 v34, s0, v16, v35
	v_sub_co_ci_u32_e32 v17, vcc_lo, v38, v17, vcc_lo
	v_subrev_co_ci_u32_e64 v30, s0, 0, v30, s0
	s_delay_alu instid0(VALU_DEP_3) | instskip(NEXT) | instid1(VALU_DEP_3)
	v_cmp_ge_u32_e32 vcc_lo, v34, v35
	v_cmp_eq_u32_e64 s0, v17, v36
	v_cndmask_b32_e64 v34, 0, -1, vcc_lo
	s_delay_alu instid0(VALU_DEP_4)
	v_cmp_ge_u32_e32 vcc_lo, v30, v36
	v_cndmask_b32_e64 v38, 0, -1, vcc_lo
	v_cmp_ge_u32_e32 vcc_lo, v16, v35
	v_cndmask_b32_e64 v16, 0, -1, vcc_lo
	;; [unrolled: 2-line block ×3, first 2 shown]
	v_cmp_eq_u32_e32 vcc_lo, v30, v36
	s_delay_alu instid0(VALU_DEP_2) | instskip(SKIP_3) | instid1(VALU_DEP_3)
	v_cndmask_b32_e64 v16, v35, v16, s0
	v_cndmask_b32_e32 v30, v38, v34, vcc_lo
	v_add_co_u32 v34, vcc_lo, v20, 1
	v_add_co_ci_u32_e32 v38, vcc_lo, 0, v21, vcc_lo
	v_cmp_ne_u32_e32 vcc_lo, 0, v30
	s_delay_alu instid0(VALU_DEP_2) | instskip(NEXT) | instid1(VALU_DEP_4)
	v_cndmask_b32_e32 v17, v38, v33, vcc_lo
	v_cndmask_b32_e32 v30, v34, v31, vcc_lo
	v_cmp_ne_u32_e32 vcc_lo, 0, v16
	v_xor_b32_e32 v16, v37, v25
	s_delay_alu instid0(VALU_DEP_3) | instskip(NEXT) | instid1(VALU_DEP_1)
	v_dual_cndmask_b32 v17, v21, v17 :: v_dual_cndmask_b32 v20, v20, v30
	v_xor_b32_e32 v17, v17, v16
	s_delay_alu instid0(VALU_DEP_2) | instskip(NEXT) | instid1(VALU_DEP_1)
	v_xor_b32_e32 v20, v20, v16
	v_sub_co_u32 v30, vcc_lo, v20, v16
	s_delay_alu instid0(VALU_DEP_3)
	v_sub_co_ci_u32_e32 v31, vcc_lo, v17, v16, vcc_lo
.LBB69_51:                              ;   in Loop: Header=BB69_49 Depth=1
	s_and_not1_saveexec_b32 s0, s4
	s_cbranch_execz .LBB69_53
; %bb.52:                               ;   in Loop: Header=BB69_49 Depth=1
	v_cvt_f32_u32_e32 v17, v20
	v_sub_nc_u32_e32 v21, 0, v20
	v_mov_b32_e32 v31, v24
	s_delay_alu instid0(VALU_DEP_3) | instskip(SKIP_2) | instid1(VALU_DEP_1)
	v_rcp_iflag_f32_e32 v17, v17
	s_waitcnt_depctr 0xfff
	v_mul_f32_e32 v17, 0x4f7ffffe, v17
	v_cvt_u32_f32_e32 v17, v17
	s_delay_alu instid0(VALU_DEP_1) | instskip(NEXT) | instid1(VALU_DEP_1)
	v_mul_lo_u32 v21, v21, v17
	v_mul_hi_u32 v21, v17, v21
	s_delay_alu instid0(VALU_DEP_1) | instskip(NEXT) | instid1(VALU_DEP_1)
	v_add_nc_u32_e32 v17, v17, v21
	v_mul_hi_u32 v17, v16, v17
	s_delay_alu instid0(VALU_DEP_1) | instskip(NEXT) | instid1(VALU_DEP_1)
	v_mul_lo_u32 v21, v17, v20
	v_sub_nc_u32_e32 v16, v16, v21
	v_add_nc_u32_e32 v21, 1, v17
	s_delay_alu instid0(VALU_DEP_2) | instskip(SKIP_1) | instid1(VALU_DEP_2)
	v_sub_nc_u32_e32 v25, v16, v20
	v_cmp_ge_u32_e32 vcc_lo, v16, v20
	v_cndmask_b32_e32 v16, v16, v25, vcc_lo
	s_delay_alu instid0(VALU_DEP_4) | instskip(NEXT) | instid1(VALU_DEP_2)
	v_cndmask_b32_e32 v17, v17, v21, vcc_lo
	v_cmp_ge_u32_e32 vcc_lo, v16, v20
	s_delay_alu instid0(VALU_DEP_2) | instskip(NEXT) | instid1(VALU_DEP_1)
	v_add_nc_u32_e32 v21, 1, v17
	v_cndmask_b32_e32 v30, v17, v21, vcc_lo
.LBB69_53:                              ;   in Loop: Header=BB69_49 Depth=1
	s_or_b32 exec_lo, exec_lo, s0
	v_or_b32_e32 v25, v19, v23
                                        ; implicit-def: $vgpr16_vgpr17
	s_mov_b32 s0, exec_lo
	s_delay_alu instid0(VALU_DEP_1)
	v_cmpx_ne_u64_e32 0, v[24:25]
	s_xor_b32 s4, exec_lo, s0
	s_cbranch_execz .LBB69_55
; %bb.54:                               ;   in Loop: Header=BB69_49 Depth=1
	v_ashrrev_i32_e32 v25, 31, v23
	s_delay_alu instid0(VALU_DEP_1) | instskip(SKIP_1) | instid1(VALU_DEP_2)
	v_add_co_u32 v16, vcc_lo, v22, v25
	v_add_co_ci_u32_e32 v17, vcc_lo, v23, v25, vcc_lo
	v_xor_b32_e32 v33, v16, v25
	s_delay_alu instid0(VALU_DEP_2) | instskip(NEXT) | instid1(VALU_DEP_2)
	v_xor_b32_e32 v34, v17, v25
	v_cvt_f32_u32_e32 v16, v33
	v_sub_co_u32 v35, vcc_lo, 0, v33
	s_delay_alu instid0(VALU_DEP_3) | instskip(SKIP_1) | instid1(VALU_DEP_2)
	v_cvt_f32_u32_e32 v17, v34
	v_sub_co_ci_u32_e32 v36, vcc_lo, 0, v34, vcc_lo
	v_fmac_f32_e32 v16, 0x4f800000, v17
	s_delay_alu instid0(VALU_DEP_1) | instskip(SKIP_2) | instid1(VALU_DEP_1)
	v_rcp_f32_e32 v16, v16
	s_waitcnt_depctr 0xfff
	v_mul_f32_e32 v16, 0x5f7ffffc, v16
	v_mul_f32_e32 v17, 0x2f800000, v16
	s_delay_alu instid0(VALU_DEP_1) | instskip(NEXT) | instid1(VALU_DEP_1)
	v_trunc_f32_e32 v17, v17
	v_fmac_f32_e32 v16, 0xcf800000, v17
	v_cvt_u32_f32_e32 v37, v17
	s_delay_alu instid0(VALU_DEP_2) | instskip(NEXT) | instid1(VALU_DEP_2)
	v_cvt_u32_f32_e32 v38, v16
	v_mul_lo_u32 v20, v35, v37
	s_delay_alu instid0(VALU_DEP_2) | instskip(SKIP_1) | instid1(VALU_DEP_1)
	v_mul_lo_u32 v21, v36, v38
	v_mad_u64_u32 v[16:17], null, v35, v38, 0
	v_add3_u32 v39, v17, v20, v21
	s_delay_alu instid0(VALU_DEP_2) | instskip(SKIP_1) | instid1(VALU_DEP_3)
	v_mul_hi_u32 v40, v38, v16
	v_mad_u64_u32 v[22:23], null, v37, v16, 0
	v_mad_u64_u32 v[20:21], null, v38, v39, 0
	;; [unrolled: 1-line block ×3, first 2 shown]
	s_delay_alu instid0(VALU_DEP_2) | instskip(NEXT) | instid1(VALU_DEP_3)
	v_add_co_u32 v20, vcc_lo, v40, v20
	v_add_co_ci_u32_e32 v21, vcc_lo, 0, v21, vcc_lo
	s_delay_alu instid0(VALU_DEP_2) | instskip(NEXT) | instid1(VALU_DEP_2)
	v_add_co_u32 v20, vcc_lo, v20, v22
	v_add_co_ci_u32_e32 v20, vcc_lo, v21, v23, vcc_lo
	v_add_co_ci_u32_e32 v17, vcc_lo, 0, v17, vcc_lo
	s_delay_alu instid0(VALU_DEP_2) | instskip(NEXT) | instid1(VALU_DEP_2)
	v_add_co_u32 v16, vcc_lo, v20, v16
	v_add_co_ci_u32_e32 v17, vcc_lo, 0, v17, vcc_lo
	s_delay_alu instid0(VALU_DEP_2) | instskip(NEXT) | instid1(VALU_DEP_2)
	v_add_co_u32 v38, vcc_lo, v38, v16
	v_add_co_ci_u32_e32 v37, vcc_lo, v37, v17, vcc_lo
	s_delay_alu instid0(VALU_DEP_2) | instskip(SKIP_1) | instid1(VALU_DEP_3)
	v_mul_lo_u32 v20, v36, v38
	v_mad_u64_u32 v[16:17], null, v35, v38, 0
	v_mul_lo_u32 v21, v35, v37
	s_delay_alu instid0(VALU_DEP_2) | instskip(SKIP_1) | instid1(VALU_DEP_3)
	v_mul_hi_u32 v36, v38, v16
	v_mad_u64_u32 v[22:23], null, v37, v16, 0
	v_add3_u32 v35, v17, v21, v20
	s_delay_alu instid0(VALU_DEP_1) | instskip(SKIP_2) | instid1(VALU_DEP_3)
	v_mad_u64_u32 v[20:21], null, v38, v35, 0
	v_mad_u64_u32 v[16:17], null, v37, v35, 0
	v_ashrrev_i32_e32 v35, 31, v19
	v_add_co_u32 v20, vcc_lo, v36, v20
	s_delay_alu instid0(VALU_DEP_4) | instskip(NEXT) | instid1(VALU_DEP_2)
	v_add_co_ci_u32_e32 v21, vcc_lo, 0, v21, vcc_lo
	v_add_co_u32 v20, vcc_lo, v20, v22
	s_delay_alu instid0(VALU_DEP_2) | instskip(SKIP_3) | instid1(VALU_DEP_4)
	v_add_co_ci_u32_e32 v20, vcc_lo, v21, v23, vcc_lo
	v_add_co_ci_u32_e32 v17, vcc_lo, 0, v17, vcc_lo
	v_add_co_u32 v18, vcc_lo, v18, v35
	v_add_co_ci_u32_e32 v19, vcc_lo, v19, v35, vcc_lo
	v_add_co_u32 v16, vcc_lo, v20, v16
	s_delay_alu instid0(VALU_DEP_4) | instskip(NEXT) | instid1(VALU_DEP_4)
	v_add_co_ci_u32_e32 v17, vcc_lo, 0, v17, vcc_lo
	v_xor_b32_e32 v22, v18, v35
	s_delay_alu instid0(VALU_DEP_3) | instskip(NEXT) | instid1(VALU_DEP_3)
	v_add_co_u32 v20, vcc_lo, v38, v16
	v_add_co_ci_u32_e32 v23, vcc_lo, v37, v17, vcc_lo
	v_xor_b32_e32 v36, v19, v35
	s_delay_alu instid0(VALU_DEP_3) | instskip(NEXT) | instid1(VALU_DEP_3)
	v_mul_hi_u32 v37, v22, v20
	v_mad_u64_u32 v[16:17], null, v22, v23, 0
	s_delay_alu instid0(VALU_DEP_3) | instskip(SKIP_1) | instid1(VALU_DEP_3)
	v_mad_u64_u32 v[18:19], null, v36, v20, 0
	v_mad_u64_u32 v[20:21], null, v36, v23, 0
	v_add_co_u32 v16, vcc_lo, v37, v16
	s_delay_alu instid0(VALU_DEP_4) | instskip(NEXT) | instid1(VALU_DEP_2)
	v_add_co_ci_u32_e32 v17, vcc_lo, 0, v17, vcc_lo
	v_add_co_u32 v16, vcc_lo, v16, v18
	s_delay_alu instid0(VALU_DEP_2) | instskip(SKIP_1) | instid1(VALU_DEP_2)
	v_add_co_ci_u32_e32 v16, vcc_lo, v17, v19, vcc_lo
	v_add_co_ci_u32_e32 v17, vcc_lo, 0, v21, vcc_lo
	v_add_co_u32 v18, vcc_lo, v16, v20
	s_delay_alu instid0(VALU_DEP_2) | instskip(NEXT) | instid1(VALU_DEP_2)
	v_add_co_ci_u32_e32 v19, vcc_lo, 0, v17, vcc_lo
	v_mul_lo_u32 v20, v34, v18
	v_mad_u64_u32 v[16:17], null, v33, v18, 0
	s_delay_alu instid0(VALU_DEP_3) | instskip(NEXT) | instid1(VALU_DEP_2)
	v_mul_lo_u32 v21, v33, v19
	v_sub_co_u32 v16, vcc_lo, v22, v16
	s_delay_alu instid0(VALU_DEP_2) | instskip(NEXT) | instid1(VALU_DEP_1)
	v_add3_u32 v17, v17, v21, v20
	v_sub_nc_u32_e32 v20, v36, v17
	s_delay_alu instid0(VALU_DEP_1) | instskip(SKIP_1) | instid1(VALU_DEP_1)
	v_sub_co_ci_u32_e64 v20, s0, v20, v34, vcc_lo
	v_add_co_u32 v21, s0, v18, 2
	v_add_co_ci_u32_e64 v22, s0, 0, v19, s0
	v_sub_co_u32 v23, s0, v16, v33
	v_sub_co_ci_u32_e32 v17, vcc_lo, v36, v17, vcc_lo
	v_subrev_co_ci_u32_e64 v20, s0, 0, v20, s0
	s_delay_alu instid0(VALU_DEP_3) | instskip(NEXT) | instid1(VALU_DEP_3)
	v_cmp_ge_u32_e32 vcc_lo, v23, v33
	v_cmp_eq_u32_e64 s0, v17, v34
	v_cndmask_b32_e64 v23, 0, -1, vcc_lo
	s_delay_alu instid0(VALU_DEP_4)
	v_cmp_ge_u32_e32 vcc_lo, v20, v34
	v_cndmask_b32_e64 v36, 0, -1, vcc_lo
	v_cmp_ge_u32_e32 vcc_lo, v16, v33
	v_cndmask_b32_e64 v16, 0, -1, vcc_lo
	;; [unrolled: 2-line block ×3, first 2 shown]
	v_cmp_eq_u32_e32 vcc_lo, v20, v34
	s_delay_alu instid0(VALU_DEP_2) | instskip(SKIP_3) | instid1(VALU_DEP_3)
	v_cndmask_b32_e64 v16, v33, v16, s0
	v_cndmask_b32_e32 v20, v36, v23, vcc_lo
	v_add_co_u32 v23, vcc_lo, v18, 1
	v_add_co_ci_u32_e32 v36, vcc_lo, 0, v19, vcc_lo
	v_cmp_ne_u32_e32 vcc_lo, 0, v20
	s_delay_alu instid0(VALU_DEP_2) | instskip(SKIP_2) | instid1(VALU_DEP_3)
	v_dual_cndmask_b32 v17, v36, v22 :: v_dual_cndmask_b32 v20, v23, v21
	v_cmp_ne_u32_e32 vcc_lo, 0, v16
	v_xor_b32_e32 v21, v35, v25
                                        ; implicit-def: $vgpr22_vgpr23
	v_dual_cndmask_b32 v16, v19, v17 :: v_dual_cndmask_b32 v17, v18, v20
	s_delay_alu instid0(VALU_DEP_1) | instskip(NEXT) | instid1(VALU_DEP_2)
	v_xor_b32_e32 v18, v16, v21
	v_xor_b32_e32 v17, v17, v21
	s_delay_alu instid0(VALU_DEP_1) | instskip(NEXT) | instid1(VALU_DEP_3)
	v_sub_co_u32 v16, vcc_lo, v17, v21
	v_sub_co_ci_u32_e32 v17, vcc_lo, v18, v21, vcc_lo
                                        ; implicit-def: $vgpr18_vgpr19
.LBB69_55:                              ;   in Loop: Header=BB69_49 Depth=1
	s_and_not1_saveexec_b32 s0, s4
	s_cbranch_execz .LBB69_57
; %bb.56:                               ;   in Loop: Header=BB69_49 Depth=1
	v_cvt_f32_u32_e32 v16, v22
	v_sub_nc_u32_e32 v17, 0, v22
	s_delay_alu instid0(VALU_DEP_2) | instskip(SKIP_2) | instid1(VALU_DEP_1)
	v_rcp_iflag_f32_e32 v16, v16
	s_waitcnt_depctr 0xfff
	v_mul_f32_e32 v16, 0x4f7ffffe, v16
	v_cvt_u32_f32_e32 v16, v16
	s_delay_alu instid0(VALU_DEP_1) | instskip(NEXT) | instid1(VALU_DEP_1)
	v_mul_lo_u32 v17, v17, v16
	v_mul_hi_u32 v17, v16, v17
	s_delay_alu instid0(VALU_DEP_1) | instskip(NEXT) | instid1(VALU_DEP_1)
	v_add_nc_u32_e32 v16, v16, v17
	v_mul_hi_u32 v16, v18, v16
	s_delay_alu instid0(VALU_DEP_1) | instskip(NEXT) | instid1(VALU_DEP_1)
	v_mul_lo_u32 v17, v16, v22
	v_sub_nc_u32_e32 v17, v18, v17
	v_add_nc_u32_e32 v18, 1, v16
	s_delay_alu instid0(VALU_DEP_2) | instskip(SKIP_1) | instid1(VALU_DEP_2)
	v_sub_nc_u32_e32 v19, v17, v22
	v_cmp_ge_u32_e32 vcc_lo, v17, v22
	v_dual_cndmask_b32 v17, v17, v19 :: v_dual_cndmask_b32 v16, v16, v18
	s_delay_alu instid0(VALU_DEP_1) | instskip(NEXT) | instid1(VALU_DEP_2)
	v_cmp_ge_u32_e32 vcc_lo, v17, v22
	v_dual_mov_b32 v17, v24 :: v_dual_add_nc_u32 v18, 1, v16
	s_delay_alu instid0(VALU_DEP_1)
	v_cndmask_b32_e32 v16, v16, v18, vcc_lo
.LBB69_57:                              ;   in Loop: Header=BB69_49 Depth=1
	s_or_b32 exec_lo, exec_lo, s0
	s_waitcnt vmcnt(2)
	v_or_b32_e32 v25, v9, v13
                                        ; implicit-def: $vgpr18_vgpr19
	s_mov_b32 s0, exec_lo
	s_delay_alu instid0(VALU_DEP_1)
	v_cmpx_ne_u64_e32 0, v[24:25]
	s_xor_b32 s4, exec_lo, s0
	s_cbranch_execz .LBB69_59
; %bb.58:                               ;   in Loop: Header=BB69_49 Depth=1
	v_ashrrev_i32_e32 v22, 31, v13
	s_delay_alu instid0(VALU_DEP_1) | instskip(SKIP_1) | instid1(VALU_DEP_2)
	v_add_co_u32 v12, vcc_lo, v12, v22
	v_add_co_ci_u32_e32 v13, vcc_lo, v13, v22, vcc_lo
	v_xor_b32_e32 v23, v12, v22
	s_delay_alu instid0(VALU_DEP_2) | instskip(NEXT) | instid1(VALU_DEP_2)
	v_xor_b32_e32 v25, v13, v22
	v_cvt_f32_u32_e32 v12, v23
	v_sub_co_u32 v33, vcc_lo, 0, v23
	s_delay_alu instid0(VALU_DEP_3) | instskip(SKIP_1) | instid1(VALU_DEP_2)
	v_cvt_f32_u32_e32 v13, v25
	v_sub_co_ci_u32_e32 v34, vcc_lo, 0, v25, vcc_lo
	v_fmac_f32_e32 v12, 0x4f800000, v13
	s_delay_alu instid0(VALU_DEP_1) | instskip(SKIP_2) | instid1(VALU_DEP_1)
	v_rcp_f32_e32 v12, v12
	s_waitcnt_depctr 0xfff
	v_mul_f32_e32 v12, 0x5f7ffffc, v12
	v_mul_f32_e32 v13, 0x2f800000, v12
	s_delay_alu instid0(VALU_DEP_1) | instskip(NEXT) | instid1(VALU_DEP_1)
	v_trunc_f32_e32 v13, v13
	v_fmac_f32_e32 v12, 0xcf800000, v13
	v_cvt_u32_f32_e32 v35, v13
	s_delay_alu instid0(VALU_DEP_2) | instskip(NEXT) | instid1(VALU_DEP_2)
	v_cvt_u32_f32_e32 v36, v12
	v_mul_lo_u32 v18, v33, v35
	s_delay_alu instid0(VALU_DEP_2) | instskip(SKIP_1) | instid1(VALU_DEP_1)
	v_mul_lo_u32 v19, v34, v36
	v_mad_u64_u32 v[12:13], null, v33, v36, 0
	v_add3_u32 v37, v13, v18, v19
	s_delay_alu instid0(VALU_DEP_2) | instskip(SKIP_1) | instid1(VALU_DEP_3)
	v_mul_hi_u32 v38, v36, v12
	v_mad_u64_u32 v[20:21], null, v35, v12, 0
	v_mad_u64_u32 v[18:19], null, v36, v37, 0
	;; [unrolled: 1-line block ×3, first 2 shown]
	s_delay_alu instid0(VALU_DEP_2) | instskip(NEXT) | instid1(VALU_DEP_3)
	v_add_co_u32 v18, vcc_lo, v38, v18
	v_add_co_ci_u32_e32 v19, vcc_lo, 0, v19, vcc_lo
	s_delay_alu instid0(VALU_DEP_2) | instskip(NEXT) | instid1(VALU_DEP_2)
	v_add_co_u32 v18, vcc_lo, v18, v20
	v_add_co_ci_u32_e32 v18, vcc_lo, v19, v21, vcc_lo
	v_add_co_ci_u32_e32 v13, vcc_lo, 0, v13, vcc_lo
	s_delay_alu instid0(VALU_DEP_2) | instskip(NEXT) | instid1(VALU_DEP_2)
	v_add_co_u32 v12, vcc_lo, v18, v12
	v_add_co_ci_u32_e32 v13, vcc_lo, 0, v13, vcc_lo
	s_delay_alu instid0(VALU_DEP_2) | instskip(NEXT) | instid1(VALU_DEP_2)
	v_add_co_u32 v36, vcc_lo, v36, v12
	v_add_co_ci_u32_e32 v35, vcc_lo, v35, v13, vcc_lo
	s_delay_alu instid0(VALU_DEP_2) | instskip(SKIP_1) | instid1(VALU_DEP_3)
	v_mul_lo_u32 v18, v34, v36
	v_mad_u64_u32 v[12:13], null, v33, v36, 0
	v_mul_lo_u32 v19, v33, v35
	s_delay_alu instid0(VALU_DEP_2) | instskip(SKIP_1) | instid1(VALU_DEP_3)
	v_mul_hi_u32 v34, v36, v12
	v_mad_u64_u32 v[20:21], null, v35, v12, 0
	v_add3_u32 v33, v13, v19, v18
	s_delay_alu instid0(VALU_DEP_1) | instskip(SKIP_2) | instid1(VALU_DEP_3)
	v_mad_u64_u32 v[18:19], null, v36, v33, 0
	v_mad_u64_u32 v[12:13], null, v35, v33, 0
	v_ashrrev_i32_e32 v33, 31, v9
	v_add_co_u32 v18, vcc_lo, v34, v18
	s_delay_alu instid0(VALU_DEP_4) | instskip(NEXT) | instid1(VALU_DEP_2)
	v_add_co_ci_u32_e32 v19, vcc_lo, 0, v19, vcc_lo
	v_add_co_u32 v18, vcc_lo, v18, v20
	s_delay_alu instid0(VALU_DEP_2) | instskip(SKIP_3) | instid1(VALU_DEP_4)
	v_add_co_ci_u32_e32 v18, vcc_lo, v19, v21, vcc_lo
	v_add_co_ci_u32_e32 v13, vcc_lo, 0, v13, vcc_lo
	v_add_co_u32 v8, vcc_lo, v8, v33
	v_add_co_ci_u32_e32 v9, vcc_lo, v9, v33, vcc_lo
	v_add_co_u32 v12, vcc_lo, v18, v12
	s_delay_alu instid0(VALU_DEP_4) | instskip(NEXT) | instid1(VALU_DEP_4)
	v_add_co_ci_u32_e32 v13, vcc_lo, 0, v13, vcc_lo
	v_xor_b32_e32 v20, v8, v33
	s_delay_alu instid0(VALU_DEP_3) | instskip(NEXT) | instid1(VALU_DEP_3)
	v_add_co_u32 v18, vcc_lo, v36, v12
	v_add_co_ci_u32_e32 v21, vcc_lo, v35, v13, vcc_lo
	v_xor_b32_e32 v34, v9, v33
	s_delay_alu instid0(VALU_DEP_3) | instskip(NEXT) | instid1(VALU_DEP_3)
	v_mul_hi_u32 v35, v20, v18
	v_mad_u64_u32 v[8:9], null, v20, v21, 0
	s_delay_alu instid0(VALU_DEP_3) | instskip(SKIP_1) | instid1(VALU_DEP_3)
	v_mad_u64_u32 v[12:13], null, v34, v18, 0
	v_mad_u64_u32 v[18:19], null, v34, v21, 0
	v_add_co_u32 v8, vcc_lo, v35, v8
	s_delay_alu instid0(VALU_DEP_4) | instskip(NEXT) | instid1(VALU_DEP_2)
	v_add_co_ci_u32_e32 v9, vcc_lo, 0, v9, vcc_lo
	v_add_co_u32 v8, vcc_lo, v8, v12
	s_delay_alu instid0(VALU_DEP_2) | instskip(SKIP_1) | instid1(VALU_DEP_2)
	v_add_co_ci_u32_e32 v8, vcc_lo, v9, v13, vcc_lo
	v_add_co_ci_u32_e32 v9, vcc_lo, 0, v19, vcc_lo
	v_add_co_u32 v12, vcc_lo, v8, v18
	s_delay_alu instid0(VALU_DEP_2) | instskip(NEXT) | instid1(VALU_DEP_2)
	v_add_co_ci_u32_e32 v13, vcc_lo, 0, v9, vcc_lo
	v_mul_lo_u32 v18, v25, v12
	v_mad_u64_u32 v[8:9], null, v23, v12, 0
	s_delay_alu instid0(VALU_DEP_3) | instskip(NEXT) | instid1(VALU_DEP_2)
	v_mul_lo_u32 v19, v23, v13
	v_sub_co_u32 v8, vcc_lo, v20, v8
	s_delay_alu instid0(VALU_DEP_2) | instskip(NEXT) | instid1(VALU_DEP_1)
	v_add3_u32 v9, v9, v19, v18
	v_sub_nc_u32_e32 v18, v34, v9
	s_delay_alu instid0(VALU_DEP_1) | instskip(SKIP_1) | instid1(VALU_DEP_1)
	v_sub_co_ci_u32_e64 v18, s0, v18, v25, vcc_lo
	v_add_co_u32 v19, s0, v12, 2
	v_add_co_ci_u32_e64 v20, s0, 0, v13, s0
	v_sub_co_u32 v21, s0, v8, v23
	v_sub_co_ci_u32_e32 v9, vcc_lo, v34, v9, vcc_lo
	v_subrev_co_ci_u32_e64 v18, s0, 0, v18, s0
	s_delay_alu instid0(VALU_DEP_3) | instskip(NEXT) | instid1(VALU_DEP_3)
	v_cmp_ge_u32_e32 vcc_lo, v21, v23
	v_cmp_eq_u32_e64 s0, v9, v25
	v_cndmask_b32_e64 v21, 0, -1, vcc_lo
	s_delay_alu instid0(VALU_DEP_4)
	v_cmp_ge_u32_e32 vcc_lo, v18, v25
	v_cndmask_b32_e64 v34, 0, -1, vcc_lo
	v_cmp_ge_u32_e32 vcc_lo, v8, v23
	v_cndmask_b32_e64 v8, 0, -1, vcc_lo
	;; [unrolled: 2-line block ×3, first 2 shown]
	v_cmp_eq_u32_e32 vcc_lo, v18, v25
	s_delay_alu instid0(VALU_DEP_2) | instskip(SKIP_3) | instid1(VALU_DEP_3)
	v_cndmask_b32_e64 v8, v23, v8, s0
	v_cndmask_b32_e32 v18, v34, v21, vcc_lo
	v_add_co_u32 v21, vcc_lo, v12, 1
	v_add_co_ci_u32_e32 v34, vcc_lo, 0, v13, vcc_lo
	v_cmp_ne_u32_e32 vcc_lo, 0, v18
	s_delay_alu instid0(VALU_DEP_2) | instskip(SKIP_2) | instid1(VALU_DEP_3)
	v_dual_cndmask_b32 v9, v34, v20 :: v_dual_cndmask_b32 v18, v21, v19
	v_cmp_ne_u32_e32 vcc_lo, 0, v8
	v_xor_b32_e32 v8, v33, v22
	v_dual_cndmask_b32 v12, v12, v18 :: v_dual_cndmask_b32 v9, v13, v9
	s_delay_alu instid0(VALU_DEP_1) | instskip(NEXT) | instid1(VALU_DEP_2)
	v_xor_b32_e32 v12, v12, v8
	v_xor_b32_e32 v9, v9, v8
	s_delay_alu instid0(VALU_DEP_2) | instskip(NEXT) | instid1(VALU_DEP_2)
	v_sub_co_u32 v18, vcc_lo, v12, v8
	v_sub_co_ci_u32_e32 v19, vcc_lo, v9, v8, vcc_lo
.LBB69_59:                              ;   in Loop: Header=BB69_49 Depth=1
	s_and_not1_saveexec_b32 s0, s4
	s_cbranch_execz .LBB69_61
; %bb.60:                               ;   in Loop: Header=BB69_49 Depth=1
	v_cvt_f32_u32_e32 v9, v12
	v_sub_nc_u32_e32 v13, 0, v12
	v_mov_b32_e32 v19, v24
	s_delay_alu instid0(VALU_DEP_3) | instskip(SKIP_2) | instid1(VALU_DEP_1)
	v_rcp_iflag_f32_e32 v9, v9
	s_waitcnt_depctr 0xfff
	v_mul_f32_e32 v9, 0x4f7ffffe, v9
	v_cvt_u32_f32_e32 v9, v9
	s_delay_alu instid0(VALU_DEP_1) | instskip(NEXT) | instid1(VALU_DEP_1)
	v_mul_lo_u32 v13, v13, v9
	v_mul_hi_u32 v13, v9, v13
	s_delay_alu instid0(VALU_DEP_1) | instskip(NEXT) | instid1(VALU_DEP_1)
	v_add_nc_u32_e32 v9, v9, v13
	v_mul_hi_u32 v9, v8, v9
	s_delay_alu instid0(VALU_DEP_1) | instskip(NEXT) | instid1(VALU_DEP_1)
	v_mul_lo_u32 v13, v9, v12
	v_sub_nc_u32_e32 v8, v8, v13
	v_add_nc_u32_e32 v13, 1, v9
	s_delay_alu instid0(VALU_DEP_2) | instskip(SKIP_1) | instid1(VALU_DEP_2)
	v_sub_nc_u32_e32 v18, v8, v12
	v_cmp_ge_u32_e32 vcc_lo, v8, v12
	v_dual_cndmask_b32 v8, v8, v18 :: v_dual_cndmask_b32 v9, v9, v13
	s_delay_alu instid0(VALU_DEP_1) | instskip(NEXT) | instid1(VALU_DEP_2)
	v_cmp_ge_u32_e32 vcc_lo, v8, v12
	v_add_nc_u32_e32 v13, 1, v9
	s_delay_alu instid0(VALU_DEP_1)
	v_cndmask_b32_e32 v18, v9, v13, vcc_lo
.LBB69_61:                              ;   in Loop: Header=BB69_49 Depth=1
	s_or_b32 exec_lo, exec_lo, s0
	v_or_b32_e32 v25, v11, v15
                                        ; implicit-def: $vgpr8_vgpr9
	s_mov_b32 s0, exec_lo
	s_delay_alu instid0(VALU_DEP_1)
	v_cmpx_ne_u64_e32 0, v[24:25]
	s_xor_b32 s4, exec_lo, s0
	s_cbranch_execz .LBB69_63
; %bb.62:                               ;   in Loop: Header=BB69_49 Depth=1
	v_ashrrev_i32_e32 v20, 31, v15
	s_delay_alu instid0(VALU_DEP_1) | instskip(SKIP_1) | instid1(VALU_DEP_2)
	v_add_co_u32 v8, vcc_lo, v14, v20
	v_add_co_ci_u32_e32 v9, vcc_lo, v15, v20, vcc_lo
	v_xor_b32_e32 v21, v8, v20
	s_delay_alu instid0(VALU_DEP_2) | instskip(NEXT) | instid1(VALU_DEP_2)
	v_xor_b32_e32 v22, v9, v20
	v_cvt_f32_u32_e32 v8, v21
	v_sub_co_u32 v23, vcc_lo, 0, v21
	s_delay_alu instid0(VALU_DEP_3) | instskip(SKIP_1) | instid1(VALU_DEP_2)
	v_cvt_f32_u32_e32 v9, v22
	v_sub_co_ci_u32_e32 v25, vcc_lo, 0, v22, vcc_lo
	v_fmac_f32_e32 v8, 0x4f800000, v9
	s_delay_alu instid0(VALU_DEP_1) | instskip(SKIP_2) | instid1(VALU_DEP_1)
	v_rcp_f32_e32 v8, v8
	s_waitcnt_depctr 0xfff
	v_mul_f32_e32 v8, 0x5f7ffffc, v8
	v_mul_f32_e32 v9, 0x2f800000, v8
	s_delay_alu instid0(VALU_DEP_1) | instskip(NEXT) | instid1(VALU_DEP_1)
	v_trunc_f32_e32 v9, v9
	v_fmac_f32_e32 v8, 0xcf800000, v9
	v_cvt_u32_f32_e32 v33, v9
	s_delay_alu instid0(VALU_DEP_2) | instskip(NEXT) | instid1(VALU_DEP_2)
	v_cvt_u32_f32_e32 v34, v8
	v_mul_lo_u32 v12, v23, v33
	s_delay_alu instid0(VALU_DEP_2) | instskip(SKIP_1) | instid1(VALU_DEP_1)
	v_mul_lo_u32 v13, v25, v34
	v_mad_u64_u32 v[8:9], null, v23, v34, 0
	v_add3_u32 v35, v9, v12, v13
	s_delay_alu instid0(VALU_DEP_2) | instskip(SKIP_1) | instid1(VALU_DEP_3)
	v_mul_hi_u32 v36, v34, v8
	v_mad_u64_u32 v[14:15], null, v33, v8, 0
	v_mad_u64_u32 v[12:13], null, v34, v35, 0
	;; [unrolled: 1-line block ×3, first 2 shown]
	s_delay_alu instid0(VALU_DEP_2) | instskip(NEXT) | instid1(VALU_DEP_3)
	v_add_co_u32 v12, vcc_lo, v36, v12
	v_add_co_ci_u32_e32 v13, vcc_lo, 0, v13, vcc_lo
	s_delay_alu instid0(VALU_DEP_2) | instskip(NEXT) | instid1(VALU_DEP_2)
	v_add_co_u32 v12, vcc_lo, v12, v14
	v_add_co_ci_u32_e32 v12, vcc_lo, v13, v15, vcc_lo
	v_add_co_ci_u32_e32 v9, vcc_lo, 0, v9, vcc_lo
	s_delay_alu instid0(VALU_DEP_2) | instskip(NEXT) | instid1(VALU_DEP_2)
	v_add_co_u32 v8, vcc_lo, v12, v8
	v_add_co_ci_u32_e32 v9, vcc_lo, 0, v9, vcc_lo
	s_delay_alu instid0(VALU_DEP_2) | instskip(NEXT) | instid1(VALU_DEP_2)
	v_add_co_u32 v34, vcc_lo, v34, v8
	v_add_co_ci_u32_e32 v33, vcc_lo, v33, v9, vcc_lo
	s_delay_alu instid0(VALU_DEP_2) | instskip(SKIP_1) | instid1(VALU_DEP_3)
	v_mul_lo_u32 v12, v25, v34
	v_mad_u64_u32 v[8:9], null, v23, v34, 0
	v_mul_lo_u32 v13, v23, v33
	s_delay_alu instid0(VALU_DEP_2) | instskip(SKIP_1) | instid1(VALU_DEP_3)
	v_mul_hi_u32 v25, v34, v8
	v_mad_u64_u32 v[14:15], null, v33, v8, 0
	v_add3_u32 v23, v9, v13, v12
	s_delay_alu instid0(VALU_DEP_1) | instskip(SKIP_2) | instid1(VALU_DEP_3)
	v_mad_u64_u32 v[12:13], null, v34, v23, 0
	v_mad_u64_u32 v[8:9], null, v33, v23, 0
	v_ashrrev_i32_e32 v23, 31, v11
	v_add_co_u32 v12, vcc_lo, v25, v12
	s_delay_alu instid0(VALU_DEP_4) | instskip(NEXT) | instid1(VALU_DEP_2)
	v_add_co_ci_u32_e32 v13, vcc_lo, 0, v13, vcc_lo
	v_add_co_u32 v12, vcc_lo, v12, v14
	s_delay_alu instid0(VALU_DEP_2) | instskip(SKIP_3) | instid1(VALU_DEP_4)
	v_add_co_ci_u32_e32 v12, vcc_lo, v13, v15, vcc_lo
	v_add_co_ci_u32_e32 v9, vcc_lo, 0, v9, vcc_lo
	v_add_co_u32 v10, vcc_lo, v10, v23
	v_add_co_ci_u32_e32 v11, vcc_lo, v11, v23, vcc_lo
	v_add_co_u32 v8, vcc_lo, v12, v8
	s_delay_alu instid0(VALU_DEP_4) | instskip(NEXT) | instid1(VALU_DEP_4)
	v_add_co_ci_u32_e32 v9, vcc_lo, 0, v9, vcc_lo
	v_xor_b32_e32 v14, v10, v23
	s_delay_alu instid0(VALU_DEP_3) | instskip(NEXT) | instid1(VALU_DEP_3)
	v_add_co_u32 v12, vcc_lo, v34, v8
	v_add_co_ci_u32_e32 v15, vcc_lo, v33, v9, vcc_lo
	v_xor_b32_e32 v25, v11, v23
	s_delay_alu instid0(VALU_DEP_3) | instskip(NEXT) | instid1(VALU_DEP_3)
	v_mul_hi_u32 v33, v14, v12
	v_mad_u64_u32 v[8:9], null, v14, v15, 0
	s_delay_alu instid0(VALU_DEP_3) | instskip(SKIP_1) | instid1(VALU_DEP_3)
	v_mad_u64_u32 v[10:11], null, v25, v12, 0
	v_mad_u64_u32 v[12:13], null, v25, v15, 0
	v_add_co_u32 v8, vcc_lo, v33, v8
	s_delay_alu instid0(VALU_DEP_4) | instskip(NEXT) | instid1(VALU_DEP_2)
	v_add_co_ci_u32_e32 v9, vcc_lo, 0, v9, vcc_lo
	v_add_co_u32 v8, vcc_lo, v8, v10
	s_delay_alu instid0(VALU_DEP_2) | instskip(SKIP_1) | instid1(VALU_DEP_2)
	v_add_co_ci_u32_e32 v8, vcc_lo, v9, v11, vcc_lo
	v_add_co_ci_u32_e32 v9, vcc_lo, 0, v13, vcc_lo
	v_add_co_u32 v10, vcc_lo, v8, v12
	s_delay_alu instid0(VALU_DEP_2) | instskip(NEXT) | instid1(VALU_DEP_2)
	v_add_co_ci_u32_e32 v11, vcc_lo, 0, v9, vcc_lo
	v_mul_lo_u32 v12, v22, v10
	v_mad_u64_u32 v[8:9], null, v21, v10, 0
	s_delay_alu instid0(VALU_DEP_3) | instskip(NEXT) | instid1(VALU_DEP_2)
	v_mul_lo_u32 v13, v21, v11
	v_sub_co_u32 v8, vcc_lo, v14, v8
	s_delay_alu instid0(VALU_DEP_2) | instskip(NEXT) | instid1(VALU_DEP_1)
	v_add3_u32 v9, v9, v13, v12
	v_sub_nc_u32_e32 v12, v25, v9
	s_delay_alu instid0(VALU_DEP_1) | instskip(SKIP_1) | instid1(VALU_DEP_1)
	v_sub_co_ci_u32_e64 v12, s0, v12, v22, vcc_lo
	v_add_co_u32 v13, s0, v10, 2
	v_add_co_ci_u32_e64 v14, s0, 0, v11, s0
	v_sub_co_u32 v15, s0, v8, v21
	v_sub_co_ci_u32_e32 v9, vcc_lo, v25, v9, vcc_lo
	v_subrev_co_ci_u32_e64 v12, s0, 0, v12, s0
	s_delay_alu instid0(VALU_DEP_3) | instskip(NEXT) | instid1(VALU_DEP_3)
	v_cmp_ge_u32_e32 vcc_lo, v15, v21
	v_cmp_eq_u32_e64 s0, v9, v22
	v_cndmask_b32_e64 v15, 0, -1, vcc_lo
	s_delay_alu instid0(VALU_DEP_4)
	v_cmp_ge_u32_e32 vcc_lo, v12, v22
	v_cndmask_b32_e64 v25, 0, -1, vcc_lo
	v_cmp_ge_u32_e32 vcc_lo, v8, v21
	v_cndmask_b32_e64 v8, 0, -1, vcc_lo
	v_cmp_ge_u32_e32 vcc_lo, v9, v22
	v_cndmask_b32_e64 v21, 0, -1, vcc_lo
	v_cmp_eq_u32_e32 vcc_lo, v12, v22
	s_delay_alu instid0(VALU_DEP_2) | instskip(SKIP_3) | instid1(VALU_DEP_3)
	v_cndmask_b32_e64 v8, v21, v8, s0
	v_cndmask_b32_e32 v12, v25, v15, vcc_lo
	v_add_co_u32 v15, vcc_lo, v10, 1
	v_add_co_ci_u32_e32 v25, vcc_lo, 0, v11, vcc_lo
	v_cmp_ne_u32_e32 vcc_lo, 0, v12
	s_delay_alu instid0(VALU_DEP_2) | instskip(SKIP_2) | instid1(VALU_DEP_3)
	v_dual_cndmask_b32 v9, v25, v14 :: v_dual_cndmask_b32 v12, v15, v13
	v_cmp_ne_u32_e32 vcc_lo, 0, v8
	v_xor_b32_e32 v13, v23, v20
                                        ; implicit-def: $vgpr14_vgpr15
	v_dual_cndmask_b32 v8, v11, v9 :: v_dual_cndmask_b32 v9, v10, v12
	s_delay_alu instid0(VALU_DEP_1) | instskip(NEXT) | instid1(VALU_DEP_2)
	v_xor_b32_e32 v10, v8, v13
	v_xor_b32_e32 v9, v9, v13
	s_delay_alu instid0(VALU_DEP_1) | instskip(NEXT) | instid1(VALU_DEP_3)
	v_sub_co_u32 v8, vcc_lo, v9, v13
	v_sub_co_ci_u32_e32 v9, vcc_lo, v10, v13, vcc_lo
                                        ; implicit-def: $vgpr10_vgpr11
.LBB69_63:                              ;   in Loop: Header=BB69_49 Depth=1
	s_and_not1_saveexec_b32 s0, s4
	s_cbranch_execz .LBB69_48
; %bb.64:                               ;   in Loop: Header=BB69_49 Depth=1
	v_cvt_f32_u32_e32 v8, v14
	v_sub_nc_u32_e32 v9, 0, v14
	s_delay_alu instid0(VALU_DEP_2) | instskip(SKIP_2) | instid1(VALU_DEP_1)
	v_rcp_iflag_f32_e32 v8, v8
	s_waitcnt_depctr 0xfff
	v_mul_f32_e32 v8, 0x4f7ffffe, v8
	v_cvt_u32_f32_e32 v8, v8
	s_delay_alu instid0(VALU_DEP_1) | instskip(NEXT) | instid1(VALU_DEP_1)
	v_mul_lo_u32 v9, v9, v8
	v_mul_hi_u32 v9, v8, v9
	s_delay_alu instid0(VALU_DEP_1) | instskip(NEXT) | instid1(VALU_DEP_1)
	v_add_nc_u32_e32 v8, v8, v9
	v_mul_hi_u32 v8, v10, v8
	s_delay_alu instid0(VALU_DEP_1) | instskip(NEXT) | instid1(VALU_DEP_1)
	v_mul_lo_u32 v9, v8, v14
	v_sub_nc_u32_e32 v9, v10, v9
	v_add_nc_u32_e32 v10, 1, v8
	s_delay_alu instid0(VALU_DEP_2) | instskip(SKIP_1) | instid1(VALU_DEP_2)
	v_sub_nc_u32_e32 v11, v9, v14
	v_cmp_ge_u32_e32 vcc_lo, v9, v14
	v_dual_cndmask_b32 v9, v9, v11 :: v_dual_cndmask_b32 v8, v8, v10
	s_delay_alu instid0(VALU_DEP_1) | instskip(NEXT) | instid1(VALU_DEP_2)
	v_cmp_ge_u32_e32 vcc_lo, v9, v14
	v_dual_mov_b32 v9, v24 :: v_dual_add_nc_u32 v10, 1, v8
	s_delay_alu instid0(VALU_DEP_1)
	v_cndmask_b32_e32 v8, v8, v10, vcc_lo
	s_branch .LBB69_48
.LBB69_65:
	s_nop 0
	s_sendmsg sendmsg(MSG_DEALLOC_VGPRS)
	s_endpgm
	.section	.rodata,"a",@progbits
	.p2align	6, 0x0
	.amdhsa_kernel _ZN2at6native12_GLOBAL__N_125multi_tensor_apply_kernelINS1_18TensorListMetadataILi3EEENS1_24PointwiseOpScalarFunctorIlLi3ELi3ELi0EEEJSt7dividesIlElEEEvT_T0_DpT1_
		.amdhsa_group_segment_fixed_size 0
		.amdhsa_private_segment_fixed_size 0
		.amdhsa_kernarg_size 3416
		.amdhsa_user_sgpr_count 15
		.amdhsa_user_sgpr_dispatch_ptr 0
		.amdhsa_user_sgpr_queue_ptr 0
		.amdhsa_user_sgpr_kernarg_segment_ptr 1
		.amdhsa_user_sgpr_dispatch_id 0
		.amdhsa_user_sgpr_private_segment_size 0
		.amdhsa_wavefront_size32 1
		.amdhsa_uses_dynamic_stack 0
		.amdhsa_enable_private_segment 0
		.amdhsa_system_sgpr_workgroup_id_x 1
		.amdhsa_system_sgpr_workgroup_id_y 0
		.amdhsa_system_sgpr_workgroup_id_z 0
		.amdhsa_system_sgpr_workgroup_info 0
		.amdhsa_system_vgpr_workitem_id 0
		.amdhsa_next_free_vgpr 69
		.amdhsa_next_free_sgpr 26
		.amdhsa_reserve_vcc 1
		.amdhsa_float_round_mode_32 0
		.amdhsa_float_round_mode_16_64 0
		.amdhsa_float_denorm_mode_32 3
		.amdhsa_float_denorm_mode_16_64 3
		.amdhsa_dx10_clamp 1
		.amdhsa_ieee_mode 1
		.amdhsa_fp16_overflow 0
		.amdhsa_workgroup_processor_mode 1
		.amdhsa_memory_ordered 1
		.amdhsa_forward_progress 0
		.amdhsa_shared_vgpr_count 0
		.amdhsa_exception_fp_ieee_invalid_op 0
		.amdhsa_exception_fp_denorm_src 0
		.amdhsa_exception_fp_ieee_div_zero 0
		.amdhsa_exception_fp_ieee_overflow 0
		.amdhsa_exception_fp_ieee_underflow 0
		.amdhsa_exception_fp_ieee_inexact 0
		.amdhsa_exception_int_div_zero 0
	.end_amdhsa_kernel
	.section	.text._ZN2at6native12_GLOBAL__N_125multi_tensor_apply_kernelINS1_18TensorListMetadataILi3EEENS1_24PointwiseOpScalarFunctorIlLi3ELi3ELi0EEEJSt7dividesIlElEEEvT_T0_DpT1_,"axG",@progbits,_ZN2at6native12_GLOBAL__N_125multi_tensor_apply_kernelINS1_18TensorListMetadataILi3EEENS1_24PointwiseOpScalarFunctorIlLi3ELi3ELi0EEEJSt7dividesIlElEEEvT_T0_DpT1_,comdat
.Lfunc_end69:
	.size	_ZN2at6native12_GLOBAL__N_125multi_tensor_apply_kernelINS1_18TensorListMetadataILi3EEENS1_24PointwiseOpScalarFunctorIlLi3ELi3ELi0EEEJSt7dividesIlElEEEvT_T0_DpT1_, .Lfunc_end69-_ZN2at6native12_GLOBAL__N_125multi_tensor_apply_kernelINS1_18TensorListMetadataILi3EEENS1_24PointwiseOpScalarFunctorIlLi3ELi3ELi0EEEJSt7dividesIlElEEEvT_T0_DpT1_
                                        ; -- End function
	.section	.AMDGPU.csdata,"",@progbits
; Kernel info:
; codeLenInByte = 9716
; NumSgprs: 28
; NumVgprs: 69
; ScratchSize: 0
; MemoryBound: 1
; FloatMode: 240
; IeeeMode: 1
; LDSByteSize: 0 bytes/workgroup (compile time only)
; SGPRBlocks: 3
; VGPRBlocks: 8
; NumSGPRsForWavesPerEU: 28
; NumVGPRsForWavesPerEU: 69
; Occupancy: 16
; WaveLimiterHint : 0
; COMPUTE_PGM_RSRC2:SCRATCH_EN: 0
; COMPUTE_PGM_RSRC2:USER_SGPR: 15
; COMPUTE_PGM_RSRC2:TRAP_HANDLER: 0
; COMPUTE_PGM_RSRC2:TGID_X_EN: 1
; COMPUTE_PGM_RSRC2:TGID_Y_EN: 0
; COMPUTE_PGM_RSRC2:TGID_Z_EN: 0
; COMPUTE_PGM_RSRC2:TIDIG_COMP_CNT: 0
	.section	.text._ZN2at6native12_GLOBAL__N_125multi_tensor_apply_kernelINS1_18TensorListMetadataILi3EEENS1_24PointwiseOpScalarFunctorIsLi3ELi3ELi0EEEJSt7dividesIsEsEEEvT_T0_DpT1_,"axG",@progbits,_ZN2at6native12_GLOBAL__N_125multi_tensor_apply_kernelINS1_18TensorListMetadataILi3EEENS1_24PointwiseOpScalarFunctorIsLi3ELi3ELi0EEEJSt7dividesIsEsEEEvT_T0_DpT1_,comdat
	.globl	_ZN2at6native12_GLOBAL__N_125multi_tensor_apply_kernelINS1_18TensorListMetadataILi3EEENS1_24PointwiseOpScalarFunctorIsLi3ELi3ELi0EEEJSt7dividesIsEsEEEvT_T0_DpT1_ ; -- Begin function _ZN2at6native12_GLOBAL__N_125multi_tensor_apply_kernelINS1_18TensorListMetadataILi3EEENS1_24PointwiseOpScalarFunctorIsLi3ELi3ELi0EEEJSt7dividesIsEsEEEvT_T0_DpT1_
	.p2align	8
	.type	_ZN2at6native12_GLOBAL__N_125multi_tensor_apply_kernelINS1_18TensorListMetadataILi3EEENS1_24PointwiseOpScalarFunctorIsLi3ELi3ELi0EEEJSt7dividesIsEsEEEvT_T0_DpT1_,@function
_ZN2at6native12_GLOBAL__N_125multi_tensor_apply_kernelINS1_18TensorListMetadataILi3EEENS1_24PointwiseOpScalarFunctorIsLi3ELi3ELi0EEEJSt7dividesIsEsEEEvT_T0_DpT1_: ; @_ZN2at6native12_GLOBAL__N_125multi_tensor_apply_kernelINS1_18TensorListMetadataILi3EEENS1_24PointwiseOpScalarFunctorIsLi3ELi3ELi0EEEJSt7dividesIsEsEEEvT_T0_DpT1_
; %bb.0:
	v_mov_b32_e32 v1, s15
	s_mul_i32 s4, s15, 3
	s_mul_hi_u32 s3, s15, 3
	s_mov_b32 s17, 0
	s_load_b32 s2, s[0:1], 0xc48
	global_load_u8 v1, v1, s[0:1] offset:1536
	s_waitcnt lgkmcnt(0)
	s_lshr_b32 s20, s2, 16
	s_add_u32 s2, s0, s15
	s_addc_u32 s5, s1, 0
	s_add_u32 s2, s2, s4
	s_addc_u32 s3, s5, s3
	s_load_b32 s2, s[2:3], 0x740
	s_waitcnt vmcnt(0)
	v_readfirstlane_b32 s4, v1
	s_delay_alu instid0(VALU_DEP_1)
	s_lshl_b32 s3, s4, 3
	s_clause 0x3
	s_load_b64 s[6:7], s[0:1], s3 offset:0x180
	s_load_b64 s[8:9], s[0:1], s3 offset:0x300
	s_load_b64 s[10:11], s[0:1], s3 offset:0x0
	s_load_b64 s[4:5], s[0:1], s3 offset:0x480
	s_waitcnt lgkmcnt(0)
	s_ashr_i32 s3, s2, 31
	s_delay_alu instid0(SALU_CYCLE_1) | instskip(NEXT) | instid1(SALU_CYCLE_1)
	s_lshl_b64 s[14:15], s[2:3], 17
	s_add_u32 s12, s6, s14
	s_delay_alu instid0(SALU_CYCLE_1) | instskip(SKIP_2) | instid1(SALU_CYCLE_1)
	s_or_b32 s12, s8, s12
	s_and_b32 s16, s10, 7
	s_and_b32 s12, s12, 7
	s_cmp_eq_u32 s12, 0
	s_cselect_b32 s18, -1, 0
	s_lshl_b64 s[2:3], s[2:3], 16
	s_delay_alu instid0(SALU_CYCLE_1) | instskip(SKIP_3) | instid1(SALU_CYCLE_1)
	s_sub_u32 s12, s4, s2
	s_subb_u32 s13, s5, s3
	s_and_b32 s2, s4, 3
	s_mov_b32 s3, s17
	s_or_b64 s[2:3], s[16:17], s[2:3]
	s_delay_alu instid0(SALU_CYCLE_1) | instskip(SKIP_1) | instid1(SALU_CYCLE_1)
	s_cmp_eq_u64 s[2:3], 0
	s_cselect_b32 s2, -1, 0
	s_and_b32 s2, s18, s2
	s_delay_alu instid0(SALU_CYCLE_1)
	s_and_b32 vcc_lo, exec_lo, s2
	s_mov_b32 s2, -1
	s_cbranch_vccnz .LBB70_29
; %bb.1:
	v_cmp_lt_i64_e64 s2, s[12:13], 1
	s_delay_alu instid0(VALU_DEP_1)
	s_and_b32 vcc_lo, exec_lo, s2
	s_cbranch_vccnz .LBB70_28
; %bb.2:
	s_load_b32 s2, s[0:1], 0xc5c
	v_dual_mov_b32 v14, 0 :: v_dual_lshlrev_b32 v13, 1, v0
	v_cmp_gt_u64_e64 s3, 0x10000, s[12:13]
	s_mov_b64 s[18:19], 0
	s_delay_alu instid0(VALU_DEP_2) | instskip(NEXT) | instid1(VALU_DEP_1)
	v_add_co_u32 v1, s4, s10, v13
	v_add_co_ci_u32_e64 v2, null, s11, 0, s4
	v_add_co_u32 v3, s4, s6, v13
	s_delay_alu instid0(VALU_DEP_1) | instskip(SKIP_1) | instid1(VALU_DEP_1)
	v_add_co_ci_u32_e64 v4, null, s7, 0, s4
	v_add_co_u32 v5, s4, s8, v13
	v_add_co_ci_u32_e64 v6, null, s9, 0, s4
	s_waitcnt lgkmcnt(0)
	s_and_b32 s2, s2, 0xffff
	s_and_b32 s3, s3, exec_lo
	v_mad_u64_u32 v[11:12], null, s2, 6, v[13:14]
	s_cselect_b32 s17, s13, 0
	s_cselect_b32 s16, s12, 0x10000
	s_mul_i32 s4, s2, 3
	s_lshl_b32 s21, s2, 2
	s_lshl_b32 s3, s2, 1
	v_add_co_u32 v20, s5, s21, v13
	v_add_co_u32 v13, s4, s4, v0
	v_add_co_u32 v7, vcc_lo, s10, v11
	v_add_co_ci_u32_e64 v14, null, 0, 0, s4
	v_add_co_u32 v19, s4, v0, s2
	v_add_co_ci_u32_e32 v8, vcc_lo, s11, v12, vcc_lo
	v_add_co_u32 v9, vcc_lo, s6, v11
	v_add_co_ci_u32_e32 v10, vcc_lo, s7, v12, vcc_lo
	v_add_co_u32 v11, vcc_lo, s8, v11
	v_add_co_ci_u32_e64 v21, null, 0, 0, s5
	v_lshlrev_b32_e32 v29, 1, v19
	v_add_co_ci_u32_e32 v12, vcc_lo, s9, v12, vcc_lo
	v_add_co_u32 v15, vcc_lo, s10, v20
	v_add_co_u32 v23, s3, s3, v0
	v_add_co_ci_u32_e32 v16, vcc_lo, s11, v21, vcc_lo
	v_add_co_ci_u32_e64 v24, null, 0, 0, s3
	v_add_co_u32 v25, s3, s10, v29
	v_add_co_u32 v17, vcc_lo, s6, v20
	v_add_co_ci_u32_e64 v26, null, s11, 0, s3
	v_add_co_u32 v27, s3, s6, v29
	v_add_co_ci_u32_e32 v18, vcc_lo, s7, v21, vcc_lo
	v_add_co_u32 v20, vcc_lo, s8, v20
	v_add_co_ci_u32_e64 v28, null, s7, 0, s3
	v_add_co_u32 v29, s3, s8, v29
	v_add_co_ci_u32_e32 v21, vcc_lo, s9, v21, vcc_lo
	v_add_co_ci_u32_e64 v22, null, 0, 0, s4
	v_add_co_ci_u32_e64 v30, null, s9, 0, s3
	s_lshl_b32 s22, s2, 3
	s_branch .LBB70_4
.LBB70_3:                               ;   in Loop: Header=BB70_4 Depth=1
	s_or_b32 exec_lo, exec_lo, s2
	v_add_co_u32 v1, vcc_lo, v1, s22
	v_add_co_ci_u32_e32 v2, vcc_lo, 0, v2, vcc_lo
	v_add_co_u32 v3, vcc_lo, v3, s22
	v_add_co_ci_u32_e32 v4, vcc_lo, 0, v4, vcc_lo
	;; [unrolled: 2-line block ×9, first 2 shown]
	s_add_u32 s18, s18, s21
	v_add_co_u32 v25, vcc_lo, v25, s22
	s_addc_u32 s19, s19, 0
	v_add_co_ci_u32_e32 v26, vcc_lo, 0, v26, vcc_lo
	v_cmp_lt_i64_e64 s2, s[18:19], s[12:13]
	v_cmp_gt_u64_e64 s3, 0x10000, s[18:19]
	v_add_co_u32 v27, vcc_lo, v27, s22
	v_add_co_ci_u32_e32 v28, vcc_lo, 0, v28, vcc_lo
	v_add_co_u32 v29, vcc_lo, v29, s22
	v_add_co_ci_u32_e32 v30, vcc_lo, 0, v30, vcc_lo
	s_and_b32 s2, s2, s3
	s_delay_alu instid0(SALU_CYCLE_1)
	s_and_b32 vcc_lo, exec_lo, s2
	s_cbranch_vccz .LBB70_28
.LBB70_4:                               ; =>This Inner Loop Header: Depth=1
	s_waitcnt vmcnt(1)
	v_add_co_u32 v31, s2, v0, s18
	s_delay_alu instid0(VALU_DEP_1) | instskip(SKIP_2) | instid1(VALU_DEP_2)
	v_add_co_ci_u32_e64 v32, null, 0, s19, s2
	s_waitcnt vmcnt(0)
	v_mov_b32_e32 v34, 0
	v_cmp_gt_u64_e32 vcc_lo, s[16:17], v[31:32]
	v_mov_b32_e32 v32, 0
	s_and_saveexec_b32 s3, vcc_lo
	s_cbranch_execz .LBB70_6
; %bb.5:                                ;   in Loop: Header=BB70_4 Depth=1
	v_add_co_u32 v31, s2, v1, s14
	s_delay_alu instid0(VALU_DEP_1) | instskip(SKIP_1) | instid1(VALU_DEP_1)
	v_add_co_ci_u32_e64 v32, s2, s15, v2, s2
	v_add_co_u32 v33, s2, v3, s14
	v_add_co_ci_u32_e64 v34, s2, s15, v4, s2
	global_load_u16 v32, v[31:32], off
	global_load_u16 v34, v[33:34], off
.LBB70_6:                               ;   in Loop: Header=BB70_4 Depth=1
	s_or_b32 exec_lo, exec_lo, s3
	v_mov_b32_e32 v31, 0
	v_mov_b32_e32 v37, 0
	s_and_saveexec_b32 s3, vcc_lo
	s_cbranch_execz .LBB70_8
; %bb.7:                                ;   in Loop: Header=BB70_4 Depth=1
	v_add_co_u32 v35, s2, v5, s14
	s_delay_alu instid0(VALU_DEP_1)
	v_add_co_ci_u32_e64 v36, s2, s15, v6, s2
	global_load_u16 v37, v[35:36], off
.LBB70_8:                               ;   in Loop: Header=BB70_4 Depth=1
	s_or_b32 exec_lo, exec_lo, s3
	v_add_co_u32 v35, s2, v19, s18
	s_delay_alu instid0(VALU_DEP_1) | instskip(NEXT) | instid1(VALU_DEP_1)
	v_add_co_ci_u32_e64 v36, s2, s19, v22, s2
	v_cmp_gt_u64_e64 s2, s[16:17], v[35:36]
	v_mov_b32_e32 v36, 0
	s_delay_alu instid0(VALU_DEP_2)
	s_and_saveexec_b32 s4, s2
	s_cbranch_execz .LBB70_10
; %bb.9:                                ;   in Loop: Header=BB70_4 Depth=1
	v_add_co_u32 v35, s3, v25, s14
	s_delay_alu instid0(VALU_DEP_1) | instskip(SKIP_1) | instid1(VALU_DEP_1)
	v_add_co_ci_u32_e64 v36, s3, s15, v26, s3
	v_add_co_u32 v38, s3, v27, s14
	v_add_co_ci_u32_e64 v39, s3, s15, v28, s3
	global_load_u16 v31, v[35:36], off
	global_load_u16 v36, v[38:39], off
.LBB70_10:                              ;   in Loop: Header=BB70_4 Depth=1
	s_or_b32 exec_lo, exec_lo, s4
	v_mov_b32_e32 v33, 0
	v_mov_b32_e32 v39, 0
	s_and_saveexec_b32 s4, s2
	s_cbranch_execz .LBB70_12
; %bb.11:                               ;   in Loop: Header=BB70_4 Depth=1
	v_add_co_u32 v38, s3, v29, s14
	s_delay_alu instid0(VALU_DEP_1)
	v_add_co_ci_u32_e64 v39, s3, s15, v30, s3
	global_load_u16 v39, v[38:39], off
.LBB70_12:                              ;   in Loop: Header=BB70_4 Depth=1
	s_or_b32 exec_lo, exec_lo, s4
	v_add_co_u32 v40, s3, v23, s18
	s_delay_alu instid0(VALU_DEP_1) | instskip(SKIP_1) | instid1(VALU_DEP_2)
	v_add_co_ci_u32_e64 v41, s3, s19, v24, s3
	v_mov_b32_e32 v38, 0
	v_cmp_gt_u64_e64 s3, s[16:17], v[40:41]
	s_delay_alu instid0(VALU_DEP_1)
	s_and_saveexec_b32 s5, s3
	s_cbranch_execz .LBB70_14
; %bb.13:                               ;   in Loop: Header=BB70_4 Depth=1
	v_add_co_u32 v40, s4, v15, s14
	s_delay_alu instid0(VALU_DEP_1) | instskip(SKIP_1) | instid1(VALU_DEP_1)
	v_add_co_ci_u32_e64 v41, s4, s15, v16, s4
	v_add_co_u32 v42, s4, v17, s14
	v_add_co_ci_u32_e64 v43, s4, s15, v18, s4
	global_load_u16 v33, v[40:41], off
	global_load_u16 v38, v[42:43], off
.LBB70_14:                              ;   in Loop: Header=BB70_4 Depth=1
	s_or_b32 exec_lo, exec_lo, s5
	v_mov_b32_e32 v35, 0
	v_mov_b32_e32 v41, 0
	s_and_saveexec_b32 s5, s3
	s_cbranch_execz .LBB70_16
; %bb.15:                               ;   in Loop: Header=BB70_4 Depth=1
	v_add_co_u32 v40, s4, v20, s14
	s_delay_alu instid0(VALU_DEP_1)
	v_add_co_ci_u32_e64 v41, s4, s15, v21, s4
	global_load_u16 v41, v[40:41], off
.LBB70_16:                              ;   in Loop: Header=BB70_4 Depth=1
	s_or_b32 exec_lo, exec_lo, s5
	v_add_co_u32 v42, s4, v13, s18
	s_delay_alu instid0(VALU_DEP_1) | instskip(SKIP_1) | instid1(VALU_DEP_2)
	v_add_co_ci_u32_e64 v43, s4, s19, v14, s4
	v_mov_b32_e32 v40, 0
	v_cmp_gt_u64_e64 s4, s[16:17], v[42:43]
	s_delay_alu instid0(VALU_DEP_1)
	s_and_saveexec_b32 s23, s4
	s_cbranch_execnz .LBB70_22
; %bb.17:                               ;   in Loop: Header=BB70_4 Depth=1
	s_or_b32 exec_lo, exec_lo, s23
	v_mov_b32_e32 v42, 0
	s_and_saveexec_b32 s23, s4
	s_cbranch_execnz .LBB70_23
.LBB70_18:                              ;   in Loop: Header=BB70_4 Depth=1
	s_or_b32 exec_lo, exec_lo, s23
	s_and_saveexec_b32 s5, vcc_lo
	s_cbranch_execnz .LBB70_24
.LBB70_19:                              ;   in Loop: Header=BB70_4 Depth=1
	s_or_b32 exec_lo, exec_lo, s5
	s_and_saveexec_b32 s5, s2
	s_cbranch_execnz .LBB70_25
.LBB70_20:                              ;   in Loop: Header=BB70_4 Depth=1
	s_or_b32 exec_lo, exec_lo, s5
	s_and_saveexec_b32 s2, s3
	s_cbranch_execnz .LBB70_26
.LBB70_21:                              ;   in Loop: Header=BB70_4 Depth=1
	s_or_b32 exec_lo, exec_lo, s2
	s_and_saveexec_b32 s2, s4
	s_cbranch_execz .LBB70_3
	s_branch .LBB70_27
.LBB70_22:                              ;   in Loop: Header=BB70_4 Depth=1
	v_add_co_u32 v42, s5, v7, s14
	s_delay_alu instid0(VALU_DEP_1) | instskip(SKIP_1) | instid1(VALU_DEP_1)
	v_add_co_ci_u32_e64 v43, s5, s15, v8, s5
	v_add_co_u32 v44, s5, v9, s14
	v_add_co_ci_u32_e64 v45, s5, s15, v10, s5
	global_load_u16 v35, v[42:43], off
	global_load_u16 v40, v[44:45], off
	s_or_b32 exec_lo, exec_lo, s23
	v_mov_b32_e32 v42, 0
	s_and_saveexec_b32 s23, s4
	s_cbranch_execz .LBB70_18
.LBB70_23:                              ;   in Loop: Header=BB70_4 Depth=1
	v_add_co_u32 v42, s5, v11, s14
	s_delay_alu instid0(VALU_DEP_1)
	v_add_co_ci_u32_e64 v43, s5, s15, v12, s5
	global_load_u16 v42, v[42:43], off
	s_or_b32 exec_lo, exec_lo, s23
	s_and_saveexec_b32 s5, vcc_lo
	s_cbranch_execz .LBB70_19
.LBB70_24:                              ;   in Loop: Header=BB70_4 Depth=1
	s_waitcnt vmcnt(0)
	v_bfe_i32 v37, v37, 0, 16
	v_bfe_i32 v34, v34, 0, 16
	s_delay_alu instid0(VALU_DEP_2) | instskip(NEXT) | instid1(VALU_DEP_2)
	v_cvt_f32_i32_e32 v43, v37
	v_cvt_f32_i32_e32 v45, v34
	v_xor_b32_e32 v34, v34, v37
	s_delay_alu instid0(VALU_DEP_3) | instskip(NEXT) | instid1(VALU_DEP_1)
	v_rcp_iflag_f32_e32 v44, v43
	v_ashrrev_i32_e32 v34, 30, v34
	s_delay_alu instid0(VALU_DEP_1) | instskip(SKIP_2) | instid1(VALU_DEP_1)
	v_or_b32_e32 v34, 1, v34
	s_waitcnt_depctr 0xfff
	v_mul_f32_e32 v44, v45, v44
	v_trunc_f32_e32 v37, v44
	s_delay_alu instid0(VALU_DEP_1) | instskip(SKIP_1) | instid1(VALU_DEP_2)
	v_fma_f32 v44, -v37, v43, v45
	v_cvt_i32_f32_e32 v37, v37
	v_cmp_ge_f32_e64 vcc_lo, |v44|, |v43|
	v_cndmask_b32_e32 v34, 0, v34, vcc_lo
	v_add_co_u32 v43, vcc_lo, v1, s14
	v_add_co_ci_u32_e32 v44, vcc_lo, s15, v2, vcc_lo
	s_delay_alu instid0(VALU_DEP_3) | instskip(NEXT) | instid1(VALU_DEP_1)
	v_add_nc_u32_e32 v34, v37, v34
	v_mad_u16 v32, v34, s20, v32
	global_store_b16 v[43:44], v32, off
	s_or_b32 exec_lo, exec_lo, s5
	s_and_saveexec_b32 s5, s2
	s_cbranch_execz .LBB70_20
.LBB70_25:                              ;   in Loop: Header=BB70_4 Depth=1
	s_waitcnt vmcnt(0)
	v_bfe_i32 v32, v39, 0, 16
	v_bfe_i32 v36, v36, 0, 16
	s_delay_alu instid0(VALU_DEP_2) | instskip(NEXT) | instid1(VALU_DEP_2)
	v_cvt_f32_i32_e32 v34, v32
	v_xor_b32_e32 v32, v36, v32
	v_cvt_f32_i32_e32 v39, v36
	s_delay_alu instid0(VALU_DEP_3) | instskip(NEXT) | instid1(VALU_DEP_2)
	v_rcp_iflag_f32_e32 v37, v34
	v_ashrrev_i32_e32 v32, 30, v32
	s_delay_alu instid0(VALU_DEP_1) | instskip(SKIP_2) | instid1(VALU_DEP_1)
	v_or_b32_e32 v32, 1, v32
	s_waitcnt_depctr 0xfff
	v_mul_f32_e32 v37, v39, v37
	v_trunc_f32_e32 v36, v37
	s_delay_alu instid0(VALU_DEP_1) | instskip(SKIP_1) | instid1(VALU_DEP_2)
	v_fma_f32 v37, -v36, v34, v39
	v_cvt_i32_f32_e32 v36, v36
	v_cmp_ge_f32_e64 vcc_lo, |v37|, |v34|
	v_cndmask_b32_e32 v32, 0, v32, vcc_lo
	s_delay_alu instid0(VALU_DEP_1) | instskip(NEXT) | instid1(VALU_DEP_1)
	v_add_nc_u32_e32 v32, v36, v32
	v_mad_u16 v34, v32, s20, v31
	v_add_co_u32 v31, vcc_lo, v25, s14
	v_add_co_ci_u32_e32 v32, vcc_lo, s15, v26, vcc_lo
	global_store_b16 v[31:32], v34, off
	s_or_b32 exec_lo, exec_lo, s5
	s_and_saveexec_b32 s2, s3
	s_cbranch_execz .LBB70_21
.LBB70_26:                              ;   in Loop: Header=BB70_4 Depth=1
	s_waitcnt vmcnt(0)
	v_bfe_i32 v31, v41, 0, 16
	v_bfe_i32 v34, v38, 0, 16
	s_delay_alu instid0(VALU_DEP_2) | instskip(NEXT) | instid1(VALU_DEP_2)
	v_cvt_f32_i32_e32 v32, v31
	v_xor_b32_e32 v31, v34, v31
	v_cvt_f32_i32_e32 v37, v34
	s_delay_alu instid0(VALU_DEP_3) | instskip(NEXT) | instid1(VALU_DEP_2)
	v_rcp_iflag_f32_e32 v36, v32
	v_ashrrev_i32_e32 v31, 30, v31
	s_delay_alu instid0(VALU_DEP_1) | instskip(SKIP_2) | instid1(VALU_DEP_1)
	v_or_b32_e32 v31, 1, v31
	s_waitcnt_depctr 0xfff
	v_mul_f32_e32 v36, v37, v36
	v_trunc_f32_e32 v34, v36
	s_delay_alu instid0(VALU_DEP_1) | instskip(SKIP_1) | instid1(VALU_DEP_2)
	v_fma_f32 v36, -v34, v32, v37
	v_cvt_i32_f32_e32 v34, v34
	v_cmp_ge_f32_e64 vcc_lo, |v36|, |v32|
	v_cndmask_b32_e32 v31, 0, v31, vcc_lo
	s_delay_alu instid0(VALU_DEP_1) | instskip(NEXT) | instid1(VALU_DEP_1)
	v_add_nc_u32_e32 v31, v34, v31
	v_mad_u16 v33, v31, s20, v33
	v_add_co_u32 v31, vcc_lo, v15, s14
	v_add_co_ci_u32_e32 v32, vcc_lo, s15, v16, vcc_lo
	global_store_b16 v[31:32], v33, off
	s_or_b32 exec_lo, exec_lo, s2
	s_and_saveexec_b32 s2, s4
	s_cbranch_execz .LBB70_3
.LBB70_27:                              ;   in Loop: Header=BB70_4 Depth=1
	s_waitcnt vmcnt(0)
	v_bfe_i32 v31, v42, 0, 16
	v_bfe_i32 v33, v40, 0, 16
	s_delay_alu instid0(VALU_DEP_2) | instskip(NEXT) | instid1(VALU_DEP_2)
	v_cvt_f32_i32_e32 v32, v31
	v_xor_b32_e32 v31, v33, v31
	v_cvt_f32_i32_e32 v36, v33
	s_delay_alu instid0(VALU_DEP_3) | instskip(NEXT) | instid1(VALU_DEP_2)
	v_rcp_iflag_f32_e32 v34, v32
	v_ashrrev_i32_e32 v31, 30, v31
	s_delay_alu instid0(VALU_DEP_1) | instskip(SKIP_2) | instid1(VALU_DEP_1)
	v_or_b32_e32 v31, 1, v31
	s_waitcnt_depctr 0xfff
	v_mul_f32_e32 v34, v36, v34
	v_trunc_f32_e32 v33, v34
	s_delay_alu instid0(VALU_DEP_1) | instskip(SKIP_1) | instid1(VALU_DEP_2)
	v_fma_f32 v34, -v33, v32, v36
	v_cvt_i32_f32_e32 v33, v33
	v_cmp_ge_f32_e64 vcc_lo, |v34|, |v32|
	v_cndmask_b32_e32 v31, 0, v31, vcc_lo
	s_delay_alu instid0(VALU_DEP_1) | instskip(NEXT) | instid1(VALU_DEP_1)
	v_add_nc_u32_e32 v31, v33, v31
	v_mad_u16 v33, v31, s20, v35
	v_add_co_u32 v31, vcc_lo, v7, s14
	v_add_co_ci_u32_e32 v32, vcc_lo, s15, v8, vcc_lo
	global_store_b16 v[31:32], v33, off
	s_branch .LBB70_3
.LBB70_28:
	s_mov_b32 s2, 0
.LBB70_29:
	s_delay_alu instid0(SALU_CYCLE_1)
	s_and_not1_b32 vcc_lo, exec_lo, s2
	s_cbranch_vccnz .LBB70_33
; %bb.30:
	v_dual_mov_b32 v2, 0 :: v_dual_lshlrev_b32 v1, 2, v0
	s_mov_b32 s3, 0
	s_mov_b32 s2, exec_lo
	s_delay_alu instid0(VALU_DEP_1)
	v_cmpx_gt_i64_e64 s[12:13], v[1:2]
	s_cbranch_execz .LBB70_33
; %bb.31:
	s_load_b32 s0, s[0:1], 0xc5c
	v_lshlrev_b32_e32 v1, 3, v0
	s_delay_alu instid0(VALU_DEP_1) | instskip(NEXT) | instid1(VALU_DEP_1)
	v_add_co_u32 v3, s1, s14, v1
	v_add_co_ci_u32_e64 v4, null, s15, 0, s1
	s_waitcnt lgkmcnt(0)
	s_and_b32 s0, s0, 0xffff
	s_delay_alu instid0(SALU_CYCLE_1)
	v_add_lshl_u32 v1, v0, s0, 2
	s_lshl_b32 s4, s0, 3
	s_lshl_b32 s5, s0, 2
.LBB70_32:                              ; =>This Inner Loop Header: Depth=1
	v_add_co_u32 v5, vcc_lo, s6, v3
	v_add_co_ci_u32_e32 v6, vcc_lo, s7, v4, vcc_lo
	v_add_co_u32 v7, vcc_lo, s8, v3
	v_add_co_ci_u32_e32 v8, vcc_lo, s9, v4, vcc_lo
	;; [unrolled: 2-line block ×3, first 2 shown]
	global_load_b64 v[5:6], v[5:6], off
	global_load_b64 v[7:8], v[7:8], off
	;; [unrolled: 1-line block ×3, first 2 shown]
	v_cmp_le_i64_e32 vcc_lo, s[12:13], v[1:2]
	v_cmp_lt_u64_e64 s0, 0xffff, v[1:2]
	v_add_co_u32 v3, s1, v3, s4
	s_delay_alu instid0(VALU_DEP_1) | instskip(SKIP_1) | instid1(VALU_DEP_4)
	v_add_co_ci_u32_e64 v4, s1, 0, v4, s1
	v_add_co_u32 v1, s1, v1, s5
	s_or_b32 s0, vcc_lo, s0
	v_add_co_ci_u32_e64 v2, s1, 0, v2, s1
	s_and_b32 s0, exec_lo, s0
	s_delay_alu instid0(SALU_CYCLE_1)
	s_or_b32 s3, s0, s3
	s_waitcnt vmcnt(2)
	v_bfe_i32 v0, v5, 0, 16
	s_waitcnt vmcnt(1)
	v_bfe_i32 v13, v7, 0, 16
	v_ashrrev_i32_e32 v15, 16, v5
	v_ashrrev_i32_e32 v16, 16, v7
	v_alignbit_b32 v5, v6, v5, 16
	v_alignbit_b32 v7, v8, v7, 16
	v_xor_b32_e32 v18, v0, v13
	v_cvt_f32_i32_e32 v13, v13
	v_ashrrev_i32_e32 v6, 16, v6
	v_ashrrev_i32_e32 v8, 16, v8
	v_xor_b32_e32 v19, v15, v16
	v_cvt_f32_i32_e32 v16, v16
	v_rcp_iflag_f32_e32 v21, v13
	v_cvt_f32_i32_e32 v0, v0
	v_ashrrev_i32_e32 v5, 16, v5
	v_ashrrev_i32_e32 v7, 16, v7
	v_xor_b32_e32 v20, v6, v8
	v_cvt_f32_i32_e32 v8, v8
	v_rcp_iflag_f32_e32 v22, v16
	v_cvt_f32_i32_e32 v15, v15
	v_xor_b32_e32 v23, v5, v7
	v_cvt_f32_i32_e32 v7, v7
	v_rcp_iflag_f32_e32 v24, v8
	v_mul_f32_e32 v21, v0, v21
	v_cvt_f32_i32_e32 v6, v6
	v_ashrrev_i32_e32 v18, 30, v18
	v_rcp_iflag_f32_e32 v25, v7
	v_cvt_f32_i32_e32 v5, v5
	v_mul_f32_e32 v22, v15, v22
	v_trunc_f32_e32 v21, v21
	v_ashrrev_i32_e32 v19, 30, v19
	v_or_b32_e32 v18, 1, v18
	v_mul_f32_e32 v24, v6, v24
	v_trunc_f32_e32 v22, v22
	v_fma_f32 v0, -v21, v13, v0
	v_ashrrev_i32_e32 v20, 30, v20
	v_mul_f32_e32 v25, v5, v25
	v_trunc_f32_e32 v24, v24
	v_fma_f32 v15, -v22, v16, v15
	v_cmp_ge_f32_e64 s2, |v0|, |v13|
	v_or_b32_e32 v19, 1, v19
	v_trunc_f32_e32 v25, v25
	v_fma_f32 v6, -v24, v8, v6
	v_ashrrev_i32_e32 v23, 30, v23
	v_cndmask_b32_e64 v0, 0, v18, s2
	v_cmp_ge_f32_e64 s2, |v15|, |v16|
	v_or_b32_e32 v20, 1, v20
	v_fma_f32 v5, -v25, v7, v5
	v_or_b32_e32 v23, 1, v23
	v_cvt_i32_f32_e32 v21, v21
	v_cndmask_b32_e64 v13, 0, v19, s2
	v_cmp_ge_f32_e64 s2, |v6|, |v8|
	v_cvt_i32_f32_e32 v22, v22
	s_waitcnt vmcnt(0)
	v_lshrrev_b32_e32 v14, 16, v11
	v_cvt_i32_f32_e32 v24, v24
	v_cvt_i32_f32_e32 v15, v25
	v_cndmask_b32_e64 v6, 0, v20, s2
	v_cmp_ge_f32_e64 s2, |v5|, |v7|
	v_add_nc_u32_e32 v0, v21, v0
	v_add_nc_u32_e32 v8, v22, v13
	v_lshrrev_b32_e32 v17, 16, v12
	v_add_nc_u32_e32 v6, v24, v6
	v_cndmask_b32_e64 v5, 0, v23, s2
	v_mad_u16 v0, v0, s20, v11
	v_mad_u16 v7, v8, s20, v14
	s_delay_alu instid0(VALU_DEP_4) | instskip(NEXT) | instid1(VALU_DEP_4)
	v_mad_u16 v6, v6, s20, v17
	v_add_nc_u32_e32 v5, v15, v5
	s_delay_alu instid0(VALU_DEP_4) | instskip(NEXT) | instid1(VALU_DEP_4)
	v_and_b32_e32 v0, 0xffff, v0
	v_lshlrev_b32_e32 v7, 16, v7
	s_delay_alu instid0(VALU_DEP_4) | instskip(NEXT) | instid1(VALU_DEP_4)
	v_lshlrev_b32_e32 v6, 16, v6
	v_mad_u16 v5, v5, s20, v12
	s_delay_alu instid0(VALU_DEP_3) | instskip(NEXT) | instid1(VALU_DEP_2)
	v_or_b32_e32 v0, v7, v0
	v_and_b32_e32 v5, 0xffff, v5
	s_delay_alu instid0(VALU_DEP_1) | instskip(NEXT) | instid1(VALU_DEP_3)
	v_or3_b32 v6, 0, v5, v6
	v_or3_b32 v5, v0, 0, 0
	global_store_b64 v[9:10], v[5:6], off
	s_and_not1_b32 exec_lo, exec_lo, s3
	s_cbranch_execnz .LBB70_32
.LBB70_33:
	s_nop 0
	s_sendmsg sendmsg(MSG_DEALLOC_VGPRS)
	s_endpgm
	.section	.rodata,"a",@progbits
	.p2align	6, 0x0
	.amdhsa_kernel _ZN2at6native12_GLOBAL__N_125multi_tensor_apply_kernelINS1_18TensorListMetadataILi3EEENS1_24PointwiseOpScalarFunctorIsLi3ELi3ELi0EEEJSt7dividesIsEsEEEvT_T0_DpT1_
		.amdhsa_group_segment_fixed_size 0
		.amdhsa_private_segment_fixed_size 0
		.amdhsa_kernarg_size 3408
		.amdhsa_user_sgpr_count 15
		.amdhsa_user_sgpr_dispatch_ptr 0
		.amdhsa_user_sgpr_queue_ptr 0
		.amdhsa_user_sgpr_kernarg_segment_ptr 1
		.amdhsa_user_sgpr_dispatch_id 0
		.amdhsa_user_sgpr_private_segment_size 0
		.amdhsa_wavefront_size32 1
		.amdhsa_uses_dynamic_stack 0
		.amdhsa_enable_private_segment 0
		.amdhsa_system_sgpr_workgroup_id_x 1
		.amdhsa_system_sgpr_workgroup_id_y 0
		.amdhsa_system_sgpr_workgroup_id_z 0
		.amdhsa_system_sgpr_workgroup_info 0
		.amdhsa_system_vgpr_workitem_id 0
		.amdhsa_next_free_vgpr 46
		.amdhsa_next_free_sgpr 24
		.amdhsa_reserve_vcc 1
		.amdhsa_float_round_mode_32 0
		.amdhsa_float_round_mode_16_64 0
		.amdhsa_float_denorm_mode_32 3
		.amdhsa_float_denorm_mode_16_64 3
		.amdhsa_dx10_clamp 1
		.amdhsa_ieee_mode 1
		.amdhsa_fp16_overflow 0
		.amdhsa_workgroup_processor_mode 1
		.amdhsa_memory_ordered 1
		.amdhsa_forward_progress 0
		.amdhsa_shared_vgpr_count 0
		.amdhsa_exception_fp_ieee_invalid_op 0
		.amdhsa_exception_fp_denorm_src 0
		.amdhsa_exception_fp_ieee_div_zero 0
		.amdhsa_exception_fp_ieee_overflow 0
		.amdhsa_exception_fp_ieee_underflow 0
		.amdhsa_exception_fp_ieee_inexact 0
		.amdhsa_exception_int_div_zero 0
	.end_amdhsa_kernel
	.section	.text._ZN2at6native12_GLOBAL__N_125multi_tensor_apply_kernelINS1_18TensorListMetadataILi3EEENS1_24PointwiseOpScalarFunctorIsLi3ELi3ELi0EEEJSt7dividesIsEsEEEvT_T0_DpT1_,"axG",@progbits,_ZN2at6native12_GLOBAL__N_125multi_tensor_apply_kernelINS1_18TensorListMetadataILi3EEENS1_24PointwiseOpScalarFunctorIsLi3ELi3ELi0EEEJSt7dividesIsEsEEEvT_T0_DpT1_,comdat
.Lfunc_end70:
	.size	_ZN2at6native12_GLOBAL__N_125multi_tensor_apply_kernelINS1_18TensorListMetadataILi3EEENS1_24PointwiseOpScalarFunctorIsLi3ELi3ELi0EEEJSt7dividesIsEsEEEvT_T0_DpT1_, .Lfunc_end70-_ZN2at6native12_GLOBAL__N_125multi_tensor_apply_kernelINS1_18TensorListMetadataILi3EEENS1_24PointwiseOpScalarFunctorIsLi3ELi3ELi0EEEJSt7dividesIsEsEEEvT_T0_DpT1_
                                        ; -- End function
	.section	.AMDGPU.csdata,"",@progbits
; Kernel info:
; codeLenInByte = 2696
; NumSgprs: 26
; NumVgprs: 46
; ScratchSize: 0
; MemoryBound: 0
; FloatMode: 240
; IeeeMode: 1
; LDSByteSize: 0 bytes/workgroup (compile time only)
; SGPRBlocks: 3
; VGPRBlocks: 5
; NumSGPRsForWavesPerEU: 26
; NumVGPRsForWavesPerEU: 46
; Occupancy: 16
; WaveLimiterHint : 0
; COMPUTE_PGM_RSRC2:SCRATCH_EN: 0
; COMPUTE_PGM_RSRC2:USER_SGPR: 15
; COMPUTE_PGM_RSRC2:TRAP_HANDLER: 0
; COMPUTE_PGM_RSRC2:TGID_X_EN: 1
; COMPUTE_PGM_RSRC2:TGID_Y_EN: 0
; COMPUTE_PGM_RSRC2:TGID_Z_EN: 0
; COMPUTE_PGM_RSRC2:TIDIG_COMP_CNT: 0
	.section	.text._ZN2at6native12_GLOBAL__N_125multi_tensor_apply_kernelINS1_18TensorListMetadataILi3EEENS1_24PointwiseOpScalarFunctorIdLi3ELi3ELi0EEEJSt7dividesIdEdEEEvT_T0_DpT1_,"axG",@progbits,_ZN2at6native12_GLOBAL__N_125multi_tensor_apply_kernelINS1_18TensorListMetadataILi3EEENS1_24PointwiseOpScalarFunctorIdLi3ELi3ELi0EEEJSt7dividesIdEdEEEvT_T0_DpT1_,comdat
	.globl	_ZN2at6native12_GLOBAL__N_125multi_tensor_apply_kernelINS1_18TensorListMetadataILi3EEENS1_24PointwiseOpScalarFunctorIdLi3ELi3ELi0EEEJSt7dividesIdEdEEEvT_T0_DpT1_ ; -- Begin function _ZN2at6native12_GLOBAL__N_125multi_tensor_apply_kernelINS1_18TensorListMetadataILi3EEENS1_24PointwiseOpScalarFunctorIdLi3ELi3ELi0EEEJSt7dividesIdEdEEEvT_T0_DpT1_
	.p2align	8
	.type	_ZN2at6native12_GLOBAL__N_125multi_tensor_apply_kernelINS1_18TensorListMetadataILi3EEENS1_24PointwiseOpScalarFunctorIdLi3ELi3ELi0EEEJSt7dividesIdEdEEEvT_T0_DpT1_,@function
_ZN2at6native12_GLOBAL__N_125multi_tensor_apply_kernelINS1_18TensorListMetadataILi3EEENS1_24PointwiseOpScalarFunctorIdLi3ELi3ELi0EEEJSt7dividesIdEdEEEvT_T0_DpT1_: ; @_ZN2at6native12_GLOBAL__N_125multi_tensor_apply_kernelINS1_18TensorListMetadataILi3EEENS1_24PointwiseOpScalarFunctorIdLi3ELi3ELi0EEEJSt7dividesIdEdEEEvT_T0_DpT1_
; %bb.0:
	v_mov_b32_e32 v1, s15
	s_add_u32 s2, s0, s15
	s_mul_hi_u32 s3, s15, 3
	s_mul_i32 s15, s15, 3
	s_addc_u32 s4, s1, 0
	global_load_u8 v1, v1, s[0:1] offset:1536
	s_add_u32 s2, s2, s15
	s_addc_u32 s3, s4, s3
	s_mov_b32 s23, 0
	s_load_b32 s8, s[2:3], 0x740
	s_waitcnt lgkmcnt(0)
	s_ashr_i32 s9, s8, 31
	s_delay_alu instid0(SALU_CYCLE_1) | instskip(SKIP_2) | instid1(VALU_DEP_1)
	s_lshl_b64 s[10:11], s[8:9], 19
	s_waitcnt vmcnt(0)
	v_readfirstlane_b32 s2, v1
	s_lshl_b32 s6, s2, 3
	s_clause 0x3
	s_load_b64 s[2:3], s[0:1], s6 offset:0x0
	s_load_b64 s[4:5], s[0:1], s6 offset:0x180
	;; [unrolled: 1-line block ×4, first 2 shown]
	s_waitcnt lgkmcnt(0)
	s_add_u32 s16, s2, s10
	s_addc_u32 s17, s3, s11
	s_and_b32 s22, s16, 31
	s_add_u32 s18, s4, s10
	s_addc_u32 s19, s5, s11
	s_add_u32 s20, s14, s10
	s_addc_u32 s21, s15, s11
	s_or_b32 s6, s20, s18
	s_delay_alu instid0(SALU_CYCLE_1) | instskip(NEXT) | instid1(SALU_CYCLE_1)
	s_and_b32 s6, s6, 31
	s_cmp_eq_u32 s6, 0
	s_load_b64 s[6:7], s[0:1], 0xc50
	s_cselect_b32 s24, -1, 0
	s_lshl_b64 s[8:9], s[8:9], 16
	s_delay_alu instid0(SALU_CYCLE_1) | instskip(SKIP_3) | instid1(SALU_CYCLE_1)
	s_sub_u32 s8, s12, s8
	s_subb_u32 s9, s13, s9
	s_and_b32 s12, s12, 3
	s_mov_b32 s13, s23
	s_or_b64 s[12:13], s[22:23], s[12:13]
	s_delay_alu instid0(SALU_CYCLE_1) | instskip(SKIP_1) | instid1(SALU_CYCLE_1)
	s_cmp_eq_u64 s[12:13], 0
	s_cselect_b32 s12, -1, 0
	s_and_b32 s12, s24, s12
	s_delay_alu instid0(SALU_CYCLE_1)
	s_and_b32 vcc_lo, exec_lo, s12
	s_mov_b32 s12, -1
	s_cbranch_vccnz .LBB71_45
; %bb.1:
	v_cmp_lt_i64_e64 s12, s[8:9], 1
	s_delay_alu instid0(VALU_DEP_1)
	s_and_b32 vcc_lo, exec_lo, s12
	s_cbranch_vccnz .LBB71_44
; %bb.2:
	s_load_b32 s12, s[0:1], 0xc64
	v_dual_mov_b32 v2, 0 :: v_dual_lshlrev_b32 v1, 3, v0
	s_waitcnt lgkmcnt(0)
	v_cmp_neq_f64_e64 s22, s[6:7], 1.0
	v_cmp_gt_u64_e64 s13, 0x10000, s[8:9]
	s_delay_alu instid0(VALU_DEP_3) | instskip(NEXT) | instid1(VALU_DEP_1)
	v_add_co_u32 v25, s23, s2, v1
	v_add_co_ci_u32_e64 v26, null, s3, 0, s23
	v_add_co_u32 v27, s23, s4, v1
	s_delay_alu instid0(VALU_DEP_1)
	v_add_co_ci_u32_e64 v28, null, s5, 0, s23
	s_and_b32 s24, s12, 0xffff
	v_add_co_u32 v29, s12, s14, v1
	v_mad_u64_u32 v[3:4], null, s24, 24, v[1:2]
	v_add_co_ci_u32_e64 v30, null, s15, 0, s12
	s_and_b32 s12, s13, exec_lo
	s_cselect_b32 s13, s9, 0
	s_cselect_b32 s12, s8, 0x10000
	s_lshl_b32 s26, s24, 4
	s_delay_alu instid0(VALU_DEP_2) | instskip(NEXT) | instid1(VALU_DEP_3)
	v_add_co_u32 v31, vcc_lo, s2, v3
	v_add_co_ci_u32_e32 v32, vcc_lo, s3, v4, vcc_lo
	v_add_co_u32 v33, vcc_lo, s4, v3
	v_add_co_u32 v1, s26, s26, v1
	v_add_co_ci_u32_e32 v34, vcc_lo, s5, v4, vcc_lo
	s_mul_i32 s25, s24, 3
	v_add_co_u32 v35, vcc_lo, s14, v3
	v_add_co_ci_u32_e64 v2, null, 0, 0, s26
	v_add_co_ci_u32_e32 v36, vcc_lo, s15, v4, vcc_lo
	v_add_co_u32 v37, s25, s25, v0
	v_add_co_u32 v39, vcc_lo, s2, v1
	v_add_co_ci_u32_e64 v38, null, 0, 0, s25
	v_add_co_u32 v43, s25, v0, s24
	v_add_co_ci_u32_e32 v40, vcc_lo, s3, v2, vcc_lo
	v_add_co_u32 v41, vcc_lo, s4, v1
	v_add_co_ci_u32_e32 v42, vcc_lo, s5, v2, vcc_lo
	v_add_co_u32 v44, vcc_lo, s14, v1
	v_lshlrev_b32_e32 v1, 3, v43
	s_lshl_b32 s23, s24, 1
	v_add_co_ci_u32_e32 v45, vcc_lo, s15, v2, vcc_lo
	v_add_co_u32 v47, s23, s23, v0
	s_delay_alu instid0(VALU_DEP_3) | instskip(NEXT) | instid1(VALU_DEP_1)
	v_add_co_u32 v49, s2, s2, v1
	v_add_co_ci_u32_e64 v50, null, s3, 0, s2
	v_add_co_u32 v51, s2, s4, v1
	s_delay_alu instid0(VALU_DEP_1)
	v_add_co_ci_u32_e64 v52, null, s5, 0, s2
	v_add_co_u32 v53, s2, s14, v1
	v_add_co_ci_u32_e64 v46, null, 0, 0, s25
	v_add_co_ci_u32_e64 v48, null, 0, 0, s23
	;; [unrolled: 1-line block ×3, first 2 shown]
	s_lshl_b32 s23, s24, 2
	s_lshl_b32 s24, s24, 5
	s_mov_b64 s[14:15], 0
	s_branch .LBB71_4
.LBB71_3:                               ;   in Loop: Header=BB71_4 Depth=1
	s_or_b32 exec_lo, exec_lo, s2
	v_add_co_u32 v25, vcc_lo, v25, s24
	v_add_co_ci_u32_e32 v26, vcc_lo, 0, v26, vcc_lo
	v_add_co_u32 v27, vcc_lo, v27, s24
	v_add_co_ci_u32_e32 v28, vcc_lo, 0, v28, vcc_lo
	;; [unrolled: 2-line block ×9, first 2 shown]
	s_add_u32 s14, s14, s23
	v_add_co_u32 v49, vcc_lo, v49, s24
	s_addc_u32 s15, s15, 0
	v_add_co_ci_u32_e32 v50, vcc_lo, 0, v50, vcc_lo
	v_cmp_ge_i64_e64 s2, s[14:15], s[8:9]
	v_cmp_lt_u64_e64 s3, 0xffff, s[14:15]
	v_add_co_u32 v51, vcc_lo, v51, s24
	v_add_co_ci_u32_e32 v52, vcc_lo, 0, v52, vcc_lo
	v_add_co_u32 v53, vcc_lo, v53, s24
	v_add_co_ci_u32_e32 v54, vcc_lo, 0, v54, vcc_lo
	s_or_b32 s2, s2, s3
	s_delay_alu instid0(SALU_CYCLE_1)
	s_and_b32 vcc_lo, exec_lo, s2
	s_cbranch_vccnz .LBB71_44
.LBB71_4:                               ; =>This Inner Loop Header: Depth=1
	v_add_co_u32 v1, s2, v0, s14
	s_delay_alu instid0(VALU_DEP_1) | instskip(SKIP_2) | instid1(VALU_DEP_3)
	v_add_co_ci_u32_e64 v2, null, 0, s15, s2
	v_mov_b32_e32 v7, 0
	v_mov_b32_e32 v8, 0
	v_cmp_gt_u64_e64 s2, s[12:13], v[1:2]
	s_delay_alu instid0(VALU_DEP_2) | instskip(SKIP_1) | instid1(VALU_DEP_3)
	v_dual_mov_b32 v1, v7 :: v_dual_mov_b32 v2, v8
	v_dual_mov_b32 v14, v8 :: v_dual_mov_b32 v13, v7
	s_and_saveexec_b32 s3, s2
	s_cbranch_execz .LBB71_6
; %bb.5:                                ;   in Loop: Header=BB71_4 Depth=1
	v_add_co_u32 v1, vcc_lo, v25, s10
	v_add_co_ci_u32_e32 v2, vcc_lo, s11, v26, vcc_lo
	v_add_co_u32 v3, vcc_lo, v27, s10
	v_add_co_ci_u32_e32 v4, vcc_lo, s11, v28, vcc_lo
	global_load_b64 v[1:2], v[1:2], off
	global_load_b64 v[13:14], v[3:4], off
.LBB71_6:                               ;   in Loop: Header=BB71_4 Depth=1
	s_or_b32 exec_lo, exec_lo, s3
	s_and_saveexec_b32 s3, s2
	s_cbranch_execz .LBB71_8
; %bb.7:                                ;   in Loop: Header=BB71_4 Depth=1
	v_add_co_u32 v3, vcc_lo, v29, s10
	v_add_co_ci_u32_e32 v4, vcc_lo, s11, v30, vcc_lo
	global_load_b64 v[7:8], v[3:4], off
.LBB71_8:                               ;   in Loop: Header=BB71_4 Depth=1
	s_or_b32 exec_lo, exec_lo, s3
	v_add_co_u32 v3, vcc_lo, v43, s14
	v_add_co_ci_u32_e32 v4, vcc_lo, s15, v46, vcc_lo
	v_mov_b32_e32 v11, 0
	v_mov_b32_e32 v12, 0
	s_delay_alu instid0(VALU_DEP_3) | instskip(NEXT) | instid1(VALU_DEP_2)
	v_cmp_gt_u64_e64 s3, s[12:13], v[3:4]
	v_dual_mov_b32 v3, v11 :: v_dual_mov_b32 v4, v12
	v_dual_mov_b32 v18, v12 :: v_dual_mov_b32 v17, v11
	s_delay_alu instid0(VALU_DEP_3)
	s_and_saveexec_b32 s4, s3
	s_cbranch_execz .LBB71_10
; %bb.9:                                ;   in Loop: Header=BB71_4 Depth=1
	v_add_co_u32 v3, vcc_lo, v49, s10
	v_add_co_ci_u32_e32 v4, vcc_lo, s11, v50, vcc_lo
	v_add_co_u32 v5, vcc_lo, v51, s10
	v_add_co_ci_u32_e32 v6, vcc_lo, s11, v52, vcc_lo
	global_load_b64 v[3:4], v[3:4], off
	global_load_b64 v[17:18], v[5:6], off
.LBB71_10:                              ;   in Loop: Header=BB71_4 Depth=1
	s_or_b32 exec_lo, exec_lo, s4
	s_and_saveexec_b32 s4, s3
	s_cbranch_execz .LBB71_12
; %bb.11:                               ;   in Loop: Header=BB71_4 Depth=1
	v_add_co_u32 v5, vcc_lo, v53, s10
	v_add_co_ci_u32_e32 v6, vcc_lo, s11, v54, vcc_lo
	global_load_b64 v[11:12], v[5:6], off
.LBB71_12:                              ;   in Loop: Header=BB71_4 Depth=1
	s_or_b32 exec_lo, exec_lo, s4
	v_add_co_u32 v5, vcc_lo, v47, s14
	v_add_co_ci_u32_e32 v6, vcc_lo, s15, v48, vcc_lo
	v_mov_b32_e32 v15, 0
	v_mov_b32_e32 v16, 0
	s_delay_alu instid0(VALU_DEP_3) | instskip(NEXT) | instid1(VALU_DEP_2)
	v_cmp_gt_u64_e64 s4, s[12:13], v[5:6]
	v_dual_mov_b32 v5, v15 :: v_dual_mov_b32 v6, v16
	v_dual_mov_b32 v20, v16 :: v_dual_mov_b32 v19, v15
	s_delay_alu instid0(VALU_DEP_3)
	s_and_saveexec_b32 s5, s4
	s_cbranch_execz .LBB71_14
; %bb.13:                               ;   in Loop: Header=BB71_4 Depth=1
	v_add_co_u32 v5, vcc_lo, v39, s10
	v_add_co_ci_u32_e32 v6, vcc_lo, s11, v40, vcc_lo
	v_add_co_u32 v9, vcc_lo, v41, s10
	v_add_co_ci_u32_e32 v10, vcc_lo, s11, v42, vcc_lo
	global_load_b64 v[5:6], v[5:6], off
	global_load_b64 v[19:20], v[9:10], off
.LBB71_14:                              ;   in Loop: Header=BB71_4 Depth=1
	s_or_b32 exec_lo, exec_lo, s5
	s_and_saveexec_b32 s5, s4
	s_cbranch_execz .LBB71_16
; %bb.15:                               ;   in Loop: Header=BB71_4 Depth=1
	v_add_co_u32 v9, vcc_lo, v44, s10
	v_add_co_ci_u32_e32 v10, vcc_lo, s11, v45, vcc_lo
	global_load_b64 v[15:16], v[9:10], off
.LBB71_16:                              ;   in Loop: Header=BB71_4 Depth=1
	s_or_b32 exec_lo, exec_lo, s5
	v_add_co_u32 v9, vcc_lo, v37, s14
	v_add_co_ci_u32_e32 v10, vcc_lo, s15, v38, vcc_lo
	v_mov_b32_e32 v21, 0
	v_mov_b32_e32 v22, 0
	s_delay_alu instid0(VALU_DEP_3) | instskip(NEXT) | instid1(VALU_DEP_2)
	v_cmp_gt_u64_e64 s5, s[12:13], v[9:10]
	v_dual_mov_b32 v9, v21 :: v_dual_mov_b32 v10, v22
	v_dual_mov_b32 v24, v22 :: v_dual_mov_b32 v23, v21
	s_delay_alu instid0(VALU_DEP_3)
	s_and_saveexec_b32 s25, s5
	s_cbranch_execz .LBB71_18
; %bb.17:                               ;   in Loop: Header=BB71_4 Depth=1
	v_add_co_u32 v9, vcc_lo, v31, s10
	v_add_co_ci_u32_e32 v10, vcc_lo, s11, v32, vcc_lo
	v_add_co_u32 v23, vcc_lo, v33, s10
	v_add_co_ci_u32_e32 v24, vcc_lo, s11, v34, vcc_lo
	global_load_b64 v[9:10], v[9:10], off
	global_load_b64 v[23:24], v[23:24], off
.LBB71_18:                              ;   in Loop: Header=BB71_4 Depth=1
	s_or_b32 exec_lo, exec_lo, s25
	s_and_saveexec_b32 s25, s5
	s_cbranch_execz .LBB71_20
; %bb.19:                               ;   in Loop: Header=BB71_4 Depth=1
	v_add_co_u32 v21, vcc_lo, v35, s10
	v_add_co_ci_u32_e32 v22, vcc_lo, s11, v36, vcc_lo
	global_load_b64 v[21:22], v[21:22], off
.LBB71_20:                              ;   in Loop: Header=BB71_4 Depth=1
	s_or_b32 exec_lo, exec_lo, s25
	s_waitcnt vmcnt(0)
	v_div_scale_f64 v[55:56], null, v[7:8], v[7:8], v[13:14]
	s_delay_alu instid0(VALU_DEP_1) | instskip(SKIP_2) | instid1(VALU_DEP_1)
	v_rcp_f64_e32 v[57:58], v[55:56]
	s_waitcnt_depctr 0xfff
	v_fma_f64 v[59:60], -v[55:56], v[57:58], 1.0
	v_fma_f64 v[57:58], v[57:58], v[59:60], v[57:58]
	s_delay_alu instid0(VALU_DEP_1) | instskip(NEXT) | instid1(VALU_DEP_1)
	v_fma_f64 v[59:60], -v[55:56], v[57:58], 1.0
	v_fma_f64 v[57:58], v[57:58], v[59:60], v[57:58]
	v_div_scale_f64 v[59:60], vcc_lo, v[13:14], v[7:8], v[13:14]
	s_delay_alu instid0(VALU_DEP_1) | instskip(NEXT) | instid1(VALU_DEP_1)
	v_mul_f64 v[61:62], v[59:60], v[57:58]
	v_fma_f64 v[55:56], -v[55:56], v[61:62], v[59:60]
	s_delay_alu instid0(VALU_DEP_1) | instskip(SKIP_1) | instid1(VALU_DEP_1)
	v_div_fmas_f64 v[55:56], v[55:56], v[57:58], v[61:62]
	s_and_b32 vcc_lo, exec_lo, s22
	v_div_fixup_f64 v[13:14], v[55:56], v[7:8], v[13:14]
	s_cbranch_vccz .LBB71_40
; %bb.21:                               ;   in Loop: Header=BB71_4 Depth=1
	s_delay_alu instid0(VALU_DEP_1)
	v_fma_f64 v[7:8], s[6:7], v[13:14], v[1:2]
	s_cbranch_execnz .LBB71_23
.LBB71_22:                              ;   in Loop: Header=BB71_4 Depth=1
	s_delay_alu instid0(VALU_DEP_1)
	v_add_f64 v[7:8], v[1:2], v[13:14]
.LBB71_23:                              ;   in Loop: Header=BB71_4 Depth=1
	v_div_scale_f64 v[1:2], null, v[11:12], v[11:12], v[17:18]
	s_delay_alu instid0(VALU_DEP_1) | instskip(SKIP_2) | instid1(VALU_DEP_1)
	v_rcp_f64_e32 v[13:14], v[1:2]
	s_waitcnt_depctr 0xfff
	v_fma_f64 v[55:56], -v[1:2], v[13:14], 1.0
	v_fma_f64 v[13:14], v[13:14], v[55:56], v[13:14]
	s_delay_alu instid0(VALU_DEP_1) | instskip(NEXT) | instid1(VALU_DEP_1)
	v_fma_f64 v[55:56], -v[1:2], v[13:14], 1.0
	v_fma_f64 v[13:14], v[13:14], v[55:56], v[13:14]
	v_div_scale_f64 v[55:56], vcc_lo, v[17:18], v[11:12], v[17:18]
	s_delay_alu instid0(VALU_DEP_1) | instskip(NEXT) | instid1(VALU_DEP_1)
	v_mul_f64 v[57:58], v[55:56], v[13:14]
	v_fma_f64 v[1:2], -v[1:2], v[57:58], v[55:56]
	s_delay_alu instid0(VALU_DEP_1) | instskip(SKIP_1) | instid1(VALU_DEP_1)
	v_div_fmas_f64 v[1:2], v[1:2], v[13:14], v[57:58]
	s_and_not1_b32 vcc_lo, exec_lo, s22
	v_div_fixup_f64 v[11:12], v[1:2], v[11:12], v[17:18]
	s_cbranch_vccnz .LBB71_41
; %bb.24:                               ;   in Loop: Header=BB71_4 Depth=1
	s_delay_alu instid0(VALU_DEP_1)
	v_fma_f64 v[1:2], s[6:7], v[11:12], v[3:4]
	s_cbranch_execnz .LBB71_26
.LBB71_25:                              ;   in Loop: Header=BB71_4 Depth=1
	s_delay_alu instid0(VALU_DEP_1)
	v_add_f64 v[1:2], v[3:4], v[11:12]
.LBB71_26:                              ;   in Loop: Header=BB71_4 Depth=1
	v_div_scale_f64 v[3:4], null, v[15:16], v[15:16], v[19:20]
	s_delay_alu instid0(VALU_DEP_1) | instskip(SKIP_2) | instid1(VALU_DEP_1)
	v_rcp_f64_e32 v[11:12], v[3:4]
	s_waitcnt_depctr 0xfff
	v_fma_f64 v[13:14], -v[3:4], v[11:12], 1.0
	v_fma_f64 v[11:12], v[11:12], v[13:14], v[11:12]
	s_delay_alu instid0(VALU_DEP_1) | instskip(NEXT) | instid1(VALU_DEP_1)
	v_fma_f64 v[13:14], -v[3:4], v[11:12], 1.0
	v_fma_f64 v[11:12], v[11:12], v[13:14], v[11:12]
	v_div_scale_f64 v[13:14], vcc_lo, v[19:20], v[15:16], v[19:20]
	s_delay_alu instid0(VALU_DEP_1) | instskip(NEXT) | instid1(VALU_DEP_1)
	v_mul_f64 v[17:18], v[13:14], v[11:12]
	v_fma_f64 v[3:4], -v[3:4], v[17:18], v[13:14]
	s_delay_alu instid0(VALU_DEP_1) | instskip(SKIP_1) | instid1(VALU_DEP_1)
	v_div_fmas_f64 v[3:4], v[3:4], v[11:12], v[17:18]
	s_and_not1_b32 vcc_lo, exec_lo, s22
	v_div_fixup_f64 v[11:12], v[3:4], v[15:16], v[19:20]
	s_cbranch_vccnz .LBB71_42
; %bb.27:                               ;   in Loop: Header=BB71_4 Depth=1
	s_delay_alu instid0(VALU_DEP_1)
	v_fma_f64 v[3:4], s[6:7], v[11:12], v[5:6]
	s_cbranch_execnz .LBB71_29
.LBB71_28:                              ;   in Loop: Header=BB71_4 Depth=1
	s_delay_alu instid0(VALU_DEP_1)
	v_add_f64 v[3:4], v[5:6], v[11:12]
.LBB71_29:                              ;   in Loop: Header=BB71_4 Depth=1
	v_div_scale_f64 v[5:6], null, v[21:22], v[21:22], v[23:24]
	s_delay_alu instid0(VALU_DEP_1) | instskip(SKIP_2) | instid1(VALU_DEP_1)
	v_rcp_f64_e32 v[11:12], v[5:6]
	s_waitcnt_depctr 0xfff
	v_fma_f64 v[13:14], -v[5:6], v[11:12], 1.0
	v_fma_f64 v[11:12], v[11:12], v[13:14], v[11:12]
	s_delay_alu instid0(VALU_DEP_1) | instskip(NEXT) | instid1(VALU_DEP_1)
	v_fma_f64 v[13:14], -v[5:6], v[11:12], 1.0
	v_fma_f64 v[11:12], v[11:12], v[13:14], v[11:12]
	v_div_scale_f64 v[13:14], vcc_lo, v[23:24], v[21:22], v[23:24]
	s_delay_alu instid0(VALU_DEP_1) | instskip(NEXT) | instid1(VALU_DEP_1)
	v_mul_f64 v[15:16], v[13:14], v[11:12]
	v_fma_f64 v[5:6], -v[5:6], v[15:16], v[13:14]
	s_delay_alu instid0(VALU_DEP_1) | instskip(SKIP_1) | instid1(VALU_DEP_1)
	v_div_fmas_f64 v[5:6], v[5:6], v[11:12], v[15:16]
	s_and_not1_b32 vcc_lo, exec_lo, s22
	v_div_fixup_f64 v[11:12], v[5:6], v[21:22], v[23:24]
	s_cbranch_vccnz .LBB71_43
; %bb.30:                               ;   in Loop: Header=BB71_4 Depth=1
	s_delay_alu instid0(VALU_DEP_1)
	v_fma_f64 v[5:6], s[6:7], v[11:12], v[9:10]
	s_cbranch_execnz .LBB71_32
.LBB71_31:                              ;   in Loop: Header=BB71_4 Depth=1
	s_delay_alu instid0(VALU_DEP_1)
	v_add_f64 v[5:6], v[9:10], v[11:12]
.LBB71_32:                              ;   in Loop: Header=BB71_4 Depth=1
	s_and_saveexec_b32 s25, s2
	s_delay_alu instid0(SALU_CYCLE_1)
	s_xor_b32 s2, exec_lo, s25
	s_cbranch_execnz .LBB71_36
; %bb.33:                               ;   in Loop: Header=BB71_4 Depth=1
	s_or_b32 exec_lo, exec_lo, s2
	s_and_saveexec_b32 s2, s3
	s_cbranch_execnz .LBB71_37
.LBB71_34:                              ;   in Loop: Header=BB71_4 Depth=1
	s_or_b32 exec_lo, exec_lo, s2
	s_and_saveexec_b32 s2, s4
	s_cbranch_execnz .LBB71_38
.LBB71_35:                              ;   in Loop: Header=BB71_4 Depth=1
	s_or_b32 exec_lo, exec_lo, s2
	s_and_saveexec_b32 s2, s5
	s_cbranch_execz .LBB71_3
	s_branch .LBB71_39
.LBB71_36:                              ;   in Loop: Header=BB71_4 Depth=1
	v_add_co_u32 v9, vcc_lo, v25, s10
	v_add_co_ci_u32_e32 v10, vcc_lo, s11, v26, vcc_lo
	global_store_b64 v[9:10], v[7:8], off
	s_or_b32 exec_lo, exec_lo, s2
	s_and_saveexec_b32 s2, s3
	s_cbranch_execz .LBB71_34
.LBB71_37:                              ;   in Loop: Header=BB71_4 Depth=1
	v_add_co_u32 v7, vcc_lo, v49, s10
	v_add_co_ci_u32_e32 v8, vcc_lo, s11, v50, vcc_lo
	global_store_b64 v[7:8], v[1:2], off
	s_or_b32 exec_lo, exec_lo, s2
	s_and_saveexec_b32 s2, s4
	s_cbranch_execz .LBB71_35
.LBB71_38:                              ;   in Loop: Header=BB71_4 Depth=1
	v_add_co_u32 v1, vcc_lo, v39, s10
	v_add_co_ci_u32_e32 v2, vcc_lo, s11, v40, vcc_lo
	global_store_b64 v[1:2], v[3:4], off
	s_or_b32 exec_lo, exec_lo, s2
	s_and_saveexec_b32 s2, s5
	s_cbranch_execz .LBB71_3
.LBB71_39:                              ;   in Loop: Header=BB71_4 Depth=1
	v_add_co_u32 v1, vcc_lo, v31, s10
	v_add_co_ci_u32_e32 v2, vcc_lo, s11, v32, vcc_lo
	global_store_b64 v[1:2], v[5:6], off
	s_branch .LBB71_3
.LBB71_40:                              ;   in Loop: Header=BB71_4 Depth=1
                                        ; implicit-def: $vgpr7_vgpr8
	s_branch .LBB71_22
.LBB71_41:                              ;   in Loop: Header=BB71_4 Depth=1
                                        ; implicit-def: $vgpr1_vgpr2
	s_branch .LBB71_25
.LBB71_42:                              ;   in Loop: Header=BB71_4 Depth=1
                                        ; implicit-def: $vgpr3_vgpr4
	s_branch .LBB71_28
.LBB71_43:                              ;   in Loop: Header=BB71_4 Depth=1
                                        ; implicit-def: $vgpr5_vgpr6
	s_branch .LBB71_31
.LBB71_44:
	s_mov_b32 s12, 0
.LBB71_45:
	s_delay_alu instid0(SALU_CYCLE_1)
	s_and_not1_b32 vcc_lo, exec_lo, s12
	s_cbranch_vccnz .LBB71_65
; %bb.46:
	v_dual_mov_b32 v25, 0 :: v_dual_lshlrev_b32 v24, 2, v0
	s_mov_b32 s2, 0
	s_mov_b32 s3, exec_lo
	s_delay_alu instid0(VALU_DEP_1)
	v_cmpx_gt_i64_e64 s[8:9], v[24:25]
	s_cbranch_execz .LBB71_65
; %bb.47:
	s_load_b32 s0, s[0:1], 0xc64
	s_waitcnt lgkmcnt(0)
	v_cmp_neq_f64_e64 s1, s[6:7], 1.0
	v_lshlrev_b32_e32 v28, 5, v0
	s_and_b32 s0, s0, 0xffff
	s_delay_alu instid0(SALU_CYCLE_1)
	v_add_lshl_u32 v24, v0, s0, 2
	s_lshl_b32 s3, s0, 2
	s_lshl_b32 s4, s0, 5
	s_branch .LBB71_49
.LBB71_48:                              ;   in Loop: Header=BB71_49 Depth=1
	v_cmp_le_i64_e32 vcc_lo, s[8:9], v[24:25]
	v_cmp_lt_u64_e64 s0, 0xffff, v[24:25]
	s_clause 0x1
	global_store_b128 v[26:27], v[0:3], off
	global_store_b128 v[26:27], v[8:11], off offset:16
	s_or_b32 s0, vcc_lo, s0
	s_add_u32 s16, s16, s4
	s_addc_u32 s17, s17, 0
	s_add_u32 s20, s20, s4
	v_add_co_u32 v24, vcc_lo, v24, s3
	s_addc_u32 s21, s21, 0
	s_add_u32 s18, s18, s4
	v_add_co_ci_u32_e32 v25, vcc_lo, 0, v25, vcc_lo
	s_addc_u32 s19, s19, 0
	s_and_b32 s0, exec_lo, s0
	s_delay_alu instid0(SALU_CYCLE_1) | instskip(NEXT) | instid1(SALU_CYCLE_1)
	s_or_b32 s2, s0, s2
	s_and_not1_b32 exec_lo, exec_lo, s2
	s_cbranch_execz .LBB71_65
.LBB71_49:                              ; =>This Inner Loop Header: Depth=1
	v_add_co_u32 v4, s0, s18, v28
	s_delay_alu instid0(VALU_DEP_1) | instskip(SKIP_1) | instid1(VALU_DEP_1)
	v_add_co_ci_u32_e64 v5, null, s19, 0, s0
	v_add_co_u32 v6, s0, s20, v28
	v_add_co_ci_u32_e64 v7, null, s21, 0, s0
	global_load_b128 v[0:3], v[4:5], off
	global_load_b128 v[20:23], v[6:7], off
	v_add_co_u32 v26, s0, s16, v28
	s_delay_alu instid0(VALU_DEP_1)
	v_add_co_ci_u32_e64 v27, null, s17, 0, s0
	global_load_b128 v[8:11], v[4:5], off offset:16
	global_load_b128 v[12:15], v[6:7], off offset:16
	s_clause 0x1
	global_load_b128 v[4:7], v[26:27], off offset:16
	global_load_b128 v[16:19], v[26:27], off
	s_waitcnt vmcnt(4)
	v_div_scale_f64 v[29:30], null, v[20:21], v[20:21], v[0:1]
	s_delay_alu instid0(VALU_DEP_1) | instskip(SKIP_2) | instid1(VALU_DEP_1)
	v_rcp_f64_e32 v[31:32], v[29:30]
	s_waitcnt_depctr 0xfff
	v_fma_f64 v[33:34], -v[29:30], v[31:32], 1.0
	v_fma_f64 v[31:32], v[31:32], v[33:34], v[31:32]
	s_delay_alu instid0(VALU_DEP_1) | instskip(NEXT) | instid1(VALU_DEP_1)
	v_fma_f64 v[33:34], -v[29:30], v[31:32], 1.0
	v_fma_f64 v[31:32], v[31:32], v[33:34], v[31:32]
	v_div_scale_f64 v[33:34], vcc_lo, v[0:1], v[20:21], v[0:1]
	s_delay_alu instid0(VALU_DEP_1) | instskip(NEXT) | instid1(VALU_DEP_1)
	v_mul_f64 v[35:36], v[33:34], v[31:32]
	v_fma_f64 v[29:30], -v[29:30], v[35:36], v[33:34]
	s_delay_alu instid0(VALU_DEP_1) | instskip(SKIP_1) | instid1(VALU_DEP_1)
	v_div_fmas_f64 v[29:30], v[29:30], v[31:32], v[35:36]
	s_and_b32 vcc_lo, exec_lo, s1
	v_div_fixup_f64 v[20:21], v[29:30], v[20:21], v[0:1]
	s_cbranch_vccz .LBB71_60
; %bb.50:                               ;   in Loop: Header=BB71_49 Depth=1
	s_waitcnt vmcnt(0)
	s_delay_alu instid0(VALU_DEP_1)
	v_fma_f64 v[0:1], s[6:7], v[20:21], v[16:17]
	s_cbranch_execnz .LBB71_52
.LBB71_51:                              ;   in Loop: Header=BB71_49 Depth=1
	s_waitcnt vmcnt(0)
	s_delay_alu instid0(VALU_DEP_1)
	v_add_f64 v[0:1], v[16:17], v[20:21]
.LBB71_52:                              ;   in Loop: Header=BB71_49 Depth=1
	s_waitcnt vmcnt(0)
	v_div_scale_f64 v[16:17], null, v[22:23], v[22:23], v[2:3]
	s_delay_alu instid0(VALU_DEP_1) | instskip(SKIP_2) | instid1(VALU_DEP_1)
	v_rcp_f64_e32 v[20:21], v[16:17]
	s_waitcnt_depctr 0xfff
	v_fma_f64 v[29:30], -v[16:17], v[20:21], 1.0
	v_fma_f64 v[20:21], v[20:21], v[29:30], v[20:21]
	s_delay_alu instid0(VALU_DEP_1) | instskip(NEXT) | instid1(VALU_DEP_1)
	v_fma_f64 v[29:30], -v[16:17], v[20:21], 1.0
	v_fma_f64 v[20:21], v[20:21], v[29:30], v[20:21]
	v_div_scale_f64 v[29:30], vcc_lo, v[2:3], v[22:23], v[2:3]
	s_delay_alu instid0(VALU_DEP_1) | instskip(NEXT) | instid1(VALU_DEP_1)
	v_mul_f64 v[31:32], v[29:30], v[20:21]
	v_fma_f64 v[16:17], -v[16:17], v[31:32], v[29:30]
	s_delay_alu instid0(VALU_DEP_1) | instskip(SKIP_1) | instid1(VALU_DEP_1)
	v_div_fmas_f64 v[16:17], v[16:17], v[20:21], v[31:32]
	s_and_not1_b32 vcc_lo, exec_lo, s1
	v_div_fixup_f64 v[16:17], v[16:17], v[22:23], v[2:3]
	s_cbranch_vccnz .LBB71_61
; %bb.53:                               ;   in Loop: Header=BB71_49 Depth=1
	s_delay_alu instid0(VALU_DEP_1)
	v_fma_f64 v[2:3], s[6:7], v[16:17], v[18:19]
	s_cbranch_execnz .LBB71_55
.LBB71_54:                              ;   in Loop: Header=BB71_49 Depth=1
	s_delay_alu instid0(VALU_DEP_1)
	v_add_f64 v[2:3], v[18:19], v[16:17]
.LBB71_55:                              ;   in Loop: Header=BB71_49 Depth=1
	v_div_scale_f64 v[16:17], null, v[12:13], v[12:13], v[8:9]
	s_delay_alu instid0(VALU_DEP_1) | instskip(SKIP_2) | instid1(VALU_DEP_1)
	v_rcp_f64_e32 v[18:19], v[16:17]
	s_waitcnt_depctr 0xfff
	v_fma_f64 v[20:21], -v[16:17], v[18:19], 1.0
	v_fma_f64 v[18:19], v[18:19], v[20:21], v[18:19]
	s_delay_alu instid0(VALU_DEP_1) | instskip(NEXT) | instid1(VALU_DEP_1)
	v_fma_f64 v[20:21], -v[16:17], v[18:19], 1.0
	v_fma_f64 v[18:19], v[18:19], v[20:21], v[18:19]
	v_div_scale_f64 v[20:21], vcc_lo, v[8:9], v[12:13], v[8:9]
	s_delay_alu instid0(VALU_DEP_1) | instskip(NEXT) | instid1(VALU_DEP_1)
	v_mul_f64 v[22:23], v[20:21], v[18:19]
	v_fma_f64 v[16:17], -v[16:17], v[22:23], v[20:21]
	s_delay_alu instid0(VALU_DEP_1) | instskip(SKIP_1) | instid1(VALU_DEP_1)
	v_div_fmas_f64 v[16:17], v[16:17], v[18:19], v[22:23]
	s_and_not1_b32 vcc_lo, exec_lo, s1
	v_div_fixup_f64 v[12:13], v[16:17], v[12:13], v[8:9]
	s_cbranch_vccnz .LBB71_62
; %bb.56:                               ;   in Loop: Header=BB71_49 Depth=1
	s_delay_alu instid0(VALU_DEP_1)
	v_fma_f64 v[8:9], s[6:7], v[12:13], v[4:5]
	s_cbranch_execnz .LBB71_58
.LBB71_57:                              ;   in Loop: Header=BB71_49 Depth=1
	s_delay_alu instid0(VALU_DEP_1)
	v_add_f64 v[8:9], v[4:5], v[12:13]
.LBB71_58:                              ;   in Loop: Header=BB71_49 Depth=1
	v_div_scale_f64 v[4:5], null, v[14:15], v[14:15], v[10:11]
	s_delay_alu instid0(VALU_DEP_1) | instskip(SKIP_2) | instid1(VALU_DEP_1)
	v_rcp_f64_e32 v[12:13], v[4:5]
	s_waitcnt_depctr 0xfff
	v_fma_f64 v[16:17], -v[4:5], v[12:13], 1.0
	v_fma_f64 v[12:13], v[12:13], v[16:17], v[12:13]
	s_delay_alu instid0(VALU_DEP_1) | instskip(NEXT) | instid1(VALU_DEP_1)
	v_fma_f64 v[16:17], -v[4:5], v[12:13], 1.0
	v_fma_f64 v[12:13], v[12:13], v[16:17], v[12:13]
	v_div_scale_f64 v[16:17], vcc_lo, v[10:11], v[14:15], v[10:11]
	s_delay_alu instid0(VALU_DEP_1) | instskip(NEXT) | instid1(VALU_DEP_1)
	v_mul_f64 v[18:19], v[16:17], v[12:13]
	v_fma_f64 v[4:5], -v[4:5], v[18:19], v[16:17]
	s_delay_alu instid0(VALU_DEP_1) | instskip(SKIP_1) | instid1(VALU_DEP_1)
	v_div_fmas_f64 v[4:5], v[4:5], v[12:13], v[18:19]
	s_and_not1_b32 vcc_lo, exec_lo, s1
	v_div_fixup_f64 v[4:5], v[4:5], v[14:15], v[10:11]
	s_cbranch_vccnz .LBB71_63
; %bb.59:                               ;   in Loop: Header=BB71_49 Depth=1
	s_delay_alu instid0(VALU_DEP_1)
	v_fma_f64 v[10:11], s[6:7], v[4:5], v[6:7]
	s_cbranch_execnz .LBB71_48
	s_branch .LBB71_64
.LBB71_60:                              ;   in Loop: Header=BB71_49 Depth=1
                                        ; implicit-def: $vgpr0_vgpr1
	s_branch .LBB71_51
.LBB71_61:                              ;   in Loop: Header=BB71_49 Depth=1
	s_branch .LBB71_54
.LBB71_62:                              ;   in Loop: Header=BB71_49 Depth=1
                                        ; implicit-def: $vgpr8_vgpr9
	s_branch .LBB71_57
.LBB71_63:                              ;   in Loop: Header=BB71_49 Depth=1
.LBB71_64:                              ;   in Loop: Header=BB71_49 Depth=1
	s_delay_alu instid0(VALU_DEP_1)
	v_add_f64 v[10:11], v[6:7], v[4:5]
	s_branch .LBB71_48
.LBB71_65:
	s_nop 0
	s_sendmsg sendmsg(MSG_DEALLOC_VGPRS)
	s_endpgm
	.section	.rodata,"a",@progbits
	.p2align	6, 0x0
	.amdhsa_kernel _ZN2at6native12_GLOBAL__N_125multi_tensor_apply_kernelINS1_18TensorListMetadataILi3EEENS1_24PointwiseOpScalarFunctorIdLi3ELi3ELi0EEEJSt7dividesIdEdEEEvT_T0_DpT1_
		.amdhsa_group_segment_fixed_size 0
		.amdhsa_private_segment_fixed_size 0
		.amdhsa_kernarg_size 3416
		.amdhsa_user_sgpr_count 15
		.amdhsa_user_sgpr_dispatch_ptr 0
		.amdhsa_user_sgpr_queue_ptr 0
		.amdhsa_user_sgpr_kernarg_segment_ptr 1
		.amdhsa_user_sgpr_dispatch_id 0
		.amdhsa_user_sgpr_private_segment_size 0
		.amdhsa_wavefront_size32 1
		.amdhsa_uses_dynamic_stack 0
		.amdhsa_enable_private_segment 0
		.amdhsa_system_sgpr_workgroup_id_x 1
		.amdhsa_system_sgpr_workgroup_id_y 0
		.amdhsa_system_sgpr_workgroup_id_z 0
		.amdhsa_system_sgpr_workgroup_info 0
		.amdhsa_system_vgpr_workitem_id 0
		.amdhsa_next_free_vgpr 63
		.amdhsa_next_free_sgpr 27
		.amdhsa_reserve_vcc 1
		.amdhsa_float_round_mode_32 0
		.amdhsa_float_round_mode_16_64 0
		.amdhsa_float_denorm_mode_32 3
		.amdhsa_float_denorm_mode_16_64 3
		.amdhsa_dx10_clamp 1
		.amdhsa_ieee_mode 1
		.amdhsa_fp16_overflow 0
		.amdhsa_workgroup_processor_mode 1
		.amdhsa_memory_ordered 1
		.amdhsa_forward_progress 0
		.amdhsa_shared_vgpr_count 0
		.amdhsa_exception_fp_ieee_invalid_op 0
		.amdhsa_exception_fp_denorm_src 0
		.amdhsa_exception_fp_ieee_div_zero 0
		.amdhsa_exception_fp_ieee_overflow 0
		.amdhsa_exception_fp_ieee_underflow 0
		.amdhsa_exception_fp_ieee_inexact 0
		.amdhsa_exception_int_div_zero 0
	.end_amdhsa_kernel
	.section	.text._ZN2at6native12_GLOBAL__N_125multi_tensor_apply_kernelINS1_18TensorListMetadataILi3EEENS1_24PointwiseOpScalarFunctorIdLi3ELi3ELi0EEEJSt7dividesIdEdEEEvT_T0_DpT1_,"axG",@progbits,_ZN2at6native12_GLOBAL__N_125multi_tensor_apply_kernelINS1_18TensorListMetadataILi3EEENS1_24PointwiseOpScalarFunctorIdLi3ELi3ELi0EEEJSt7dividesIdEdEEEvT_T0_DpT1_,comdat
.Lfunc_end71:
	.size	_ZN2at6native12_GLOBAL__N_125multi_tensor_apply_kernelINS1_18TensorListMetadataILi3EEENS1_24PointwiseOpScalarFunctorIdLi3ELi3ELi0EEEJSt7dividesIdEdEEEvT_T0_DpT1_, .Lfunc_end71-_ZN2at6native12_GLOBAL__N_125multi_tensor_apply_kernelINS1_18TensorListMetadataILi3EEENS1_24PointwiseOpScalarFunctorIdLi3ELi3ELi0EEEJSt7dividesIdEdEEEvT_T0_DpT1_
                                        ; -- End function
	.section	.AMDGPU.csdata,"",@progbits
; Kernel info:
; codeLenInByte = 3020
; NumSgprs: 29
; NumVgprs: 63
; ScratchSize: 0
; MemoryBound: 1
; FloatMode: 240
; IeeeMode: 1
; LDSByteSize: 0 bytes/workgroup (compile time only)
; SGPRBlocks: 3
; VGPRBlocks: 7
; NumSGPRsForWavesPerEU: 29
; NumVGPRsForWavesPerEU: 63
; Occupancy: 16
; WaveLimiterHint : 0
; COMPUTE_PGM_RSRC2:SCRATCH_EN: 0
; COMPUTE_PGM_RSRC2:USER_SGPR: 15
; COMPUTE_PGM_RSRC2:TRAP_HANDLER: 0
; COMPUTE_PGM_RSRC2:TGID_X_EN: 1
; COMPUTE_PGM_RSRC2:TGID_Y_EN: 0
; COMPUTE_PGM_RSRC2:TGID_Z_EN: 0
; COMPUTE_PGM_RSRC2:TIDIG_COMP_CNT: 0
	.section	.text._ZN2at6native12_GLOBAL__N_125multi_tensor_apply_kernelINS1_18TensorListMetadataILi3EEENS1_24PointwiseOpScalarFunctorIfLi3ELi3ELi0EEEJSt7dividesIfEfEEEvT_T0_DpT1_,"axG",@progbits,_ZN2at6native12_GLOBAL__N_125multi_tensor_apply_kernelINS1_18TensorListMetadataILi3EEENS1_24PointwiseOpScalarFunctorIfLi3ELi3ELi0EEEJSt7dividesIfEfEEEvT_T0_DpT1_,comdat
	.globl	_ZN2at6native12_GLOBAL__N_125multi_tensor_apply_kernelINS1_18TensorListMetadataILi3EEENS1_24PointwiseOpScalarFunctorIfLi3ELi3ELi0EEEJSt7dividesIfEfEEEvT_T0_DpT1_ ; -- Begin function _ZN2at6native12_GLOBAL__N_125multi_tensor_apply_kernelINS1_18TensorListMetadataILi3EEENS1_24PointwiseOpScalarFunctorIfLi3ELi3ELi0EEEJSt7dividesIfEfEEEvT_T0_DpT1_
	.p2align	8
	.type	_ZN2at6native12_GLOBAL__N_125multi_tensor_apply_kernelINS1_18TensorListMetadataILi3EEENS1_24PointwiseOpScalarFunctorIfLi3ELi3ELi0EEEJSt7dividesIfEfEEEvT_T0_DpT1_,@function
_ZN2at6native12_GLOBAL__N_125multi_tensor_apply_kernelINS1_18TensorListMetadataILi3EEENS1_24PointwiseOpScalarFunctorIfLi3ELi3ELi0EEEJSt7dividesIfEfEEEvT_T0_DpT1_: ; @_ZN2at6native12_GLOBAL__N_125multi_tensor_apply_kernelINS1_18TensorListMetadataILi3EEENS1_24PointwiseOpScalarFunctorIfLi3ELi3ELi0EEEJSt7dividesIfEfEEEvT_T0_DpT1_
; %bb.0:
	v_mov_b32_e32 v1, s15
	s_add_u32 s2, s0, s15
	s_mul_hi_u32 s3, s15, 3
	s_mul_i32 s15, s15, 3
	s_addc_u32 s4, s1, 0
	global_load_u8 v1, v1, s[0:1] offset:1536
	s_load_b32 s22, s[0:1], 0xc4c
	s_add_u32 s2, s2, s15
	s_addc_u32 s3, s4, s3
	s_mov_b32 s25, 0
	s_load_b32 s2, s[2:3], 0x740
	s_waitcnt vmcnt(0)
	v_readfirstlane_b32 s3, v1
	s_delay_alu instid0(VALU_DEP_1)
	s_lshl_b32 s3, s3, 3
	s_clause 0x3
	s_load_b64 s[4:5], s[0:1], s3 offset:0x0
	s_load_b64 s[6:7], s[0:1], s3 offset:0x180
	;; [unrolled: 1-line block ×4, first 2 shown]
	s_waitcnt lgkmcnt(0)
	s_ashr_i32 s3, s2, 31
	s_delay_alu instid0(SALU_CYCLE_1) | instskip(NEXT) | instid1(SALU_CYCLE_1)
	s_lshl_b64 s[10:11], s[2:3], 18
	s_add_u32 s16, s4, s10
	s_addc_u32 s17, s5, s11
	s_and_b32 s24, s16, 15
	s_add_u32 s18, s6, s10
	s_addc_u32 s19, s7, s11
	s_add_u32 s20, s14, s10
	s_addc_u32 s21, s15, s11
	s_or_b32 s8, s20, s18
	s_delay_alu instid0(SALU_CYCLE_1) | instskip(NEXT) | instid1(SALU_CYCLE_1)
	s_and_b32 s8, s8, 15
	s_cmp_eq_u32 s8, 0
	s_cselect_b32 s23, -1, 0
	s_lshl_b64 s[2:3], s[2:3], 16
	s_delay_alu instid0(SALU_CYCLE_1) | instskip(SKIP_3) | instid1(SALU_CYCLE_1)
	s_sub_u32 s8, s12, s2
	s_subb_u32 s9, s13, s3
	s_and_b32 s2, s12, 3
	s_mov_b32 s3, s25
	s_or_b64 s[2:3], s[24:25], s[2:3]
	s_delay_alu instid0(SALU_CYCLE_1) | instskip(SKIP_1) | instid1(SALU_CYCLE_1)
	s_cmp_eq_u64 s[2:3], 0
	s_cselect_b32 s2, -1, 0
	s_and_b32 s2, s23, s2
	s_delay_alu instid0(SALU_CYCLE_1)
	s_and_b32 vcc_lo, exec_lo, s2
	s_mov_b32 s2, -1
	s_cbranch_vccnz .LBB72_29
; %bb.1:
	v_cmp_lt_i64_e64 s2, s[8:9], 1
	s_delay_alu instid0(VALU_DEP_1)
	s_and_b32 vcc_lo, exec_lo, s2
	s_cbranch_vccnz .LBB72_28
; %bb.2:
	s_load_b32 s3, s[0:1], 0xc5c
	v_dual_mov_b32 v14, 0 :: v_dual_lshlrev_b32 v13, 2, v0
	v_cmp_gt_u64_e64 s12, 0x10000, s[8:9]
	v_cmp_eq_f32_e64 s2, s22, 1.0
	s_delay_alu instid0(VALU_DEP_3) | instskip(NEXT) | instid1(VALU_DEP_1)
	v_add_co_u32 v1, s13, s4, v13
	v_add_co_ci_u32_e64 v2, null, s5, 0, s13
	v_add_co_u32 v3, s13, s6, v13
	s_delay_alu instid0(VALU_DEP_1) | instskip(SKIP_1) | instid1(VALU_DEP_1)
	v_add_co_ci_u32_e64 v4, null, s7, 0, s13
	v_add_co_u32 v5, s13, s14, v13
	v_add_co_ci_u32_e64 v6, null, s15, 0, s13
	s_waitcnt lgkmcnt(0)
	s_and_b32 s3, s3, 0xffff
	s_and_b32 s12, s12, exec_lo
	v_mad_u64_u32 v[11:12], null, s3, 12, v[13:14]
	s_cselect_b32 s13, s9, 0
	s_cselect_b32 s12, s8, 0x10000
	s_mul_i32 s24, s3, 3
	s_lshl_b32 s25, s3, 3
	s_lshl_b32 s23, s3, 1
	v_add_co_u32 v20, s25, s25, v13
	v_add_co_u32 v13, s24, s24, v0
	v_add_co_u32 v7, vcc_lo, s4, v11
	v_add_co_ci_u32_e64 v14, null, 0, 0, s24
	v_add_co_u32 v19, s24, v0, s3
	v_add_co_ci_u32_e32 v8, vcc_lo, s5, v12, vcc_lo
	v_add_co_u32 v9, vcc_lo, s6, v11
	v_add_co_ci_u32_e32 v10, vcc_lo, s7, v12, vcc_lo
	v_add_co_u32 v11, vcc_lo, s14, v11
	v_add_co_ci_u32_e64 v21, null, 0, 0, s25
	v_lshlrev_b32_e32 v29, 2, v19
	v_add_co_ci_u32_e32 v12, vcc_lo, s15, v12, vcc_lo
	v_add_co_u32 v15, vcc_lo, s4, v20
	s_delay_alu instid0(VALU_DEP_4) | instskip(NEXT) | instid1(VALU_DEP_4)
	v_add_co_ci_u32_e32 v16, vcc_lo, s5, v21, vcc_lo
	v_add_co_u32 v25, s4, s4, v29
	v_add_co_u32 v17, vcc_lo, s6, v20
	v_add_co_ci_u32_e64 v26, null, s5, 0, s4
	v_add_co_u32 v27, s4, s6, v29
	v_add_co_ci_u32_e32 v18, vcc_lo, s7, v21, vcc_lo
	v_add_co_u32 v20, vcc_lo, s14, v20
	v_add_co_u32 v23, s23, s23, v0
	v_add_co_ci_u32_e64 v28, null, s7, 0, s4
	v_add_co_u32 v29, s4, s14, v29
	v_add_co_ci_u32_e32 v21, vcc_lo, s15, v21, vcc_lo
	v_add_co_ci_u32_e64 v22, null, 0, 0, s24
	v_add_co_ci_u32_e64 v24, null, 0, 0, s23
	;; [unrolled: 1-line block ×3, first 2 shown]
	s_lshl_b32 s7, s3, 2
	s_lshl_b32 s23, s3, 4
	s_mov_b64 s[14:15], 0
	s_branch .LBB72_4
.LBB72_3:                               ;   in Loop: Header=BB72_4 Depth=1
	s_or_b32 exec_lo, exec_lo, s3
	v_add_co_u32 v1, vcc_lo, v1, s23
	v_add_co_ci_u32_e32 v2, vcc_lo, 0, v2, vcc_lo
	v_add_co_u32 v3, vcc_lo, v3, s23
	v_add_co_ci_u32_e32 v4, vcc_lo, 0, v4, vcc_lo
	;; [unrolled: 2-line block ×9, first 2 shown]
	s_add_u32 s14, s14, s7
	v_add_co_u32 v25, vcc_lo, v25, s23
	s_addc_u32 s15, s15, 0
	v_add_co_ci_u32_e32 v26, vcc_lo, 0, v26, vcc_lo
	v_cmp_lt_i64_e64 s3, s[14:15], s[8:9]
	v_cmp_gt_u64_e64 s4, 0x10000, s[14:15]
	v_add_co_u32 v27, vcc_lo, v27, s23
	v_add_co_ci_u32_e32 v28, vcc_lo, 0, v28, vcc_lo
	v_add_co_u32 v29, vcc_lo, v29, s23
	v_add_co_ci_u32_e32 v30, vcc_lo, 0, v30, vcc_lo
	s_and_b32 s3, s3, s4
	s_delay_alu instid0(SALU_CYCLE_1)
	s_and_b32 vcc_lo, exec_lo, s3
	s_cbranch_vccz .LBB72_28
.LBB72_4:                               ; =>This Inner Loop Header: Depth=1
	s_waitcnt vmcnt(1)
	v_add_co_u32 v31, s3, v0, s14
	s_delay_alu instid0(VALU_DEP_1) | instskip(SKIP_2) | instid1(VALU_DEP_2)
	v_add_co_ci_u32_e64 v32, null, 0, s15, s3
	s_waitcnt vmcnt(0)
	v_mov_b32_e32 v33, 0
	v_cmp_gt_u64_e32 vcc_lo, s[12:13], v[31:32]
	v_mov_b32_e32 v32, 0
	s_and_saveexec_b32 s4, vcc_lo
	s_cbranch_execz .LBB72_6
; %bb.5:                                ;   in Loop: Header=BB72_4 Depth=1
	v_add_co_u32 v31, s3, v1, s10
	s_delay_alu instid0(VALU_DEP_1) | instskip(SKIP_1) | instid1(VALU_DEP_1)
	v_add_co_ci_u32_e64 v32, s3, s11, v2, s3
	v_add_co_u32 v33, s3, v3, s10
	v_add_co_ci_u32_e64 v34, s3, s11, v4, s3
	global_load_b32 v32, v[31:32], off
	global_load_b32 v33, v[33:34], off
.LBB72_6:                               ;   in Loop: Header=BB72_4 Depth=1
	s_or_b32 exec_lo, exec_lo, s4
	v_mov_b32_e32 v31, 0
	v_mov_b32_e32 v37, 0
	s_and_saveexec_b32 s4, vcc_lo
	s_cbranch_execz .LBB72_8
; %bb.7:                                ;   in Loop: Header=BB72_4 Depth=1
	v_add_co_u32 v34, s3, v5, s10
	s_delay_alu instid0(VALU_DEP_1)
	v_add_co_ci_u32_e64 v35, s3, s11, v6, s3
	global_load_b32 v37, v[34:35], off
.LBB72_8:                               ;   in Loop: Header=BB72_4 Depth=1
	s_or_b32 exec_lo, exec_lo, s4
	v_add_co_u32 v34, s3, v19, s14
	s_delay_alu instid0(VALU_DEP_1) | instskip(NEXT) | instid1(VALU_DEP_1)
	v_add_co_ci_u32_e64 v35, s3, s15, v22, s3
	v_cmp_gt_u64_e64 s3, s[12:13], v[34:35]
	v_mov_b32_e32 v35, 0
	s_delay_alu instid0(VALU_DEP_2)
	s_and_saveexec_b32 s5, s3
	s_cbranch_execz .LBB72_10
; %bb.9:                                ;   in Loop: Header=BB72_4 Depth=1
	v_add_co_u32 v34, s4, v25, s10
	s_delay_alu instid0(VALU_DEP_1) | instskip(SKIP_1) | instid1(VALU_DEP_1)
	v_add_co_ci_u32_e64 v35, s4, s11, v26, s4
	v_add_co_u32 v38, s4, v27, s10
	v_add_co_ci_u32_e64 v39, s4, s11, v28, s4
	global_load_b32 v31, v[34:35], off
	global_load_b32 v35, v[38:39], off
.LBB72_10:                              ;   in Loop: Header=BB72_4 Depth=1
	s_or_b32 exec_lo, exec_lo, s5
	v_dual_mov_b32 v34, 0 :: v_dual_mov_b32 v39, 0
	s_and_saveexec_b32 s5, s3
	s_cbranch_execz .LBB72_12
; %bb.11:                               ;   in Loop: Header=BB72_4 Depth=1
	v_add_co_u32 v38, s4, v29, s10
	s_delay_alu instid0(VALU_DEP_1)
	v_add_co_ci_u32_e64 v39, s4, s11, v30, s4
	global_load_b32 v39, v[38:39], off
.LBB72_12:                              ;   in Loop: Header=BB72_4 Depth=1
	s_or_b32 exec_lo, exec_lo, s5
	v_add_co_u32 v40, s4, v23, s14
	s_delay_alu instid0(VALU_DEP_1) | instskip(SKIP_1) | instid1(VALU_DEP_2)
	v_add_co_ci_u32_e64 v41, s4, s15, v24, s4
	v_mov_b32_e32 v38, 0
	v_cmp_gt_u64_e64 s4, s[12:13], v[40:41]
	s_delay_alu instid0(VALU_DEP_1)
	s_and_saveexec_b32 s6, s4
	s_cbranch_execz .LBB72_14
; %bb.13:                               ;   in Loop: Header=BB72_4 Depth=1
	v_add_co_u32 v40, s5, v15, s10
	s_delay_alu instid0(VALU_DEP_1) | instskip(SKIP_1) | instid1(VALU_DEP_1)
	v_add_co_ci_u32_e64 v41, s5, s11, v16, s5
	v_add_co_u32 v42, s5, v17, s10
	v_add_co_ci_u32_e64 v43, s5, s11, v18, s5
	global_load_b32 v34, v[40:41], off
	global_load_b32 v38, v[42:43], off
.LBB72_14:                              ;   in Loop: Header=BB72_4 Depth=1
	s_or_b32 exec_lo, exec_lo, s6
	v_dual_mov_b32 v36, 0 :: v_dual_mov_b32 v41, 0
	s_and_saveexec_b32 s6, s4
	s_cbranch_execz .LBB72_16
; %bb.15:                               ;   in Loop: Header=BB72_4 Depth=1
	v_add_co_u32 v40, s5, v20, s10
	s_delay_alu instid0(VALU_DEP_1)
	v_add_co_ci_u32_e64 v41, s5, s11, v21, s5
	global_load_b32 v41, v[40:41], off
.LBB72_16:                              ;   in Loop: Header=BB72_4 Depth=1
	s_or_b32 exec_lo, exec_lo, s6
	v_add_co_u32 v42, s5, v13, s14
	s_delay_alu instid0(VALU_DEP_1) | instskip(SKIP_1) | instid1(VALU_DEP_2)
	v_add_co_ci_u32_e64 v43, s5, s15, v14, s5
	v_mov_b32_e32 v40, 0
	v_cmp_gt_u64_e64 s5, s[12:13], v[42:43]
	s_delay_alu instid0(VALU_DEP_1)
	s_and_saveexec_b32 s24, s5
	s_cbranch_execnz .LBB72_22
; %bb.17:                               ;   in Loop: Header=BB72_4 Depth=1
	s_or_b32 exec_lo, exec_lo, s24
	v_mov_b32_e32 v42, 0
	s_and_saveexec_b32 s24, s5
	s_cbranch_execnz .LBB72_23
.LBB72_18:                              ;   in Loop: Header=BB72_4 Depth=1
	s_or_b32 exec_lo, exec_lo, s24
	s_and_saveexec_b32 s6, vcc_lo
	s_cbranch_execnz .LBB72_24
.LBB72_19:                              ;   in Loop: Header=BB72_4 Depth=1
	s_or_b32 exec_lo, exec_lo, s6
	s_and_saveexec_b32 s6, s3
	s_cbranch_execnz .LBB72_25
.LBB72_20:                              ;   in Loop: Header=BB72_4 Depth=1
	s_or_b32 exec_lo, exec_lo, s6
	s_and_saveexec_b32 s3, s4
	s_cbranch_execnz .LBB72_26
.LBB72_21:                              ;   in Loop: Header=BB72_4 Depth=1
	s_or_b32 exec_lo, exec_lo, s3
	s_and_saveexec_b32 s3, s5
	s_cbranch_execz .LBB72_3
	s_branch .LBB72_27
.LBB72_22:                              ;   in Loop: Header=BB72_4 Depth=1
	v_add_co_u32 v42, s6, v7, s10
	s_delay_alu instid0(VALU_DEP_1) | instskip(SKIP_1) | instid1(VALU_DEP_1)
	v_add_co_ci_u32_e64 v43, s6, s11, v8, s6
	v_add_co_u32 v44, s6, v9, s10
	v_add_co_ci_u32_e64 v45, s6, s11, v10, s6
	global_load_b32 v36, v[42:43], off
	global_load_b32 v40, v[44:45], off
	s_or_b32 exec_lo, exec_lo, s24
	v_mov_b32_e32 v42, 0
	s_and_saveexec_b32 s24, s5
	s_cbranch_execz .LBB72_18
.LBB72_23:                              ;   in Loop: Header=BB72_4 Depth=1
	v_add_co_u32 v42, s6, v11, s10
	s_delay_alu instid0(VALU_DEP_1)
	v_add_co_ci_u32_e64 v43, s6, s11, v12, s6
	global_load_b32 v42, v[42:43], off
	s_or_b32 exec_lo, exec_lo, s24
	s_and_saveexec_b32 s6, vcc_lo
	s_cbranch_execz .LBB72_19
.LBB72_24:                              ;   in Loop: Header=BB72_4 Depth=1
	s_waitcnt vmcnt(0)
	v_div_scale_f32 v43, null, v37, v37, v33
	v_div_scale_f32 v46, vcc_lo, v33, v37, v33
	s_delay_alu instid0(VALU_DEP_2) | instskip(SKIP_2) | instid1(VALU_DEP_1)
	v_rcp_f32_e32 v44, v43
	s_waitcnt_depctr 0xfff
	v_fma_f32 v45, -v43, v44, 1.0
	v_fmac_f32_e32 v44, v45, v44
	s_delay_alu instid0(VALU_DEP_1) | instskip(NEXT) | instid1(VALU_DEP_1)
	v_mul_f32_e32 v45, v46, v44
	v_fma_f32 v47, -v43, v45, v46
	s_delay_alu instid0(VALU_DEP_1) | instskip(NEXT) | instid1(VALU_DEP_1)
	v_fmac_f32_e32 v45, v47, v44
	v_fma_f32 v43, -v43, v45, v46
	s_delay_alu instid0(VALU_DEP_1) | instskip(NEXT) | instid1(VALU_DEP_1)
	v_div_fmas_f32 v43, v43, v44, v45
	v_div_fixup_f32 v33, v43, v37, v33
	v_add_co_u32 v43, vcc_lo, v1, s10
	v_add_co_ci_u32_e32 v44, vcc_lo, s11, v2, vcc_lo
	s_delay_alu instid0(VALU_DEP_3) | instskip(SKIP_1) | instid1(VALU_DEP_1)
	v_add_f32_e32 v37, v32, v33
	v_fmac_f32_e32 v32, s22, v33
	v_cndmask_b32_e64 v32, v32, v37, s2
	global_store_b32 v[43:44], v32, off
	s_or_b32 exec_lo, exec_lo, s6
	s_and_saveexec_b32 s6, s3
	s_cbranch_execz .LBB72_20
.LBB72_25:                              ;   in Loop: Header=BB72_4 Depth=1
	s_waitcnt vmcnt(0)
	v_div_scale_f32 v32, null, v39, v39, v35
	v_div_scale_f32 v43, vcc_lo, v35, v39, v35
	s_delay_alu instid0(VALU_DEP_2) | instskip(SKIP_2) | instid1(VALU_DEP_1)
	v_rcp_f32_e32 v33, v32
	s_waitcnt_depctr 0xfff
	v_fma_f32 v37, -v32, v33, 1.0
	v_fmac_f32_e32 v33, v37, v33
	s_delay_alu instid0(VALU_DEP_1) | instskip(NEXT) | instid1(VALU_DEP_1)
	v_mul_f32_e32 v37, v43, v33
	v_fma_f32 v44, -v32, v37, v43
	s_delay_alu instid0(VALU_DEP_1) | instskip(NEXT) | instid1(VALU_DEP_1)
	v_fmac_f32_e32 v37, v44, v33
	v_fma_f32 v32, -v32, v37, v43
	s_delay_alu instid0(VALU_DEP_1) | instskip(NEXT) | instid1(VALU_DEP_1)
	v_div_fmas_f32 v32, v32, v33, v37
	v_div_fixup_f32 v32, v32, v39, v35
	s_delay_alu instid0(VALU_DEP_1) | instskip(SKIP_1) | instid1(VALU_DEP_1)
	v_add_f32_e32 v33, v31, v32
	v_fmac_f32_e32 v31, s22, v32
	v_cndmask_b32_e64 v33, v31, v33, s2
	v_add_co_u32 v31, vcc_lo, v25, s10
	v_add_co_ci_u32_e32 v32, vcc_lo, s11, v26, vcc_lo
	global_store_b32 v[31:32], v33, off
	s_or_b32 exec_lo, exec_lo, s6
	s_and_saveexec_b32 s3, s4
	s_cbranch_execz .LBB72_21
.LBB72_26:                              ;   in Loop: Header=BB72_4 Depth=1
	s_waitcnt vmcnt(0)
	v_div_scale_f32 v31, null, v41, v41, v38
	v_div_scale_f32 v35, vcc_lo, v38, v41, v38
	s_delay_alu instid0(VALU_DEP_2) | instskip(SKIP_2) | instid1(VALU_DEP_1)
	v_rcp_f32_e32 v32, v31
	s_waitcnt_depctr 0xfff
	v_fma_f32 v33, -v31, v32, 1.0
	v_fmac_f32_e32 v32, v33, v32
	s_delay_alu instid0(VALU_DEP_1) | instskip(NEXT) | instid1(VALU_DEP_1)
	v_mul_f32_e32 v33, v35, v32
	v_fma_f32 v37, -v31, v33, v35
	s_delay_alu instid0(VALU_DEP_1) | instskip(NEXT) | instid1(VALU_DEP_1)
	v_fmac_f32_e32 v33, v37, v32
	v_fma_f32 v31, -v31, v33, v35
	s_delay_alu instid0(VALU_DEP_1) | instskip(NEXT) | instid1(VALU_DEP_1)
	v_div_fmas_f32 v31, v31, v32, v33
	v_div_fixup_f32 v31, v31, v41, v38
	s_delay_alu instid0(VALU_DEP_1) | instskip(SKIP_2) | instid1(VALU_DEP_2)
	v_add_f32_e32 v32, v34, v31
	v_fmac_f32_e32 v34, s22, v31
	v_add_co_u32 v31, vcc_lo, v15, s10
	v_cndmask_b32_e64 v33, v34, v32, s2
	v_add_co_ci_u32_e32 v32, vcc_lo, s11, v16, vcc_lo
	global_store_b32 v[31:32], v33, off
	s_or_b32 exec_lo, exec_lo, s3
	s_and_saveexec_b32 s3, s5
	s_cbranch_execz .LBB72_3
.LBB72_27:                              ;   in Loop: Header=BB72_4 Depth=1
	s_waitcnt vmcnt(0)
	v_div_scale_f32 v31, null, v42, v42, v40
	v_div_scale_f32 v34, vcc_lo, v40, v42, v40
	s_delay_alu instid0(VALU_DEP_2) | instskip(SKIP_2) | instid1(VALU_DEP_1)
	v_rcp_f32_e32 v32, v31
	s_waitcnt_depctr 0xfff
	v_fma_f32 v33, -v31, v32, 1.0
	v_fmac_f32_e32 v32, v33, v32
	s_delay_alu instid0(VALU_DEP_1) | instskip(NEXT) | instid1(VALU_DEP_1)
	v_mul_f32_e32 v33, v34, v32
	v_fma_f32 v35, -v31, v33, v34
	s_delay_alu instid0(VALU_DEP_1) | instskip(NEXT) | instid1(VALU_DEP_1)
	v_fmac_f32_e32 v33, v35, v32
	v_fma_f32 v31, -v31, v33, v34
	s_delay_alu instid0(VALU_DEP_1) | instskip(NEXT) | instid1(VALU_DEP_1)
	v_div_fmas_f32 v31, v31, v32, v33
	v_div_fixup_f32 v31, v31, v42, v40
	s_delay_alu instid0(VALU_DEP_1) | instskip(SKIP_2) | instid1(VALU_DEP_2)
	v_add_f32_e32 v32, v36, v31
	v_fmac_f32_e32 v36, s22, v31
	v_add_co_u32 v31, vcc_lo, v7, s10
	v_cndmask_b32_e64 v33, v36, v32, s2
	v_add_co_ci_u32_e32 v32, vcc_lo, s11, v8, vcc_lo
	global_store_b32 v[31:32], v33, off
	s_branch .LBB72_3
.LBB72_28:
	s_mov_b32 s2, 0
.LBB72_29:
	s_delay_alu instid0(SALU_CYCLE_1)
	s_and_not1_b32 vcc_lo, exec_lo, s2
	s_cbranch_vccnz .LBB72_33
; %bb.30:
	v_dual_mov_b32 v2, 0 :: v_dual_lshlrev_b32 v1, 2, v0
	s_mov_b32 s4, 0
	s_mov_b32 s2, exec_lo
	s_delay_alu instid0(VALU_DEP_1)
	v_cmpx_gt_i64_e64 s[8:9], v[1:2]
	s_cbranch_execz .LBB72_33
; %bb.31:
	s_load_b32 s0, s[0:1], 0xc5c
	s_waitcnt lgkmcnt(0)
	s_and_b32 s1, s0, 0xffff
	v_cmp_eq_f32_e64 s0, s22, 1.0
	v_add_lshl_u32 v1, v0, s1, 2
	v_lshlrev_b32_e32 v0, 4, v0
	s_lshl_b32 s5, s1, 2
	s_lshl_b32 s6, s1, 4
.LBB72_32:                              ; =>This Inner Loop Header: Depth=1
	s_delay_alu instid0(VALU_DEP_1) | instskip(NEXT) | instid1(VALU_DEP_1)
	v_add_co_u32 v3, s1, s18, v0
	v_add_co_ci_u32_e64 v4, null, s19, 0, s1
	v_add_co_u32 v7, s1, s20, v0
	s_delay_alu instid0(VALU_DEP_1) | instskip(SKIP_3) | instid1(VALU_DEP_1)
	v_add_co_ci_u32_e64 v8, null, s21, 0, s1
	global_load_b128 v[3:6], v[3:4], off
	global_load_b128 v[7:10], v[7:8], off
	v_add_co_u32 v15, s1, s16, v0
	v_add_co_ci_u32_e64 v16, null, s17, 0, s1
	v_cmp_le_i64_e32 vcc_lo, s[8:9], v[1:2]
	v_cmp_lt_u64_e64 s1, 0xffff, v[1:2]
	v_add_co_u32 v1, s2, v1, s5
	global_load_b128 v[11:14], v[15:16], off
	v_add_co_ci_u32_e64 v2, s2, 0, v2, s2
	s_or_b32 s7, vcc_lo, s1
	s_add_u32 s16, s16, s6
	s_addc_u32 s17, s17, 0
	s_add_u32 s20, s20, s6
	s_addc_u32 s21, s21, 0
	;; [unrolled: 2-line block ×3, first 2 shown]
	s_waitcnt vmcnt(1)
	v_div_scale_f32 v17, null, v7, v7, v3
	v_div_scale_f32 v19, null, v8, v8, v4
	;; [unrolled: 1-line block ×3, first 2 shown]
	s_delay_alu instid0(VALU_DEP_3) | instskip(SKIP_1) | instid1(VALU_DEP_3)
	v_rcp_f32_e32 v25, v17
	v_div_scale_f32 v23, null, v10, v10, v6
	v_rcp_f32_e32 v26, v19
	s_delay_alu instid0(VALU_DEP_2) | instskip(SKIP_1) | instid1(VALU_DEP_2)
	v_rcp_f32_e32 v27, v21
	v_div_scale_f32 v18, vcc_lo, v3, v7, v3
	v_rcp_f32_e32 v28, v23
	v_div_scale_f32 v20, s1, v4, v8, v4
	v_fma_f32 v29, -v17, v25, 1.0
	v_div_scale_f32 v22, s2, v5, v9, v5
	s_delay_alu instid0(TRANS32_DEP_3) | instskip(NEXT) | instid1(TRANS32_DEP_2)
	v_fma_f32 v30, -v19, v26, 1.0
	v_fma_f32 v31, -v21, v27, 1.0
	s_delay_alu instid0(VALU_DEP_4) | instskip(SKIP_1) | instid1(VALU_DEP_4)
	v_fmac_f32_e32 v25, v29, v25
	v_div_scale_f32 v24, s3, v6, v10, v6
	v_fmac_f32_e32 v26, v30, v26
	s_delay_alu instid0(TRANS32_DEP_1) | instskip(SKIP_1) | instid1(VALU_DEP_3)
	v_fma_f32 v32, -v23, v28, 1.0
	v_fmac_f32_e32 v27, v31, v27
	v_dual_mul_f32 v29, v18, v25 :: v_dual_mul_f32 v30, v20, v26
	s_delay_alu instid0(VALU_DEP_2) | instskip(NEXT) | instid1(VALU_DEP_2)
	v_dual_fmac_f32 v28, v32, v28 :: v_dual_mul_f32 v31, v22, v27
	v_fma_f32 v33, -v17, v29, v18
	s_delay_alu instid0(VALU_DEP_3) | instskip(NEXT) | instid1(VALU_DEP_3)
	v_fma_f32 v34, -v19, v30, v20
	v_mul_f32_e32 v32, v24, v28
	s_delay_alu instid0(VALU_DEP_4) | instskip(NEXT) | instid1(VALU_DEP_3)
	v_fma_f32 v35, -v21, v31, v22
	v_dual_fmac_f32 v29, v33, v25 :: v_dual_fmac_f32 v30, v34, v26
	s_delay_alu instid0(VALU_DEP_3) | instskip(NEXT) | instid1(VALU_DEP_3)
	v_fma_f32 v36, -v23, v32, v24
	v_fmac_f32_e32 v31, v35, v27
	s_delay_alu instid0(VALU_DEP_3) | instskip(NEXT) | instid1(VALU_DEP_4)
	v_fma_f32 v17, -v17, v29, v18
	v_fma_f32 v18, -v19, v30, v20
	s_delay_alu instid0(VALU_DEP_4) | instskip(NEXT) | instid1(VALU_DEP_4)
	v_fmac_f32_e32 v32, v36, v28
	v_fma_f32 v19, -v21, v31, v22
	s_delay_alu instid0(VALU_DEP_4)
	v_div_fmas_f32 v17, v17, v25, v29
	s_mov_b32 vcc_lo, s1
	s_and_b32 s1, exec_lo, s7
	v_fma_f32 v20, -v23, v32, v24
	v_div_fmas_f32 v18, v18, v26, v30
	s_mov_b32 vcc_lo, s2
	v_div_fixup_f32 v3, v17, v7, v3
	v_div_fmas_f32 v19, v19, v27, v31
	s_mov_b32 vcc_lo, s3
	v_div_fixup_f32 v4, v18, v8, v4
	v_div_fmas_f32 v7, v20, v28, v32
	s_waitcnt vmcnt(0)
	v_add_f32_e32 v8, v11, v3
	v_div_fixup_f32 v5, v19, v9, v5
	v_fma_f32 v3, s22, v3, v11
	s_or_b32 s4, s1, s4
	v_div_fixup_f32 v6, v7, v10, v6
	v_add_f32_e32 v7, v12, v4
	v_fma_f32 v4, s22, v4, v12
	v_add_f32_e32 v9, v13, v5
	v_fma_f32 v5, s22, v5, v13
	v_add_f32_e32 v10, v14, v6
	v_fmac_f32_e32 v14, s22, v6
	v_cndmask_b32_e64 v3, v3, v8, s0
	v_cndmask_b32_e64 v4, v4, v7, s0
	;; [unrolled: 1-line block ×3, first 2 shown]
	s_delay_alu instid0(VALU_DEP_4)
	v_cndmask_b32_e64 v6, v14, v10, s0
	global_store_b128 v[15:16], v[3:6], off
	s_and_not1_b32 exec_lo, exec_lo, s4
	s_cbranch_execnz .LBB72_32
.LBB72_33:
	s_nop 0
	s_sendmsg sendmsg(MSG_DEALLOC_VGPRS)
	s_endpgm
	.section	.rodata,"a",@progbits
	.p2align	6, 0x0
	.amdhsa_kernel _ZN2at6native12_GLOBAL__N_125multi_tensor_apply_kernelINS1_18TensorListMetadataILi3EEENS1_24PointwiseOpScalarFunctorIfLi3ELi3ELi0EEEJSt7dividesIfEfEEEvT_T0_DpT1_
		.amdhsa_group_segment_fixed_size 0
		.amdhsa_private_segment_fixed_size 0
		.amdhsa_kernarg_size 3408
		.amdhsa_user_sgpr_count 15
		.amdhsa_user_sgpr_dispatch_ptr 0
		.amdhsa_user_sgpr_queue_ptr 0
		.amdhsa_user_sgpr_kernarg_segment_ptr 1
		.amdhsa_user_sgpr_dispatch_id 0
		.amdhsa_user_sgpr_private_segment_size 0
		.amdhsa_wavefront_size32 1
		.amdhsa_uses_dynamic_stack 0
		.amdhsa_enable_private_segment 0
		.amdhsa_system_sgpr_workgroup_id_x 1
		.amdhsa_system_sgpr_workgroup_id_y 0
		.amdhsa_system_sgpr_workgroup_id_z 0
		.amdhsa_system_sgpr_workgroup_info 0
		.amdhsa_system_vgpr_workitem_id 0
		.amdhsa_next_free_vgpr 48
		.amdhsa_next_free_sgpr 26
		.amdhsa_reserve_vcc 1
		.amdhsa_float_round_mode_32 0
		.amdhsa_float_round_mode_16_64 0
		.amdhsa_float_denorm_mode_32 3
		.amdhsa_float_denorm_mode_16_64 3
		.amdhsa_dx10_clamp 1
		.amdhsa_ieee_mode 1
		.amdhsa_fp16_overflow 0
		.amdhsa_workgroup_processor_mode 1
		.amdhsa_memory_ordered 1
		.amdhsa_forward_progress 0
		.amdhsa_shared_vgpr_count 0
		.amdhsa_exception_fp_ieee_invalid_op 0
		.amdhsa_exception_fp_denorm_src 0
		.amdhsa_exception_fp_ieee_div_zero 0
		.amdhsa_exception_fp_ieee_overflow 0
		.amdhsa_exception_fp_ieee_underflow 0
		.amdhsa_exception_fp_ieee_inexact 0
		.amdhsa_exception_int_div_zero 0
	.end_amdhsa_kernel
	.section	.text._ZN2at6native12_GLOBAL__N_125multi_tensor_apply_kernelINS1_18TensorListMetadataILi3EEENS1_24PointwiseOpScalarFunctorIfLi3ELi3ELi0EEEJSt7dividesIfEfEEEvT_T0_DpT1_,"axG",@progbits,_ZN2at6native12_GLOBAL__N_125multi_tensor_apply_kernelINS1_18TensorListMetadataILi3EEENS1_24PointwiseOpScalarFunctorIfLi3ELi3ELi0EEEJSt7dividesIfEfEEEvT_T0_DpT1_,comdat
.Lfunc_end72:
	.size	_ZN2at6native12_GLOBAL__N_125multi_tensor_apply_kernelINS1_18TensorListMetadataILi3EEENS1_24PointwiseOpScalarFunctorIfLi3ELi3ELi0EEEJSt7dividesIfEfEEEvT_T0_DpT1_, .Lfunc_end72-_ZN2at6native12_GLOBAL__N_125multi_tensor_apply_kernelINS1_18TensorListMetadataILi3EEENS1_24PointwiseOpScalarFunctorIfLi3ELi3ELi0EEEJSt7dividesIfEfEEEvT_T0_DpT1_
                                        ; -- End function
	.section	.AMDGPU.csdata,"",@progbits
; Kernel info:
; codeLenInByte = 2752
; NumSgprs: 28
; NumVgprs: 48
; ScratchSize: 0
; MemoryBound: 0
; FloatMode: 240
; IeeeMode: 1
; LDSByteSize: 0 bytes/workgroup (compile time only)
; SGPRBlocks: 3
; VGPRBlocks: 5
; NumSGPRsForWavesPerEU: 28
; NumVGPRsForWavesPerEU: 48
; Occupancy: 16
; WaveLimiterHint : 0
; COMPUTE_PGM_RSRC2:SCRATCH_EN: 0
; COMPUTE_PGM_RSRC2:USER_SGPR: 15
; COMPUTE_PGM_RSRC2:TRAP_HANDLER: 0
; COMPUTE_PGM_RSRC2:TGID_X_EN: 1
; COMPUTE_PGM_RSRC2:TGID_Y_EN: 0
; COMPUTE_PGM_RSRC2:TGID_Z_EN: 0
; COMPUTE_PGM_RSRC2:TIDIG_COMP_CNT: 0
	.section	.text._ZN2at6native12_GLOBAL__N_125multi_tensor_apply_kernelINS1_18TensorListMetadataILi3EEENS1_24PointwiseOpScalarFunctorIN3c107complexIdEELi3ELi3ELi0EEEJSt7dividesIS8_ES8_EEEvT_T0_DpT1_,"axG",@progbits,_ZN2at6native12_GLOBAL__N_125multi_tensor_apply_kernelINS1_18TensorListMetadataILi3EEENS1_24PointwiseOpScalarFunctorIN3c107complexIdEELi3ELi3ELi0EEEJSt7dividesIS8_ES8_EEEvT_T0_DpT1_,comdat
	.globl	_ZN2at6native12_GLOBAL__N_125multi_tensor_apply_kernelINS1_18TensorListMetadataILi3EEENS1_24PointwiseOpScalarFunctorIN3c107complexIdEELi3ELi3ELi0EEEJSt7dividesIS8_ES8_EEEvT_T0_DpT1_ ; -- Begin function _ZN2at6native12_GLOBAL__N_125multi_tensor_apply_kernelINS1_18TensorListMetadataILi3EEENS1_24PointwiseOpScalarFunctorIN3c107complexIdEELi3ELi3ELi0EEEJSt7dividesIS8_ES8_EEEvT_T0_DpT1_
	.p2align	8
	.type	_ZN2at6native12_GLOBAL__N_125multi_tensor_apply_kernelINS1_18TensorListMetadataILi3EEENS1_24PointwiseOpScalarFunctorIN3c107complexIdEELi3ELi3ELi0EEEJSt7dividesIS8_ES8_EEEvT_T0_DpT1_,@function
_ZN2at6native12_GLOBAL__N_125multi_tensor_apply_kernelINS1_18TensorListMetadataILi3EEENS1_24PointwiseOpScalarFunctorIN3c107complexIdEELi3ELi3ELi0EEEJSt7dividesIS8_ES8_EEEvT_T0_DpT1_: ; @_ZN2at6native12_GLOBAL__N_125multi_tensor_apply_kernelINS1_18TensorListMetadataILi3EEENS1_24PointwiseOpScalarFunctorIN3c107complexIdEELi3ELi3ELi0EEEJSt7dividesIS8_ES8_EEEvT_T0_DpT1_
; %bb.0:
	v_mov_b32_e32 v1, s15
	s_add_u32 s2, s0, s15
	s_mul_hi_u32 s3, s15, 3
	s_mul_i32 s15, s15, 3
	s_addc_u32 s4, s1, 0
	global_load_u8 v1, v1, s[0:1] offset:1536
	s_add_u32 s2, s2, s15
	s_addc_u32 s3, s4, s3
	s_mov_b32 s19, 0
	s_load_b32 s12, s[2:3], 0x740
	s_waitcnt lgkmcnt(0)
	s_ashr_i32 s13, s12, 31
	s_delay_alu instid0(SALU_CYCLE_1) | instskip(SKIP_2) | instid1(VALU_DEP_1)
	s_lshl_b64 s[14:15], s[12:13], 20
	s_waitcnt vmcnt(0)
	v_readfirstlane_b32 s2, v1
	s_lshl_b32 s8, s2, 3
	s_clause 0x3
	s_load_b64 s[2:3], s[0:1], s8 offset:0x0
	s_load_b64 s[4:5], s[0:1], s8 offset:0x180
	;; [unrolled: 1-line block ×4, first 2 shown]
	s_waitcnt lgkmcnt(0)
	s_add_u32 s22, s2, s14
	s_addc_u32 s23, s3, s15
	s_add_u32 s24, s4, s14
	s_addc_u32 s25, s5, s15
	;; [unrolled: 2-line block ×3, first 2 shown]
	s_or_b32 s8, s26, s24
	s_and_b32 s18, s22, 63
	s_and_b32 s8, s8, 63
	s_delay_alu instid0(SALU_CYCLE_1) | instskip(SKIP_3) | instid1(SALU_CYCLE_1)
	s_cmp_eq_u32 s8, 0
	s_load_b128 s[8:11], s[0:1], 0xc50
	s_cselect_b32 s20, -1, 0
	s_lshl_b64 s[12:13], s[12:13], 16
	s_sub_u32 s12, s16, s12
	s_subb_u32 s13, s17, s13
	s_and_b32 s16, s16, 3
	s_mov_b32 s17, s19
	s_delay_alu instid0(SALU_CYCLE_1) | instskip(NEXT) | instid1(SALU_CYCLE_1)
	s_or_b64 s[16:17], s[18:19], s[16:17]
	s_cmp_eq_u64 s[16:17], 0
	s_cselect_b32 s16, -1, 0
	s_delay_alu instid0(SALU_CYCLE_1) | instskip(NEXT) | instid1(SALU_CYCLE_1)
	s_and_b32 s16, s20, s16
	s_and_b32 vcc_lo, exec_lo, s16
	s_mov_b32 s16, -1
	s_cbranch_vccnz .LBB73_109
; %bb.1:
	v_cmp_lt_i64_e64 s16, s[12:13], 1
	s_delay_alu instid0(VALU_DEP_1)
	s_and_b32 vcc_lo, exec_lo, s16
	s_cbranch_vccnz .LBB73_108
; %bb.2:
	s_waitcnt lgkmcnt(0)
	v_cmp_neq_f64_e64 s16, s[8:9], 1.0
	v_cmp_neq_f64_e64 s20, s[10:11], 0
	s_load_b32 s18, s[0:1], 0xc6c
	v_dual_mov_b32 v1, 0 :: v_dual_lshlrev_b32 v6, 4, v0
	v_cmp_gt_u64_e64 s19, 0x10000, s[12:13]
	s_mov_b32 s17, 0
	s_delay_alu instid0(VALU_DEP_2) | instskip(NEXT) | instid1(VALU_DEP_3)
	v_or_b32_e32 v2, 8, v6
	v_mov_b32_e32 v3, v1
	v_dual_mov_b32 v50, v1 :: v_dual_mov_b32 v49, v0
	s_delay_alu instid0(VALU_DEP_3) | instskip(NEXT) | instid1(VALU_DEP_1)
	v_add_co_u32 v59, s21, s4, v2
	v_add_co_ci_u32_e64 v60, null, s5, 0, s21
	v_add_co_u32 v61, s21, s2, v2
	s_delay_alu instid0(VALU_DEP_1)
	v_add_co_ci_u32_e64 v62, null, s3, 0, s21
	v_add_co_u32 v63, s21, s6, v2
	s_waitcnt lgkmcnt(0)
	s_and_b32 s28, s18, 0xffff
	s_and_b32 s18, s19, exec_lo
	v_mad_u64_u32 v[4:5], null, s28, 48, v[2:3]
	v_add_lshl_u32 v7, v0, s28, 4
	s_cselect_b32 s19, s13, 0
	s_cselect_b32 s18, s12, 0x10000
	v_add_co_ci_u32_e64 v64, null, s7, 0, s21
	s_delay_alu instid0(VALU_DEP_2) | instskip(NEXT) | instid1(VALU_DEP_4)
	v_add_co_u32 v65, s21, s6, v7
	v_add_co_u32 v69, vcc_lo, s4, v4
	v_add_co_ci_u32_e32 v70, vcc_lo, s5, v5, vcc_lo
	v_add_co_u32 v73, vcc_lo, s2, v4
	s_or_b32 s31, s16, s20
	v_add_co_u32 v71, s16, s4, v7
	s_delay_alu instid0(VALU_DEP_1)
	v_add_co_ci_u32_e64 v72, null, s5, 0, s16
	s_lshl_b32 s16, s28, 5
	v_add_co_ci_u32_e32 v74, vcc_lo, s3, v5, vcc_lo
	v_add_co_u32 v2, s16, s16, v6
	v_add_co_u32 v75, vcc_lo, s6, v4
	v_add_co_ci_u32_e64 v3, null, 0, 0, s16
	s_delay_alu instid0(VALU_DEP_3) | instskip(SKIP_2) | instid1(VALU_DEP_4)
	v_or_b32_e32 v4, 8, v2
	v_add_co_ci_u32_e32 v76, vcc_lo, s7, v5, vcc_lo
	v_add_co_u32 v77, vcc_lo, s6, v2
	v_add_co_ci_u32_e32 v78, vcc_lo, s7, v3, vcc_lo
	s_delay_alu instid0(VALU_DEP_4)
	v_add_co_u32 v79, vcc_lo, s4, v4
	v_add_co_ci_u32_e32 v80, vcc_lo, s5, v3, vcc_lo
	v_add_co_ci_u32_e64 v66, null, s7, 0, s21
	v_add_co_u32 v67, s21, s2, v7
	v_add_co_u32 v81, vcc_lo, s2, v4
	v_add_co_ci_u32_e64 v68, null, s3, 0, s21
	v_add_co_ci_u32_e32 v82, vcc_lo, s3, v3, vcc_lo
	s_lshl_b32 s16, s28, 2
	s_lshl_b32 s29, s28, 1
	s_mul_i32 s30, s28, 3
	s_lshl_b32 s33, s28, 6
	s_mov_b64 s[20:21], s[16:17]
	s_branch .LBB73_4
.LBB73_3:                               ;   in Loop: Header=BB73_4 Depth=1
	s_or_b32 exec_lo, exec_lo, s2
	v_add_co_u32 v49, vcc_lo, v49, s16
	v_add_co_ci_u32_e32 v50, vcc_lo, 0, v50, vcc_lo
	v_add_co_u32 v59, vcc_lo, v59, s33
	v_add_co_ci_u32_e32 v60, vcc_lo, 0, v60, vcc_lo
	;; [unrolled: 2-line block ×11, first 2 shown]
	v_cmp_ge_i64_e64 s2, s[20:21], s[12:13]
	v_cmp_lt_u64_e64 s3, 0xffff, s[20:21]
	v_add_co_u32 v79, vcc_lo, v79, s33
	v_add_co_ci_u32_e32 v80, vcc_lo, 0, v80, vcc_lo
	v_add_co_u32 v81, vcc_lo, v81, s33
	v_add_co_ci_u32_e32 v82, vcc_lo, 0, v82, vcc_lo
	s_or_b32 s2, s2, s3
	s_add_u32 s20, s20, s16
	s_addc_u32 s21, s21, 0
	s_and_b32 vcc_lo, exec_lo, s2
	s_cbranch_vccnz .LBB73_108
.LBB73_4:                               ; =>This Inner Loop Header: Depth=1
	v_mov_b32_e32 v47, 0
	v_mov_b32_e32 v48, 0
	v_cmp_gt_u64_e64 s2, s[18:19], v[49:50]
	s_delay_alu instid0(VALU_DEP_3) | instskip(SKIP_1) | instid1(VALU_DEP_4)
	v_mov_b32_e32 v43, v47
	v_mov_b32_e32 v41, v47
	v_dual_mov_b32 v3, v47 :: v_dual_mov_b32 v4, v48
	v_mov_b32_e32 v44, v48
	v_dual_mov_b32 v42, v48 :: v_dual_mov_b32 v1, v47
	v_mov_b32_e32 v2, v48
	s_and_saveexec_b32 s3, s2
	s_cbranch_execz .LBB73_6
; %bb.5:                                ;   in Loop: Header=BB73_4 Depth=1
	v_add_co_u32 v1, vcc_lo, v61, s14
	v_add_co_ci_u32_e32 v2, vcc_lo, s15, v62, vcc_lo
	v_add_co_u32 v5, vcc_lo, v59, s14
	v_add_co_ci_u32_e32 v6, vcc_lo, s15, v60, vcc_lo
	global_load_b128 v[1:4], v[1:2], off offset:-8
	global_load_b128 v[41:44], v[5:6], off offset:-8
.LBB73_6:                               ;   in Loop: Header=BB73_4 Depth=1
	s_or_b32 exec_lo, exec_lo, s3
	v_dual_mov_b32 v45, v47 :: v_dual_mov_b32 v46, v48
	s_and_saveexec_b32 s3, s2
	s_cbranch_execz .LBB73_8
; %bb.7:                                ;   in Loop: Header=BB73_4 Depth=1
	v_add_co_u32 v5, vcc_lo, v63, s14
	v_add_co_ci_u32_e32 v6, vcc_lo, s15, v64, vcc_lo
	global_load_b128 v[45:48], v[5:6], off offset:-8
.LBB73_8:                               ;   in Loop: Header=BB73_4 Depth=1
	s_or_b32 exec_lo, exec_lo, s3
	v_add_co_u32 v5, vcc_lo, s28, v49
	v_add_co_ci_u32_e32 v6, vcc_lo, 0, v50, vcc_lo
	v_mov_b32_e32 v39, 0
	v_mov_b32_e32 v40, 0
	s_delay_alu instid0(VALU_DEP_2) | instskip(NEXT) | instid1(VALU_DEP_4)
	v_mov_b32_e32 v35, v39
	v_cmp_gt_u64_e64 s3, s[18:19], v[5:6]
	v_mov_b32_e32 v33, v39
	s_delay_alu instid0(VALU_DEP_4)
	v_dual_mov_b32 v7, v39 :: v_dual_mov_b32 v8, v40
	v_mov_b32_e32 v36, v40
	v_dual_mov_b32 v34, v40 :: v_dual_mov_b32 v5, v39
	v_mov_b32_e32 v6, v40
	s_and_saveexec_b32 s4, s3
	s_cbranch_execz .LBB73_10
; %bb.9:                                ;   in Loop: Header=BB73_4 Depth=1
	v_add_co_u32 v5, vcc_lo, v67, s14
	v_add_co_ci_u32_e32 v6, vcc_lo, s15, v68, vcc_lo
	v_add_co_u32 v9, vcc_lo, v71, s14
	v_add_co_ci_u32_e32 v10, vcc_lo, s15, v72, vcc_lo
	global_load_b128 v[5:8], v[5:6], off
	global_load_b128 v[33:36], v[9:10], off
.LBB73_10:                              ;   in Loop: Header=BB73_4 Depth=1
	s_or_b32 exec_lo, exec_lo, s4
	v_dual_mov_b32 v37, v39 :: v_dual_mov_b32 v38, v40
	s_and_saveexec_b32 s4, s3
	s_cbranch_execz .LBB73_12
; %bb.11:                               ;   in Loop: Header=BB73_4 Depth=1
	v_add_co_u32 v9, vcc_lo, v65, s14
	v_add_co_ci_u32_e32 v10, vcc_lo, s15, v66, vcc_lo
	global_load_b128 v[37:40], v[9:10], off
.LBB73_12:                              ;   in Loop: Header=BB73_4 Depth=1
	s_or_b32 exec_lo, exec_lo, s4
	v_add_co_u32 v9, vcc_lo, s29, v49
	v_add_co_ci_u32_e32 v10, vcc_lo, 0, v50, vcc_lo
	v_mov_b32_e32 v31, 0
	v_mov_b32_e32 v32, 0
	s_delay_alu instid0(VALU_DEP_2) | instskip(NEXT) | instid1(VALU_DEP_4)
	v_mov_b32_e32 v27, v31
	v_cmp_gt_u64_e64 s4, s[18:19], v[9:10]
	v_mov_b32_e32 v25, v31
	s_delay_alu instid0(VALU_DEP_4)
	v_dual_mov_b32 v11, v31 :: v_dual_mov_b32 v12, v32
	v_mov_b32_e32 v28, v32
	v_dual_mov_b32 v26, v32 :: v_dual_mov_b32 v9, v31
	v_mov_b32_e32 v10, v32
	s_and_saveexec_b32 s5, s4
	s_cbranch_execz .LBB73_14
; %bb.13:                               ;   in Loop: Header=BB73_4 Depth=1
	v_add_co_u32 v9, vcc_lo, v81, s14
	v_add_co_ci_u32_e32 v10, vcc_lo, s15, v82, vcc_lo
	v_add_co_u32 v13, vcc_lo, v79, s14
	v_add_co_ci_u32_e32 v14, vcc_lo, s15, v80, vcc_lo
	global_load_b128 v[9:12], v[9:10], off offset:-8
	global_load_b128 v[25:28], v[13:14], off offset:-8
.LBB73_14:                              ;   in Loop: Header=BB73_4 Depth=1
	s_or_b32 exec_lo, exec_lo, s5
	v_dual_mov_b32 v29, v31 :: v_dual_mov_b32 v30, v32
	s_and_saveexec_b32 s5, s4
	s_cbranch_execz .LBB73_16
; %bb.15:                               ;   in Loop: Header=BB73_4 Depth=1
	v_add_co_u32 v13, vcc_lo, v77, s14
	v_add_co_ci_u32_e32 v14, vcc_lo, s15, v78, vcc_lo
	global_load_b128 v[29:32], v[13:14], off
.LBB73_16:                              ;   in Loop: Header=BB73_4 Depth=1
	s_or_b32 exec_lo, exec_lo, s5
	v_add_co_u32 v13, vcc_lo, s30, v49
	v_add_co_ci_u32_e32 v14, vcc_lo, 0, v50, vcc_lo
	v_mov_b32_e32 v23, 0
	v_mov_b32_e32 v24, 0
	s_delay_alu instid0(VALU_DEP_2) | instskip(NEXT) | instid1(VALU_DEP_4)
	v_mov_b32_e32 v19, v23
	v_cmp_gt_u64_e64 s5, s[18:19], v[13:14]
	v_mov_b32_e32 v17, v23
	s_delay_alu instid0(VALU_DEP_4)
	v_dual_mov_b32 v15, v23 :: v_dual_mov_b32 v16, v24
	v_mov_b32_e32 v20, v24
	v_dual_mov_b32 v18, v24 :: v_dual_mov_b32 v13, v23
	v_mov_b32_e32 v14, v24
	s_and_saveexec_b32 s6, s5
	s_cbranch_execz .LBB73_18
; %bb.17:                               ;   in Loop: Header=BB73_4 Depth=1
	v_add_co_u32 v13, vcc_lo, v73, s14
	v_add_co_ci_u32_e32 v14, vcc_lo, s15, v74, vcc_lo
	v_add_co_u32 v17, vcc_lo, v69, s14
	v_add_co_ci_u32_e32 v18, vcc_lo, s15, v70, vcc_lo
	global_load_b128 v[13:16], v[13:14], off offset:-8
	global_load_b128 v[17:20], v[17:18], off offset:-8
.LBB73_18:                              ;   in Loop: Header=BB73_4 Depth=1
	s_or_b32 exec_lo, exec_lo, s6
	v_dual_mov_b32 v21, v23 :: v_dual_mov_b32 v22, v24
	s_and_saveexec_b32 s6, s5
	s_cbranch_execz .LBB73_20
; %bb.19:                               ;   in Loop: Header=BB73_4 Depth=1
	v_add_co_u32 v21, vcc_lo, v75, s14
	v_add_co_ci_u32_e32 v22, vcc_lo, s15, v76, vcc_lo
	global_load_b128 v[21:24], v[21:22], off offset:-8
.LBB73_20:                              ;   in Loop: Header=BB73_4 Depth=1
	s_or_b32 exec_lo, exec_lo, s6
	s_waitcnt vmcnt(0)
	v_cmp_gt_f64_e32 vcc_lo, 0, v[45:46]
	v_cmp_gt_f64_e64 s6, 0, v[47:48]
	v_xor_b32_e32 v51, 0x80000000, v46
	v_xor_b32_e32 v52, 0x80000000, v48
	s_delay_alu instid0(VALU_DEP_2) | instskip(NEXT) | instid1(VALU_DEP_2)
	v_dual_cndmask_b32 v56, v46, v51 :: v_dual_cndmask_b32 v55, v45, v45
	v_cndmask_b32_e64 v58, v48, v52, s6
	v_cndmask_b32_e64 v57, v47, v47, s6
	s_and_b32 vcc_lo, exec_lo, s31
	s_delay_alu instid0(VALU_DEP_1)
	v_cmp_ge_f64_e64 s6, v[55:56], v[57:58]
	s_cbranch_vccz .LBB73_30
; %bb.21:                               ;   in Loop: Header=BB73_4 Depth=1
                                        ; implicit-def: $vgpr51_vgpr52
                                        ; implicit-def: $vgpr53_vgpr54
	s_delay_alu instid0(VALU_DEP_1) | instskip(NEXT) | instid1(SALU_CYCLE_1)
	s_and_saveexec_b32 s7, s6
	s_xor_b32 s17, exec_lo, s7
	s_cbranch_execz .LBB73_27
; %bb.22:                               ;   in Loop: Header=BB73_4 Depth=1
	v_cmp_neq_f64_e32 vcc_lo, 0, v[45:46]
	v_cmp_neq_f64_e64 s7, 0, v[47:48]
                                        ; implicit-def: $vgpr51_vgpr52
                                        ; implicit-def: $vgpr53_vgpr54
	s_delay_alu instid0(VALU_DEP_1) | instskip(NEXT) | instid1(SALU_CYCLE_1)
	s_or_b32 s7, s7, vcc_lo
	s_and_saveexec_b32 s34, s7
	s_delay_alu instid0(SALU_CYCLE_1)
	s_xor_b32 s7, exec_lo, s34
	s_cbranch_execz .LBB73_24
; %bb.23:                               ;   in Loop: Header=BB73_4 Depth=1
	v_div_scale_f64 v[51:52], null, v[45:46], v[45:46], v[47:48]
	v_div_scale_f64 v[85:86], vcc_lo, v[47:48], v[45:46], v[47:48]
	s_delay_alu instid0(VALU_DEP_2) | instskip(SKIP_2) | instid1(VALU_DEP_1)
	v_rcp_f64_e32 v[53:54], v[51:52]
	s_waitcnt_depctr 0xfff
	v_fma_f64 v[83:84], -v[51:52], v[53:54], 1.0
	v_fma_f64 v[53:54], v[53:54], v[83:84], v[53:54]
	s_delay_alu instid0(VALU_DEP_1) | instskip(NEXT) | instid1(VALU_DEP_1)
	v_fma_f64 v[83:84], -v[51:52], v[53:54], 1.0
	v_fma_f64 v[53:54], v[53:54], v[83:84], v[53:54]
	s_delay_alu instid0(VALU_DEP_1) | instskip(NEXT) | instid1(VALU_DEP_1)
	v_mul_f64 v[83:84], v[85:86], v[53:54]
	v_fma_f64 v[51:52], -v[51:52], v[83:84], v[85:86]
	s_delay_alu instid0(VALU_DEP_1) | instskip(NEXT) | instid1(VALU_DEP_1)
	v_div_fmas_f64 v[51:52], v[51:52], v[53:54], v[83:84]
	v_div_fixup_f64 v[51:52], v[51:52], v[45:46], v[47:48]
	s_delay_alu instid0(VALU_DEP_1) | instskip(NEXT) | instid1(VALU_DEP_1)
	v_fma_f64 v[53:54], v[47:48], v[51:52], v[45:46]
	v_div_scale_f64 v[83:84], null, v[53:54], v[53:54], 1.0
	v_div_scale_f64 v[89:90], vcc_lo, 1.0, v[53:54], 1.0
	s_delay_alu instid0(VALU_DEP_2) | instskip(SKIP_2) | instid1(VALU_DEP_1)
	v_rcp_f64_e32 v[85:86], v[83:84]
	s_waitcnt_depctr 0xfff
	v_fma_f64 v[87:88], -v[83:84], v[85:86], 1.0
	v_fma_f64 v[85:86], v[85:86], v[87:88], v[85:86]
	s_delay_alu instid0(VALU_DEP_1) | instskip(NEXT) | instid1(VALU_DEP_1)
	v_fma_f64 v[87:88], -v[83:84], v[85:86], 1.0
	v_fma_f64 v[85:86], v[85:86], v[87:88], v[85:86]
	s_delay_alu instid0(VALU_DEP_1) | instskip(NEXT) | instid1(VALU_DEP_1)
	v_mul_f64 v[87:88], v[89:90], v[85:86]
	v_fma_f64 v[83:84], -v[83:84], v[87:88], v[89:90]
	s_delay_alu instid0(VALU_DEP_1) | instskip(SKIP_2) | instid1(VALU_DEP_3)
	v_div_fmas_f64 v[83:84], v[83:84], v[85:86], v[87:88]
	v_fma_f64 v[85:86], v[43:44], v[51:52], v[41:42]
	v_fma_f64 v[51:52], -v[41:42], v[51:52], v[43:44]
	v_div_fixup_f64 v[83:84], v[83:84], v[53:54], 1.0
	s_delay_alu instid0(VALU_DEP_1) | instskip(NEXT) | instid1(VALU_DEP_3)
	v_mul_f64 v[53:54], v[85:86], v[83:84]
	v_mul_f64 v[51:52], v[51:52], v[83:84]
.LBB73_24:                              ;   in Loop: Header=BB73_4 Depth=1
	s_and_not1_saveexec_b32 s34, s7
	s_cbranch_execz .LBB73_26
; %bb.25:                               ;   in Loop: Header=BB73_4 Depth=1
	v_div_scale_f64 v[51:52], null, v[55:56], v[55:56], v[41:42]
	v_div_scale_f64 v[53:54], null, v[57:58], v[57:58], v[43:44]
	v_div_scale_f64 v[91:92], vcc_lo, v[41:42], v[55:56], v[41:42]
	s_delay_alu instid0(VALU_DEP_3) | instskip(NEXT) | instid1(VALU_DEP_2)
	v_rcp_f64_e32 v[83:84], v[51:52]
	v_rcp_f64_e32 v[85:86], v[53:54]
	s_waitcnt_depctr 0xfff
	v_fma_f64 v[87:88], -v[51:52], v[83:84], 1.0
	v_fma_f64 v[89:90], -v[53:54], v[85:86], 1.0
	s_delay_alu instid0(VALU_DEP_2) | instskip(NEXT) | instid1(VALU_DEP_2)
	v_fma_f64 v[83:84], v[83:84], v[87:88], v[83:84]
	v_fma_f64 v[85:86], v[85:86], v[89:90], v[85:86]
	s_delay_alu instid0(VALU_DEP_2) | instskip(NEXT) | instid1(VALU_DEP_2)
	v_fma_f64 v[87:88], -v[51:52], v[83:84], 1.0
	v_fma_f64 v[89:90], -v[53:54], v[85:86], 1.0
	s_delay_alu instid0(VALU_DEP_2) | instskip(SKIP_1) | instid1(VALU_DEP_3)
	v_fma_f64 v[83:84], v[83:84], v[87:88], v[83:84]
	v_div_scale_f64 v[87:88], s7, v[43:44], v[57:58], v[43:44]
	v_fma_f64 v[85:86], v[85:86], v[89:90], v[85:86]
	s_delay_alu instid0(VALU_DEP_3) | instskip(NEXT) | instid1(VALU_DEP_2)
	v_mul_f64 v[89:90], v[91:92], v[83:84]
	v_mul_f64 v[93:94], v[87:88], v[85:86]
	s_delay_alu instid0(VALU_DEP_2) | instskip(NEXT) | instid1(VALU_DEP_2)
	v_fma_f64 v[51:52], -v[51:52], v[89:90], v[91:92]
	v_fma_f64 v[53:54], -v[53:54], v[93:94], v[87:88]
	s_delay_alu instid0(VALU_DEP_2) | instskip(SKIP_1) | instid1(VALU_DEP_2)
	v_div_fmas_f64 v[51:52], v[51:52], v[83:84], v[89:90]
	s_mov_b32 vcc_lo, s7
	v_div_fmas_f64 v[83:84], v[53:54], v[85:86], v[93:94]
	s_delay_alu instid0(VALU_DEP_2) | instskip(NEXT) | instid1(VALU_DEP_2)
	v_div_fixup_f64 v[53:54], v[51:52], v[55:56], v[41:42]
	v_div_fixup_f64 v[51:52], v[83:84], v[57:58], v[43:44]
.LBB73_26:                              ;   in Loop: Header=BB73_4 Depth=1
	s_or_b32 exec_lo, exec_lo, s34
.LBB73_27:                              ;   in Loop: Header=BB73_4 Depth=1
	s_and_not1_saveexec_b32 s7, s17
	s_cbranch_execz .LBB73_29
; %bb.28:                               ;   in Loop: Header=BB73_4 Depth=1
	v_div_scale_f64 v[51:52], null, v[47:48], v[47:48], v[45:46]
	v_div_scale_f64 v[85:86], vcc_lo, v[45:46], v[47:48], v[45:46]
	s_delay_alu instid0(VALU_DEP_2) | instskip(SKIP_2) | instid1(VALU_DEP_1)
	v_rcp_f64_e32 v[53:54], v[51:52]
	s_waitcnt_depctr 0xfff
	v_fma_f64 v[83:84], -v[51:52], v[53:54], 1.0
	v_fma_f64 v[53:54], v[53:54], v[83:84], v[53:54]
	s_delay_alu instid0(VALU_DEP_1) | instskip(NEXT) | instid1(VALU_DEP_1)
	v_fma_f64 v[83:84], -v[51:52], v[53:54], 1.0
	v_fma_f64 v[53:54], v[53:54], v[83:84], v[53:54]
	s_delay_alu instid0(VALU_DEP_1) | instskip(NEXT) | instid1(VALU_DEP_1)
	v_mul_f64 v[83:84], v[85:86], v[53:54]
	v_fma_f64 v[51:52], -v[51:52], v[83:84], v[85:86]
	s_delay_alu instid0(VALU_DEP_1) | instskip(NEXT) | instid1(VALU_DEP_1)
	v_div_fmas_f64 v[51:52], v[51:52], v[53:54], v[83:84]
	v_div_fixup_f64 v[51:52], v[51:52], v[47:48], v[45:46]
	s_delay_alu instid0(VALU_DEP_1) | instskip(NEXT) | instid1(VALU_DEP_1)
	v_fma_f64 v[53:54], v[45:46], v[51:52], v[47:48]
	v_div_scale_f64 v[83:84], null, v[53:54], v[53:54], 1.0
	v_div_scale_f64 v[89:90], vcc_lo, 1.0, v[53:54], 1.0
	s_delay_alu instid0(VALU_DEP_2) | instskip(SKIP_2) | instid1(VALU_DEP_1)
	v_rcp_f64_e32 v[85:86], v[83:84]
	s_waitcnt_depctr 0xfff
	v_fma_f64 v[87:88], -v[83:84], v[85:86], 1.0
	v_fma_f64 v[85:86], v[85:86], v[87:88], v[85:86]
	s_delay_alu instid0(VALU_DEP_1) | instskip(NEXT) | instid1(VALU_DEP_1)
	v_fma_f64 v[87:88], -v[83:84], v[85:86], 1.0
	v_fma_f64 v[85:86], v[85:86], v[87:88], v[85:86]
	s_delay_alu instid0(VALU_DEP_1) | instskip(NEXT) | instid1(VALU_DEP_1)
	v_mul_f64 v[87:88], v[89:90], v[85:86]
	v_fma_f64 v[83:84], -v[83:84], v[87:88], v[89:90]
	s_delay_alu instid0(VALU_DEP_1) | instskip(SKIP_2) | instid1(VALU_DEP_3)
	v_div_fmas_f64 v[83:84], v[83:84], v[85:86], v[87:88]
	v_fma_f64 v[85:86], v[41:42], v[51:52], v[43:44]
	v_fma_f64 v[51:52], v[43:44], v[51:52], -v[41:42]
	v_div_fixup_f64 v[83:84], v[83:84], v[53:54], 1.0
	s_delay_alu instid0(VALU_DEP_1) | instskip(NEXT) | instid1(VALU_DEP_3)
	v_mul_f64 v[53:54], v[85:86], v[83:84]
	v_mul_f64 v[51:52], v[51:52], v[83:84]
.LBB73_29:                              ;   in Loop: Header=BB73_4 Depth=1
	s_or_b32 exec_lo, exec_lo, s7
	s_delay_alu instid0(VALU_DEP_1) | instskip(SKIP_1) | instid1(VALU_DEP_2)
	v_mul_f64 v[83:84], s[10:11], v[51:52]
	v_mul_f64 v[85:86], s[8:9], v[51:52]
	v_fma_f64 v[51:52], s[8:9], v[53:54], -v[83:84]
	s_delay_alu instid0(VALU_DEP_2)
	v_fma_f64 v[53:54], s[10:11], v[53:54], v[85:86]
	s_branch .LBB73_40
.LBB73_30:                              ;   in Loop: Header=BB73_4 Depth=1
                                        ; implicit-def: $vgpr53_vgpr54
                                        ; implicit-def: $vgpr51_vgpr52
	s_cbranch_execz .LBB73_40
; %bb.31:                               ;   in Loop: Header=BB73_4 Depth=1
                                        ; implicit-def: $vgpr53_vgpr54
                                        ; implicit-def: $vgpr51_vgpr52
	s_delay_alu instid0(VALU_DEP_1) | instskip(NEXT) | instid1(SALU_CYCLE_1)
	s_and_saveexec_b32 s7, s6
	s_xor_b32 s7, exec_lo, s7
	s_cbranch_execz .LBB73_37
; %bb.32:                               ;   in Loop: Header=BB73_4 Depth=1
	v_cmp_neq_f64_e32 vcc_lo, 0, v[45:46]
	v_cmp_neq_f64_e64 s6, 0, v[47:48]
                                        ; implicit-def: $vgpr53_vgpr54
                                        ; implicit-def: $vgpr51_vgpr52
	s_delay_alu instid0(VALU_DEP_1) | instskip(NEXT) | instid1(SALU_CYCLE_1)
	s_or_b32 s6, s6, vcc_lo
	s_and_saveexec_b32 s17, s6
	s_delay_alu instid0(SALU_CYCLE_1)
	s_xor_b32 s6, exec_lo, s17
	s_cbranch_execz .LBB73_34
; %bb.33:                               ;   in Loop: Header=BB73_4 Depth=1
	v_div_scale_f64 v[51:52], null, v[45:46], v[45:46], v[47:48]
	v_div_scale_f64 v[57:58], vcc_lo, v[47:48], v[45:46], v[47:48]
	s_delay_alu instid0(VALU_DEP_2) | instskip(SKIP_2) | instid1(VALU_DEP_1)
	v_rcp_f64_e32 v[53:54], v[51:52]
	s_waitcnt_depctr 0xfff
	v_fma_f64 v[55:56], -v[51:52], v[53:54], 1.0
	v_fma_f64 v[53:54], v[53:54], v[55:56], v[53:54]
	s_delay_alu instid0(VALU_DEP_1) | instskip(NEXT) | instid1(VALU_DEP_1)
	v_fma_f64 v[55:56], -v[51:52], v[53:54], 1.0
	v_fma_f64 v[53:54], v[53:54], v[55:56], v[53:54]
	s_delay_alu instid0(VALU_DEP_1) | instskip(NEXT) | instid1(VALU_DEP_1)
	v_mul_f64 v[55:56], v[57:58], v[53:54]
	v_fma_f64 v[51:52], -v[51:52], v[55:56], v[57:58]
	s_delay_alu instid0(VALU_DEP_1) | instskip(NEXT) | instid1(VALU_DEP_1)
	v_div_fmas_f64 v[51:52], v[51:52], v[53:54], v[55:56]
	v_div_fixup_f64 v[51:52], v[51:52], v[45:46], v[47:48]
	s_delay_alu instid0(VALU_DEP_1) | instskip(NEXT) | instid1(VALU_DEP_1)
	v_fma_f64 v[45:46], v[47:48], v[51:52], v[45:46]
	v_div_scale_f64 v[47:48], null, v[45:46], v[45:46], 1.0
	v_div_scale_f64 v[57:58], vcc_lo, 1.0, v[45:46], 1.0
	s_delay_alu instid0(VALU_DEP_2) | instskip(SKIP_2) | instid1(VALU_DEP_1)
	v_rcp_f64_e32 v[53:54], v[47:48]
	s_waitcnt_depctr 0xfff
	v_fma_f64 v[55:56], -v[47:48], v[53:54], 1.0
	v_fma_f64 v[53:54], v[53:54], v[55:56], v[53:54]
	s_delay_alu instid0(VALU_DEP_1) | instskip(NEXT) | instid1(VALU_DEP_1)
	v_fma_f64 v[55:56], -v[47:48], v[53:54], 1.0
	v_fma_f64 v[53:54], v[53:54], v[55:56], v[53:54]
	s_delay_alu instid0(VALU_DEP_1) | instskip(NEXT) | instid1(VALU_DEP_1)
	v_mul_f64 v[55:56], v[57:58], v[53:54]
	v_fma_f64 v[47:48], -v[47:48], v[55:56], v[57:58]
                                        ; implicit-def: $vgpr57_vgpr58
	s_delay_alu instid0(VALU_DEP_1) | instskip(SKIP_2) | instid1(VALU_DEP_3)
	v_div_fmas_f64 v[47:48], v[47:48], v[53:54], v[55:56]
	v_fma_f64 v[53:54], v[43:44], v[51:52], v[41:42]
	v_fma_f64 v[41:42], -v[41:42], v[51:52], v[43:44]
                                        ; implicit-def: $vgpr55_vgpr56
	v_div_fixup_f64 v[45:46], v[47:48], v[45:46], 1.0
	s_delay_alu instid0(VALU_DEP_1) | instskip(NEXT) | instid1(VALU_DEP_3)
	v_mul_f64 v[51:52], v[53:54], v[45:46]
	v_mul_f64 v[53:54], v[41:42], v[45:46]
                                        ; implicit-def: $vgpr41_vgpr42
.LBB73_34:                              ;   in Loop: Header=BB73_4 Depth=1
	s_and_not1_saveexec_b32 s17, s6
	s_cbranch_execz .LBB73_36
; %bb.35:                               ;   in Loop: Header=BB73_4 Depth=1
	v_div_scale_f64 v[45:46], null, v[55:56], v[55:56], v[41:42]
	v_div_scale_f64 v[47:48], null, v[57:58], v[57:58], v[43:44]
	v_div_scale_f64 v[87:88], vcc_lo, v[41:42], v[55:56], v[41:42]
	s_delay_alu instid0(VALU_DEP_3) | instskip(NEXT) | instid1(VALU_DEP_2)
	v_rcp_f64_e32 v[51:52], v[45:46]
	v_rcp_f64_e32 v[53:54], v[47:48]
	s_waitcnt_depctr 0xfff
	v_fma_f64 v[83:84], -v[45:46], v[51:52], 1.0
	v_fma_f64 v[85:86], -v[47:48], v[53:54], 1.0
	s_delay_alu instid0(VALU_DEP_2) | instskip(NEXT) | instid1(VALU_DEP_2)
	v_fma_f64 v[51:52], v[51:52], v[83:84], v[51:52]
	v_fma_f64 v[53:54], v[53:54], v[85:86], v[53:54]
	s_delay_alu instid0(VALU_DEP_2) | instskip(NEXT) | instid1(VALU_DEP_2)
	v_fma_f64 v[83:84], -v[45:46], v[51:52], 1.0
	v_fma_f64 v[85:86], -v[47:48], v[53:54], 1.0
	s_delay_alu instid0(VALU_DEP_2) | instskip(SKIP_1) | instid1(VALU_DEP_3)
	v_fma_f64 v[51:52], v[51:52], v[83:84], v[51:52]
	v_div_scale_f64 v[83:84], s6, v[43:44], v[57:58], v[43:44]
	v_fma_f64 v[53:54], v[53:54], v[85:86], v[53:54]
	s_delay_alu instid0(VALU_DEP_3) | instskip(NEXT) | instid1(VALU_DEP_2)
	v_mul_f64 v[85:86], v[87:88], v[51:52]
	v_mul_f64 v[89:90], v[83:84], v[53:54]
	s_delay_alu instid0(VALU_DEP_2) | instskip(NEXT) | instid1(VALU_DEP_2)
	v_fma_f64 v[45:46], -v[45:46], v[85:86], v[87:88]
	v_fma_f64 v[47:48], -v[47:48], v[89:90], v[83:84]
	s_delay_alu instid0(VALU_DEP_2) | instskip(SKIP_1) | instid1(VALU_DEP_2)
	v_div_fmas_f64 v[45:46], v[45:46], v[51:52], v[85:86]
	s_mov_b32 vcc_lo, s6
	v_div_fmas_f64 v[47:48], v[47:48], v[53:54], v[89:90]
	s_delay_alu instid0(VALU_DEP_2) | instskip(NEXT) | instid1(VALU_DEP_2)
	v_div_fixup_f64 v[51:52], v[45:46], v[55:56], v[41:42]
	v_div_fixup_f64 v[53:54], v[47:48], v[57:58], v[43:44]
.LBB73_36:                              ;   in Loop: Header=BB73_4 Depth=1
	s_or_b32 exec_lo, exec_lo, s17
                                        ; implicit-def: $vgpr47_vgpr48
                                        ; implicit-def: $vgpr41_vgpr42
.LBB73_37:                              ;   in Loop: Header=BB73_4 Depth=1
	s_and_not1_saveexec_b32 s6, s7
	s_cbranch_execz .LBB73_39
; %bb.38:                               ;   in Loop: Header=BB73_4 Depth=1
	v_div_scale_f64 v[51:52], null, v[47:48], v[47:48], v[45:46]
	v_div_scale_f64 v[57:58], vcc_lo, v[45:46], v[47:48], v[45:46]
	s_delay_alu instid0(VALU_DEP_2) | instskip(SKIP_2) | instid1(VALU_DEP_1)
	v_rcp_f64_e32 v[53:54], v[51:52]
	s_waitcnt_depctr 0xfff
	v_fma_f64 v[55:56], -v[51:52], v[53:54], 1.0
	v_fma_f64 v[53:54], v[53:54], v[55:56], v[53:54]
	s_delay_alu instid0(VALU_DEP_1) | instskip(NEXT) | instid1(VALU_DEP_1)
	v_fma_f64 v[55:56], -v[51:52], v[53:54], 1.0
	v_fma_f64 v[53:54], v[53:54], v[55:56], v[53:54]
	s_delay_alu instid0(VALU_DEP_1) | instskip(NEXT) | instid1(VALU_DEP_1)
	v_mul_f64 v[55:56], v[57:58], v[53:54]
	v_fma_f64 v[51:52], -v[51:52], v[55:56], v[57:58]
	s_delay_alu instid0(VALU_DEP_1) | instskip(NEXT) | instid1(VALU_DEP_1)
	v_div_fmas_f64 v[51:52], v[51:52], v[53:54], v[55:56]
	v_div_fixup_f64 v[51:52], v[51:52], v[47:48], v[45:46]
	s_delay_alu instid0(VALU_DEP_1) | instskip(NEXT) | instid1(VALU_DEP_1)
	v_fma_f64 v[45:46], v[45:46], v[51:52], v[47:48]
	v_div_scale_f64 v[47:48], null, v[45:46], v[45:46], 1.0
	v_div_scale_f64 v[57:58], vcc_lo, 1.0, v[45:46], 1.0
	s_delay_alu instid0(VALU_DEP_2) | instskip(SKIP_2) | instid1(VALU_DEP_1)
	v_rcp_f64_e32 v[53:54], v[47:48]
	s_waitcnt_depctr 0xfff
	v_fma_f64 v[55:56], -v[47:48], v[53:54], 1.0
	v_fma_f64 v[53:54], v[53:54], v[55:56], v[53:54]
	s_delay_alu instid0(VALU_DEP_1) | instskip(NEXT) | instid1(VALU_DEP_1)
	v_fma_f64 v[55:56], -v[47:48], v[53:54], 1.0
	v_fma_f64 v[53:54], v[53:54], v[55:56], v[53:54]
	s_delay_alu instid0(VALU_DEP_1) | instskip(NEXT) | instid1(VALU_DEP_1)
	v_mul_f64 v[55:56], v[57:58], v[53:54]
	v_fma_f64 v[47:48], -v[47:48], v[55:56], v[57:58]
	s_delay_alu instid0(VALU_DEP_1) | instskip(SKIP_2) | instid1(VALU_DEP_3)
	v_div_fmas_f64 v[47:48], v[47:48], v[53:54], v[55:56]
	v_fma_f64 v[53:54], v[41:42], v[51:52], v[43:44]
	v_fma_f64 v[41:42], v[43:44], v[51:52], -v[41:42]
	v_div_fixup_f64 v[45:46], v[47:48], v[45:46], 1.0
	s_delay_alu instid0(VALU_DEP_1) | instskip(NEXT) | instid1(VALU_DEP_3)
	v_mul_f64 v[51:52], v[53:54], v[45:46]
	v_mul_f64 v[53:54], v[41:42], v[45:46]
.LBB73_39:                              ;   in Loop: Header=BB73_4 Depth=1
	s_or_b32 exec_lo, exec_lo, s6
.LBB73_40:                              ;   in Loop: Header=BB73_4 Depth=1
	v_cmp_gt_f64_e32 vcc_lo, 0, v[37:38]
	v_cmp_gt_f64_e64 s6, 0, v[39:40]
	v_xor_b32_e32 v41, 0x80000000, v38
	v_xor_b32_e32 v42, 0x80000000, v40
	s_delay_alu instid0(VALU_DEP_2) | instskip(NEXT) | instid1(VALU_DEP_2)
	v_cndmask_b32_e32 v46, v38, v41, vcc_lo
	v_cndmask_b32_e64 v48, v40, v42, s6
	v_cndmask_b32_e32 v45, v37, v37, vcc_lo
	v_cndmask_b32_e64 v47, v39, v39, s6
	s_and_not1_b32 vcc_lo, exec_lo, s31
	s_delay_alu instid0(VALU_DEP_1)
	v_cmp_ge_f64_e64 s6, v[45:46], v[47:48]
	s_cbranch_vccnz .LBB73_50
; %bb.41:                               ;   in Loop: Header=BB73_4 Depth=1
                                        ; implicit-def: $vgpr41_vgpr42
                                        ; implicit-def: $vgpr43_vgpr44
	s_delay_alu instid0(VALU_DEP_1) | instskip(NEXT) | instid1(SALU_CYCLE_1)
	s_and_saveexec_b32 s7, s6
	s_xor_b32 s17, exec_lo, s7
	s_cbranch_execz .LBB73_47
; %bb.42:                               ;   in Loop: Header=BB73_4 Depth=1
	v_cmp_neq_f64_e32 vcc_lo, 0, v[37:38]
	v_cmp_neq_f64_e64 s7, 0, v[39:40]
                                        ; implicit-def: $vgpr41_vgpr42
                                        ; implicit-def: $vgpr43_vgpr44
	s_delay_alu instid0(VALU_DEP_1) | instskip(NEXT) | instid1(SALU_CYCLE_1)
	s_or_b32 s7, s7, vcc_lo
	s_and_saveexec_b32 s34, s7
	s_delay_alu instid0(SALU_CYCLE_1)
	s_xor_b32 s7, exec_lo, s34
	s_cbranch_execz .LBB73_44
; %bb.43:                               ;   in Loop: Header=BB73_4 Depth=1
	v_div_scale_f64 v[41:42], null, v[37:38], v[37:38], v[39:40]
	v_div_scale_f64 v[57:58], vcc_lo, v[39:40], v[37:38], v[39:40]
	s_delay_alu instid0(VALU_DEP_2) | instskip(SKIP_2) | instid1(VALU_DEP_1)
	v_rcp_f64_e32 v[43:44], v[41:42]
	s_waitcnt_depctr 0xfff
	v_fma_f64 v[55:56], -v[41:42], v[43:44], 1.0
	v_fma_f64 v[43:44], v[43:44], v[55:56], v[43:44]
	s_delay_alu instid0(VALU_DEP_1) | instskip(NEXT) | instid1(VALU_DEP_1)
	v_fma_f64 v[55:56], -v[41:42], v[43:44], 1.0
	v_fma_f64 v[43:44], v[43:44], v[55:56], v[43:44]
	s_delay_alu instid0(VALU_DEP_1) | instskip(NEXT) | instid1(VALU_DEP_1)
	v_mul_f64 v[55:56], v[57:58], v[43:44]
	v_fma_f64 v[41:42], -v[41:42], v[55:56], v[57:58]
	s_delay_alu instid0(VALU_DEP_1) | instskip(NEXT) | instid1(VALU_DEP_1)
	v_div_fmas_f64 v[41:42], v[41:42], v[43:44], v[55:56]
	v_div_fixup_f64 v[41:42], v[41:42], v[37:38], v[39:40]
	s_delay_alu instid0(VALU_DEP_1) | instskip(NEXT) | instid1(VALU_DEP_1)
	v_fma_f64 v[43:44], v[39:40], v[41:42], v[37:38]
	v_div_scale_f64 v[55:56], null, v[43:44], v[43:44], 1.0
	v_div_scale_f64 v[85:86], vcc_lo, 1.0, v[43:44], 1.0
	s_delay_alu instid0(VALU_DEP_2) | instskip(SKIP_2) | instid1(VALU_DEP_1)
	v_rcp_f64_e32 v[57:58], v[55:56]
	s_waitcnt_depctr 0xfff
	v_fma_f64 v[83:84], -v[55:56], v[57:58], 1.0
	v_fma_f64 v[57:58], v[57:58], v[83:84], v[57:58]
	s_delay_alu instid0(VALU_DEP_1) | instskip(NEXT) | instid1(VALU_DEP_1)
	v_fma_f64 v[83:84], -v[55:56], v[57:58], 1.0
	v_fma_f64 v[57:58], v[57:58], v[83:84], v[57:58]
	s_delay_alu instid0(VALU_DEP_1) | instskip(NEXT) | instid1(VALU_DEP_1)
	v_mul_f64 v[83:84], v[85:86], v[57:58]
	v_fma_f64 v[55:56], -v[55:56], v[83:84], v[85:86]
	s_delay_alu instid0(VALU_DEP_1) | instskip(SKIP_2) | instid1(VALU_DEP_3)
	v_div_fmas_f64 v[55:56], v[55:56], v[57:58], v[83:84]
	v_fma_f64 v[57:58], v[35:36], v[41:42], v[33:34]
	v_fma_f64 v[41:42], -v[33:34], v[41:42], v[35:36]
	v_div_fixup_f64 v[55:56], v[55:56], v[43:44], 1.0
	s_delay_alu instid0(VALU_DEP_1) | instskip(NEXT) | instid1(VALU_DEP_3)
	v_mul_f64 v[43:44], v[57:58], v[55:56]
	v_mul_f64 v[41:42], v[41:42], v[55:56]
.LBB73_44:                              ;   in Loop: Header=BB73_4 Depth=1
	s_and_not1_saveexec_b32 s34, s7
	s_cbranch_execz .LBB73_46
; %bb.45:                               ;   in Loop: Header=BB73_4 Depth=1
	v_div_scale_f64 v[41:42], null, v[45:46], v[45:46], v[33:34]
	v_div_scale_f64 v[43:44], null, v[47:48], v[47:48], v[35:36]
	v_div_scale_f64 v[87:88], vcc_lo, v[33:34], v[45:46], v[33:34]
	s_delay_alu instid0(VALU_DEP_3) | instskip(NEXT) | instid1(VALU_DEP_2)
	v_rcp_f64_e32 v[55:56], v[41:42]
	v_rcp_f64_e32 v[57:58], v[43:44]
	s_waitcnt_depctr 0xfff
	v_fma_f64 v[83:84], -v[41:42], v[55:56], 1.0
	v_fma_f64 v[85:86], -v[43:44], v[57:58], 1.0
	s_delay_alu instid0(VALU_DEP_2) | instskip(NEXT) | instid1(VALU_DEP_2)
	v_fma_f64 v[55:56], v[55:56], v[83:84], v[55:56]
	v_fma_f64 v[57:58], v[57:58], v[85:86], v[57:58]
	s_delay_alu instid0(VALU_DEP_2) | instskip(NEXT) | instid1(VALU_DEP_2)
	v_fma_f64 v[83:84], -v[41:42], v[55:56], 1.0
	v_fma_f64 v[85:86], -v[43:44], v[57:58], 1.0
	s_delay_alu instid0(VALU_DEP_2) | instskip(SKIP_1) | instid1(VALU_DEP_3)
	v_fma_f64 v[55:56], v[55:56], v[83:84], v[55:56]
	v_div_scale_f64 v[83:84], s7, v[35:36], v[47:48], v[35:36]
	v_fma_f64 v[57:58], v[57:58], v[85:86], v[57:58]
	s_delay_alu instid0(VALU_DEP_3) | instskip(NEXT) | instid1(VALU_DEP_2)
	v_mul_f64 v[85:86], v[87:88], v[55:56]
	v_mul_f64 v[89:90], v[83:84], v[57:58]
	s_delay_alu instid0(VALU_DEP_2) | instskip(NEXT) | instid1(VALU_DEP_2)
	v_fma_f64 v[41:42], -v[41:42], v[85:86], v[87:88]
	v_fma_f64 v[43:44], -v[43:44], v[89:90], v[83:84]
	s_delay_alu instid0(VALU_DEP_2) | instskip(SKIP_1) | instid1(VALU_DEP_2)
	v_div_fmas_f64 v[41:42], v[41:42], v[55:56], v[85:86]
	s_mov_b32 vcc_lo, s7
	v_div_fmas_f64 v[55:56], v[43:44], v[57:58], v[89:90]
	s_delay_alu instid0(VALU_DEP_2) | instskip(NEXT) | instid1(VALU_DEP_2)
	v_div_fixup_f64 v[43:44], v[41:42], v[45:46], v[33:34]
	v_div_fixup_f64 v[41:42], v[55:56], v[47:48], v[35:36]
.LBB73_46:                              ;   in Loop: Header=BB73_4 Depth=1
	s_or_b32 exec_lo, exec_lo, s34
.LBB73_47:                              ;   in Loop: Header=BB73_4 Depth=1
	s_and_not1_saveexec_b32 s7, s17
	s_cbranch_execz .LBB73_49
; %bb.48:                               ;   in Loop: Header=BB73_4 Depth=1
	v_div_scale_f64 v[41:42], null, v[39:40], v[39:40], v[37:38]
	v_div_scale_f64 v[57:58], vcc_lo, v[37:38], v[39:40], v[37:38]
	s_delay_alu instid0(VALU_DEP_2) | instskip(SKIP_2) | instid1(VALU_DEP_1)
	v_rcp_f64_e32 v[43:44], v[41:42]
	s_waitcnt_depctr 0xfff
	v_fma_f64 v[55:56], -v[41:42], v[43:44], 1.0
	v_fma_f64 v[43:44], v[43:44], v[55:56], v[43:44]
	s_delay_alu instid0(VALU_DEP_1) | instskip(NEXT) | instid1(VALU_DEP_1)
	v_fma_f64 v[55:56], -v[41:42], v[43:44], 1.0
	v_fma_f64 v[43:44], v[43:44], v[55:56], v[43:44]
	s_delay_alu instid0(VALU_DEP_1) | instskip(NEXT) | instid1(VALU_DEP_1)
	v_mul_f64 v[55:56], v[57:58], v[43:44]
	v_fma_f64 v[41:42], -v[41:42], v[55:56], v[57:58]
	s_delay_alu instid0(VALU_DEP_1) | instskip(NEXT) | instid1(VALU_DEP_1)
	v_div_fmas_f64 v[41:42], v[41:42], v[43:44], v[55:56]
	v_div_fixup_f64 v[41:42], v[41:42], v[39:40], v[37:38]
	s_delay_alu instid0(VALU_DEP_1) | instskip(NEXT) | instid1(VALU_DEP_1)
	v_fma_f64 v[43:44], v[37:38], v[41:42], v[39:40]
	v_div_scale_f64 v[55:56], null, v[43:44], v[43:44], 1.0
	v_div_scale_f64 v[85:86], vcc_lo, 1.0, v[43:44], 1.0
	s_delay_alu instid0(VALU_DEP_2) | instskip(SKIP_2) | instid1(VALU_DEP_1)
	v_rcp_f64_e32 v[57:58], v[55:56]
	s_waitcnt_depctr 0xfff
	v_fma_f64 v[83:84], -v[55:56], v[57:58], 1.0
	v_fma_f64 v[57:58], v[57:58], v[83:84], v[57:58]
	s_delay_alu instid0(VALU_DEP_1) | instskip(NEXT) | instid1(VALU_DEP_1)
	v_fma_f64 v[83:84], -v[55:56], v[57:58], 1.0
	v_fma_f64 v[57:58], v[57:58], v[83:84], v[57:58]
	s_delay_alu instid0(VALU_DEP_1) | instskip(NEXT) | instid1(VALU_DEP_1)
	v_mul_f64 v[83:84], v[85:86], v[57:58]
	v_fma_f64 v[55:56], -v[55:56], v[83:84], v[85:86]
	s_delay_alu instid0(VALU_DEP_1) | instskip(SKIP_2) | instid1(VALU_DEP_3)
	v_div_fmas_f64 v[55:56], v[55:56], v[57:58], v[83:84]
	v_fma_f64 v[57:58], v[33:34], v[41:42], v[35:36]
	v_fma_f64 v[41:42], v[35:36], v[41:42], -v[33:34]
	v_div_fixup_f64 v[55:56], v[55:56], v[43:44], 1.0
	s_delay_alu instid0(VALU_DEP_1) | instskip(NEXT) | instid1(VALU_DEP_3)
	v_mul_f64 v[43:44], v[57:58], v[55:56]
	v_mul_f64 v[41:42], v[41:42], v[55:56]
.LBB73_49:                              ;   in Loop: Header=BB73_4 Depth=1
	s_or_b32 exec_lo, exec_lo, s7
	s_delay_alu instid0(VALU_DEP_1) | instskip(SKIP_1) | instid1(VALU_DEP_2)
	v_mul_f64 v[55:56], s[10:11], v[41:42]
	v_mul_f64 v[57:58], s[8:9], v[41:42]
	v_fma_f64 v[41:42], s[8:9], v[43:44], -v[55:56]
	s_delay_alu instid0(VALU_DEP_2)
	v_fma_f64 v[43:44], s[10:11], v[43:44], v[57:58]
	s_branch .LBB73_60
.LBB73_50:                              ;   in Loop: Header=BB73_4 Depth=1
                                        ; implicit-def: $vgpr43_vgpr44
                                        ; implicit-def: $vgpr41_vgpr42
	s_cbranch_execz .LBB73_60
; %bb.51:                               ;   in Loop: Header=BB73_4 Depth=1
                                        ; implicit-def: $vgpr43_vgpr44
                                        ; implicit-def: $vgpr41_vgpr42
	s_delay_alu instid0(VALU_DEP_1) | instskip(NEXT) | instid1(SALU_CYCLE_1)
	s_and_saveexec_b32 s7, s6
	s_xor_b32 s7, exec_lo, s7
	s_cbranch_execz .LBB73_57
; %bb.52:                               ;   in Loop: Header=BB73_4 Depth=1
	v_cmp_neq_f64_e32 vcc_lo, 0, v[37:38]
	v_cmp_neq_f64_e64 s6, 0, v[39:40]
                                        ; implicit-def: $vgpr43_vgpr44
                                        ; implicit-def: $vgpr41_vgpr42
	s_delay_alu instid0(VALU_DEP_1) | instskip(NEXT) | instid1(SALU_CYCLE_1)
	s_or_b32 s6, s6, vcc_lo
	s_and_saveexec_b32 s17, s6
	s_delay_alu instid0(SALU_CYCLE_1)
	s_xor_b32 s6, exec_lo, s17
	s_cbranch_execz .LBB73_54
; %bb.53:                               ;   in Loop: Header=BB73_4 Depth=1
	v_div_scale_f64 v[41:42], null, v[37:38], v[37:38], v[39:40]
	v_div_scale_f64 v[47:48], vcc_lo, v[39:40], v[37:38], v[39:40]
	s_delay_alu instid0(VALU_DEP_2) | instskip(SKIP_2) | instid1(VALU_DEP_1)
	v_rcp_f64_e32 v[43:44], v[41:42]
	s_waitcnt_depctr 0xfff
	v_fma_f64 v[45:46], -v[41:42], v[43:44], 1.0
	v_fma_f64 v[43:44], v[43:44], v[45:46], v[43:44]
	s_delay_alu instid0(VALU_DEP_1) | instskip(NEXT) | instid1(VALU_DEP_1)
	v_fma_f64 v[45:46], -v[41:42], v[43:44], 1.0
	v_fma_f64 v[43:44], v[43:44], v[45:46], v[43:44]
	s_delay_alu instid0(VALU_DEP_1) | instskip(NEXT) | instid1(VALU_DEP_1)
	v_mul_f64 v[45:46], v[47:48], v[43:44]
	v_fma_f64 v[41:42], -v[41:42], v[45:46], v[47:48]
	s_delay_alu instid0(VALU_DEP_1) | instskip(NEXT) | instid1(VALU_DEP_1)
	v_div_fmas_f64 v[41:42], v[41:42], v[43:44], v[45:46]
	v_div_fixup_f64 v[41:42], v[41:42], v[37:38], v[39:40]
	s_delay_alu instid0(VALU_DEP_1) | instskip(NEXT) | instid1(VALU_DEP_1)
	v_fma_f64 v[37:38], v[39:40], v[41:42], v[37:38]
	v_div_scale_f64 v[39:40], null, v[37:38], v[37:38], 1.0
	v_div_scale_f64 v[47:48], vcc_lo, 1.0, v[37:38], 1.0
	s_delay_alu instid0(VALU_DEP_2) | instskip(SKIP_2) | instid1(VALU_DEP_1)
	v_rcp_f64_e32 v[43:44], v[39:40]
	s_waitcnt_depctr 0xfff
	v_fma_f64 v[45:46], -v[39:40], v[43:44], 1.0
	v_fma_f64 v[43:44], v[43:44], v[45:46], v[43:44]
	s_delay_alu instid0(VALU_DEP_1) | instskip(NEXT) | instid1(VALU_DEP_1)
	v_fma_f64 v[45:46], -v[39:40], v[43:44], 1.0
	v_fma_f64 v[43:44], v[43:44], v[45:46], v[43:44]
	s_delay_alu instid0(VALU_DEP_1) | instskip(NEXT) | instid1(VALU_DEP_1)
	v_mul_f64 v[45:46], v[47:48], v[43:44]
	v_fma_f64 v[39:40], -v[39:40], v[45:46], v[47:48]
                                        ; implicit-def: $vgpr47_vgpr48
	s_delay_alu instid0(VALU_DEP_1) | instskip(SKIP_2) | instid1(VALU_DEP_3)
	v_div_fmas_f64 v[39:40], v[39:40], v[43:44], v[45:46]
	v_fma_f64 v[43:44], v[35:36], v[41:42], v[33:34]
	v_fma_f64 v[33:34], -v[33:34], v[41:42], v[35:36]
                                        ; implicit-def: $vgpr45_vgpr46
	v_div_fixup_f64 v[37:38], v[39:40], v[37:38], 1.0
	s_delay_alu instid0(VALU_DEP_1) | instskip(NEXT) | instid1(VALU_DEP_3)
	v_mul_f64 v[41:42], v[43:44], v[37:38]
	v_mul_f64 v[43:44], v[33:34], v[37:38]
                                        ; implicit-def: $vgpr33_vgpr34
.LBB73_54:                              ;   in Loop: Header=BB73_4 Depth=1
	s_and_not1_saveexec_b32 s17, s6
	s_cbranch_execz .LBB73_56
; %bb.55:                               ;   in Loop: Header=BB73_4 Depth=1
	v_div_scale_f64 v[37:38], null, v[45:46], v[45:46], v[33:34]
	v_div_scale_f64 v[39:40], null, v[47:48], v[47:48], v[35:36]
	v_div_scale_f64 v[83:84], vcc_lo, v[33:34], v[45:46], v[33:34]
	s_delay_alu instid0(VALU_DEP_3) | instskip(NEXT) | instid1(VALU_DEP_2)
	v_rcp_f64_e32 v[41:42], v[37:38]
	v_rcp_f64_e32 v[43:44], v[39:40]
	s_waitcnt_depctr 0xfff
	v_fma_f64 v[55:56], -v[37:38], v[41:42], 1.0
	v_fma_f64 v[57:58], -v[39:40], v[43:44], 1.0
	s_delay_alu instid0(VALU_DEP_2) | instskip(NEXT) | instid1(VALU_DEP_2)
	v_fma_f64 v[41:42], v[41:42], v[55:56], v[41:42]
	v_fma_f64 v[43:44], v[43:44], v[57:58], v[43:44]
	s_delay_alu instid0(VALU_DEP_2) | instskip(NEXT) | instid1(VALU_DEP_2)
	v_fma_f64 v[55:56], -v[37:38], v[41:42], 1.0
	v_fma_f64 v[57:58], -v[39:40], v[43:44], 1.0
	s_delay_alu instid0(VALU_DEP_2) | instskip(SKIP_1) | instid1(VALU_DEP_3)
	v_fma_f64 v[41:42], v[41:42], v[55:56], v[41:42]
	v_div_scale_f64 v[55:56], s6, v[35:36], v[47:48], v[35:36]
	v_fma_f64 v[43:44], v[43:44], v[57:58], v[43:44]
	s_delay_alu instid0(VALU_DEP_3) | instskip(NEXT) | instid1(VALU_DEP_2)
	v_mul_f64 v[57:58], v[83:84], v[41:42]
	v_mul_f64 v[85:86], v[55:56], v[43:44]
	s_delay_alu instid0(VALU_DEP_2) | instskip(NEXT) | instid1(VALU_DEP_2)
	v_fma_f64 v[37:38], -v[37:38], v[57:58], v[83:84]
	v_fma_f64 v[39:40], -v[39:40], v[85:86], v[55:56]
	s_delay_alu instid0(VALU_DEP_2) | instskip(SKIP_1) | instid1(VALU_DEP_2)
	v_div_fmas_f64 v[37:38], v[37:38], v[41:42], v[57:58]
	s_mov_b32 vcc_lo, s6
	v_div_fmas_f64 v[39:40], v[39:40], v[43:44], v[85:86]
	s_delay_alu instid0(VALU_DEP_2) | instskip(NEXT) | instid1(VALU_DEP_2)
	v_div_fixup_f64 v[41:42], v[37:38], v[45:46], v[33:34]
	v_div_fixup_f64 v[43:44], v[39:40], v[47:48], v[35:36]
.LBB73_56:                              ;   in Loop: Header=BB73_4 Depth=1
	s_or_b32 exec_lo, exec_lo, s17
                                        ; implicit-def: $vgpr39_vgpr40
                                        ; implicit-def: $vgpr33_vgpr34
.LBB73_57:                              ;   in Loop: Header=BB73_4 Depth=1
	s_and_not1_saveexec_b32 s6, s7
	s_cbranch_execz .LBB73_59
; %bb.58:                               ;   in Loop: Header=BB73_4 Depth=1
	v_div_scale_f64 v[41:42], null, v[39:40], v[39:40], v[37:38]
	v_div_scale_f64 v[47:48], vcc_lo, v[37:38], v[39:40], v[37:38]
	s_delay_alu instid0(VALU_DEP_2) | instskip(SKIP_2) | instid1(VALU_DEP_1)
	v_rcp_f64_e32 v[43:44], v[41:42]
	s_waitcnt_depctr 0xfff
	v_fma_f64 v[45:46], -v[41:42], v[43:44], 1.0
	v_fma_f64 v[43:44], v[43:44], v[45:46], v[43:44]
	s_delay_alu instid0(VALU_DEP_1) | instskip(NEXT) | instid1(VALU_DEP_1)
	v_fma_f64 v[45:46], -v[41:42], v[43:44], 1.0
	v_fma_f64 v[43:44], v[43:44], v[45:46], v[43:44]
	s_delay_alu instid0(VALU_DEP_1) | instskip(NEXT) | instid1(VALU_DEP_1)
	v_mul_f64 v[45:46], v[47:48], v[43:44]
	v_fma_f64 v[41:42], -v[41:42], v[45:46], v[47:48]
	s_delay_alu instid0(VALU_DEP_1) | instskip(NEXT) | instid1(VALU_DEP_1)
	v_div_fmas_f64 v[41:42], v[41:42], v[43:44], v[45:46]
	v_div_fixup_f64 v[41:42], v[41:42], v[39:40], v[37:38]
	s_delay_alu instid0(VALU_DEP_1) | instskip(NEXT) | instid1(VALU_DEP_1)
	v_fma_f64 v[37:38], v[37:38], v[41:42], v[39:40]
	v_div_scale_f64 v[39:40], null, v[37:38], v[37:38], 1.0
	v_div_scale_f64 v[47:48], vcc_lo, 1.0, v[37:38], 1.0
	s_delay_alu instid0(VALU_DEP_2) | instskip(SKIP_2) | instid1(VALU_DEP_1)
	v_rcp_f64_e32 v[43:44], v[39:40]
	s_waitcnt_depctr 0xfff
	v_fma_f64 v[45:46], -v[39:40], v[43:44], 1.0
	v_fma_f64 v[43:44], v[43:44], v[45:46], v[43:44]
	s_delay_alu instid0(VALU_DEP_1) | instskip(NEXT) | instid1(VALU_DEP_1)
	v_fma_f64 v[45:46], -v[39:40], v[43:44], 1.0
	v_fma_f64 v[43:44], v[43:44], v[45:46], v[43:44]
	s_delay_alu instid0(VALU_DEP_1) | instskip(NEXT) | instid1(VALU_DEP_1)
	v_mul_f64 v[45:46], v[47:48], v[43:44]
	v_fma_f64 v[39:40], -v[39:40], v[45:46], v[47:48]
	s_delay_alu instid0(VALU_DEP_1) | instskip(SKIP_2) | instid1(VALU_DEP_3)
	v_div_fmas_f64 v[39:40], v[39:40], v[43:44], v[45:46]
	v_fma_f64 v[43:44], v[33:34], v[41:42], v[35:36]
	v_fma_f64 v[33:34], v[35:36], v[41:42], -v[33:34]
	v_div_fixup_f64 v[37:38], v[39:40], v[37:38], 1.0
	s_delay_alu instid0(VALU_DEP_1) | instskip(NEXT) | instid1(VALU_DEP_3)
	v_mul_f64 v[41:42], v[43:44], v[37:38]
	v_mul_f64 v[43:44], v[33:34], v[37:38]
.LBB73_59:                              ;   in Loop: Header=BB73_4 Depth=1
	s_or_b32 exec_lo, exec_lo, s6
.LBB73_60:                              ;   in Loop: Header=BB73_4 Depth=1
	v_cmp_gt_f64_e32 vcc_lo, 0, v[29:30]
	v_cmp_gt_f64_e64 s6, 0, v[31:32]
	v_xor_b32_e32 v33, 0x80000000, v30
	v_xor_b32_e32 v34, 0x80000000, v32
	s_delay_alu instid0(VALU_DEP_2) | instskip(NEXT) | instid1(VALU_DEP_2)
	v_cndmask_b32_e32 v38, v30, v33, vcc_lo
	v_cndmask_b32_e64 v40, v32, v34, s6
	v_cndmask_b32_e32 v37, v29, v29, vcc_lo
	v_cndmask_b32_e64 v39, v31, v31, s6
	s_and_not1_b32 vcc_lo, exec_lo, s31
	s_delay_alu instid0(VALU_DEP_1)
	v_cmp_ge_f64_e64 s6, v[37:38], v[39:40]
	s_cbranch_vccnz .LBB73_70
; %bb.61:                               ;   in Loop: Header=BB73_4 Depth=1
                                        ; implicit-def: $vgpr33_vgpr34
                                        ; implicit-def: $vgpr35_vgpr36
	s_delay_alu instid0(VALU_DEP_1) | instskip(NEXT) | instid1(SALU_CYCLE_1)
	s_and_saveexec_b32 s7, s6
	s_xor_b32 s17, exec_lo, s7
	s_cbranch_execz .LBB73_67
; %bb.62:                               ;   in Loop: Header=BB73_4 Depth=1
	v_cmp_neq_f64_e32 vcc_lo, 0, v[29:30]
	v_cmp_neq_f64_e64 s7, 0, v[31:32]
                                        ; implicit-def: $vgpr33_vgpr34
                                        ; implicit-def: $vgpr35_vgpr36
	s_delay_alu instid0(VALU_DEP_1) | instskip(NEXT) | instid1(SALU_CYCLE_1)
	s_or_b32 s7, s7, vcc_lo
	s_and_saveexec_b32 s34, s7
	s_delay_alu instid0(SALU_CYCLE_1)
	s_xor_b32 s7, exec_lo, s34
	s_cbranch_execz .LBB73_64
; %bb.63:                               ;   in Loop: Header=BB73_4 Depth=1
	v_div_scale_f64 v[33:34], null, v[29:30], v[29:30], v[31:32]
	v_div_scale_f64 v[47:48], vcc_lo, v[31:32], v[29:30], v[31:32]
	s_delay_alu instid0(VALU_DEP_2) | instskip(SKIP_2) | instid1(VALU_DEP_1)
	v_rcp_f64_e32 v[35:36], v[33:34]
	s_waitcnt_depctr 0xfff
	v_fma_f64 v[45:46], -v[33:34], v[35:36], 1.0
	v_fma_f64 v[35:36], v[35:36], v[45:46], v[35:36]
	s_delay_alu instid0(VALU_DEP_1) | instskip(NEXT) | instid1(VALU_DEP_1)
	v_fma_f64 v[45:46], -v[33:34], v[35:36], 1.0
	v_fma_f64 v[35:36], v[35:36], v[45:46], v[35:36]
	s_delay_alu instid0(VALU_DEP_1) | instskip(NEXT) | instid1(VALU_DEP_1)
	v_mul_f64 v[45:46], v[47:48], v[35:36]
	v_fma_f64 v[33:34], -v[33:34], v[45:46], v[47:48]
	s_delay_alu instid0(VALU_DEP_1) | instskip(NEXT) | instid1(VALU_DEP_1)
	v_div_fmas_f64 v[33:34], v[33:34], v[35:36], v[45:46]
	v_div_fixup_f64 v[33:34], v[33:34], v[29:30], v[31:32]
	s_delay_alu instid0(VALU_DEP_1) | instskip(NEXT) | instid1(VALU_DEP_1)
	v_fma_f64 v[35:36], v[31:32], v[33:34], v[29:30]
	v_div_scale_f64 v[45:46], null, v[35:36], v[35:36], 1.0
	v_div_scale_f64 v[57:58], vcc_lo, 1.0, v[35:36], 1.0
	s_delay_alu instid0(VALU_DEP_2) | instskip(SKIP_2) | instid1(VALU_DEP_1)
	v_rcp_f64_e32 v[47:48], v[45:46]
	s_waitcnt_depctr 0xfff
	v_fma_f64 v[55:56], -v[45:46], v[47:48], 1.0
	v_fma_f64 v[47:48], v[47:48], v[55:56], v[47:48]
	s_delay_alu instid0(VALU_DEP_1) | instskip(NEXT) | instid1(VALU_DEP_1)
	v_fma_f64 v[55:56], -v[45:46], v[47:48], 1.0
	v_fma_f64 v[47:48], v[47:48], v[55:56], v[47:48]
	s_delay_alu instid0(VALU_DEP_1) | instskip(NEXT) | instid1(VALU_DEP_1)
	v_mul_f64 v[55:56], v[57:58], v[47:48]
	v_fma_f64 v[45:46], -v[45:46], v[55:56], v[57:58]
	s_delay_alu instid0(VALU_DEP_1) | instskip(SKIP_2) | instid1(VALU_DEP_3)
	v_div_fmas_f64 v[45:46], v[45:46], v[47:48], v[55:56]
	v_fma_f64 v[47:48], v[27:28], v[33:34], v[25:26]
	v_fma_f64 v[33:34], -v[25:26], v[33:34], v[27:28]
	v_div_fixup_f64 v[45:46], v[45:46], v[35:36], 1.0
	s_delay_alu instid0(VALU_DEP_1) | instskip(NEXT) | instid1(VALU_DEP_3)
	v_mul_f64 v[35:36], v[47:48], v[45:46]
	v_mul_f64 v[33:34], v[33:34], v[45:46]
.LBB73_64:                              ;   in Loop: Header=BB73_4 Depth=1
	s_and_not1_saveexec_b32 s34, s7
	s_cbranch_execz .LBB73_66
; %bb.65:                               ;   in Loop: Header=BB73_4 Depth=1
	v_div_scale_f64 v[33:34], null, v[37:38], v[37:38], v[25:26]
	v_div_scale_f64 v[35:36], null, v[39:40], v[39:40], v[27:28]
	v_div_scale_f64 v[83:84], vcc_lo, v[25:26], v[37:38], v[25:26]
	s_delay_alu instid0(VALU_DEP_3) | instskip(NEXT) | instid1(VALU_DEP_2)
	v_rcp_f64_e32 v[45:46], v[33:34]
	v_rcp_f64_e32 v[47:48], v[35:36]
	s_waitcnt_depctr 0xfff
	v_fma_f64 v[55:56], -v[33:34], v[45:46], 1.0
	v_fma_f64 v[57:58], -v[35:36], v[47:48], 1.0
	s_delay_alu instid0(VALU_DEP_2) | instskip(NEXT) | instid1(VALU_DEP_2)
	v_fma_f64 v[45:46], v[45:46], v[55:56], v[45:46]
	v_fma_f64 v[47:48], v[47:48], v[57:58], v[47:48]
	s_delay_alu instid0(VALU_DEP_2) | instskip(NEXT) | instid1(VALU_DEP_2)
	v_fma_f64 v[55:56], -v[33:34], v[45:46], 1.0
	v_fma_f64 v[57:58], -v[35:36], v[47:48], 1.0
	s_delay_alu instid0(VALU_DEP_2) | instskip(SKIP_1) | instid1(VALU_DEP_3)
	v_fma_f64 v[45:46], v[45:46], v[55:56], v[45:46]
	v_div_scale_f64 v[55:56], s7, v[27:28], v[39:40], v[27:28]
	v_fma_f64 v[47:48], v[47:48], v[57:58], v[47:48]
	s_delay_alu instid0(VALU_DEP_3) | instskip(NEXT) | instid1(VALU_DEP_2)
	v_mul_f64 v[57:58], v[83:84], v[45:46]
	v_mul_f64 v[85:86], v[55:56], v[47:48]
	s_delay_alu instid0(VALU_DEP_2) | instskip(NEXT) | instid1(VALU_DEP_2)
	v_fma_f64 v[33:34], -v[33:34], v[57:58], v[83:84]
	v_fma_f64 v[35:36], -v[35:36], v[85:86], v[55:56]
	s_delay_alu instid0(VALU_DEP_2) | instskip(SKIP_1) | instid1(VALU_DEP_2)
	v_div_fmas_f64 v[33:34], v[33:34], v[45:46], v[57:58]
	s_mov_b32 vcc_lo, s7
	v_div_fmas_f64 v[45:46], v[35:36], v[47:48], v[85:86]
	s_delay_alu instid0(VALU_DEP_2) | instskip(NEXT) | instid1(VALU_DEP_2)
	v_div_fixup_f64 v[35:36], v[33:34], v[37:38], v[25:26]
	v_div_fixup_f64 v[33:34], v[45:46], v[39:40], v[27:28]
.LBB73_66:                              ;   in Loop: Header=BB73_4 Depth=1
	s_or_b32 exec_lo, exec_lo, s34
.LBB73_67:                              ;   in Loop: Header=BB73_4 Depth=1
	s_and_not1_saveexec_b32 s7, s17
	s_cbranch_execz .LBB73_69
; %bb.68:                               ;   in Loop: Header=BB73_4 Depth=1
	v_div_scale_f64 v[33:34], null, v[31:32], v[31:32], v[29:30]
	v_div_scale_f64 v[47:48], vcc_lo, v[29:30], v[31:32], v[29:30]
	s_delay_alu instid0(VALU_DEP_2) | instskip(SKIP_2) | instid1(VALU_DEP_1)
	v_rcp_f64_e32 v[35:36], v[33:34]
	s_waitcnt_depctr 0xfff
	v_fma_f64 v[45:46], -v[33:34], v[35:36], 1.0
	v_fma_f64 v[35:36], v[35:36], v[45:46], v[35:36]
	s_delay_alu instid0(VALU_DEP_1) | instskip(NEXT) | instid1(VALU_DEP_1)
	v_fma_f64 v[45:46], -v[33:34], v[35:36], 1.0
	v_fma_f64 v[35:36], v[35:36], v[45:46], v[35:36]
	s_delay_alu instid0(VALU_DEP_1) | instskip(NEXT) | instid1(VALU_DEP_1)
	v_mul_f64 v[45:46], v[47:48], v[35:36]
	v_fma_f64 v[33:34], -v[33:34], v[45:46], v[47:48]
	s_delay_alu instid0(VALU_DEP_1) | instskip(NEXT) | instid1(VALU_DEP_1)
	v_div_fmas_f64 v[33:34], v[33:34], v[35:36], v[45:46]
	v_div_fixup_f64 v[33:34], v[33:34], v[31:32], v[29:30]
	s_delay_alu instid0(VALU_DEP_1) | instskip(NEXT) | instid1(VALU_DEP_1)
	v_fma_f64 v[35:36], v[29:30], v[33:34], v[31:32]
	v_div_scale_f64 v[45:46], null, v[35:36], v[35:36], 1.0
	v_div_scale_f64 v[57:58], vcc_lo, 1.0, v[35:36], 1.0
	s_delay_alu instid0(VALU_DEP_2) | instskip(SKIP_2) | instid1(VALU_DEP_1)
	v_rcp_f64_e32 v[47:48], v[45:46]
	s_waitcnt_depctr 0xfff
	v_fma_f64 v[55:56], -v[45:46], v[47:48], 1.0
	v_fma_f64 v[47:48], v[47:48], v[55:56], v[47:48]
	s_delay_alu instid0(VALU_DEP_1) | instskip(NEXT) | instid1(VALU_DEP_1)
	v_fma_f64 v[55:56], -v[45:46], v[47:48], 1.0
	v_fma_f64 v[47:48], v[47:48], v[55:56], v[47:48]
	s_delay_alu instid0(VALU_DEP_1) | instskip(NEXT) | instid1(VALU_DEP_1)
	v_mul_f64 v[55:56], v[57:58], v[47:48]
	v_fma_f64 v[45:46], -v[45:46], v[55:56], v[57:58]
	s_delay_alu instid0(VALU_DEP_1) | instskip(SKIP_2) | instid1(VALU_DEP_3)
	v_div_fmas_f64 v[45:46], v[45:46], v[47:48], v[55:56]
	v_fma_f64 v[47:48], v[25:26], v[33:34], v[27:28]
	v_fma_f64 v[33:34], v[27:28], v[33:34], -v[25:26]
	v_div_fixup_f64 v[45:46], v[45:46], v[35:36], 1.0
	s_delay_alu instid0(VALU_DEP_1) | instskip(NEXT) | instid1(VALU_DEP_3)
	v_mul_f64 v[35:36], v[47:48], v[45:46]
	v_mul_f64 v[33:34], v[33:34], v[45:46]
.LBB73_69:                              ;   in Loop: Header=BB73_4 Depth=1
	s_or_b32 exec_lo, exec_lo, s7
	s_delay_alu instid0(VALU_DEP_1) | instskip(SKIP_1) | instid1(VALU_DEP_2)
	v_mul_f64 v[45:46], s[10:11], v[33:34]
	v_mul_f64 v[47:48], s[8:9], v[33:34]
	v_fma_f64 v[33:34], s[8:9], v[35:36], -v[45:46]
	s_delay_alu instid0(VALU_DEP_2)
	v_fma_f64 v[35:36], s[10:11], v[35:36], v[47:48]
	s_branch .LBB73_80
.LBB73_70:                              ;   in Loop: Header=BB73_4 Depth=1
                                        ; implicit-def: $vgpr35_vgpr36
                                        ; implicit-def: $vgpr33_vgpr34
	s_cbranch_execz .LBB73_80
; %bb.71:                               ;   in Loop: Header=BB73_4 Depth=1
                                        ; implicit-def: $vgpr35_vgpr36
                                        ; implicit-def: $vgpr33_vgpr34
	s_delay_alu instid0(VALU_DEP_1) | instskip(NEXT) | instid1(SALU_CYCLE_1)
	s_and_saveexec_b32 s7, s6
	s_xor_b32 s7, exec_lo, s7
	s_cbranch_execz .LBB73_77
; %bb.72:                               ;   in Loop: Header=BB73_4 Depth=1
	v_cmp_neq_f64_e32 vcc_lo, 0, v[29:30]
	v_cmp_neq_f64_e64 s6, 0, v[31:32]
                                        ; implicit-def: $vgpr35_vgpr36
                                        ; implicit-def: $vgpr33_vgpr34
	s_delay_alu instid0(VALU_DEP_1) | instskip(NEXT) | instid1(SALU_CYCLE_1)
	s_or_b32 s6, s6, vcc_lo
	s_and_saveexec_b32 s17, s6
	s_delay_alu instid0(SALU_CYCLE_1)
	s_xor_b32 s6, exec_lo, s17
	s_cbranch_execz .LBB73_74
; %bb.73:                               ;   in Loop: Header=BB73_4 Depth=1
	v_div_scale_f64 v[33:34], null, v[29:30], v[29:30], v[31:32]
	v_div_scale_f64 v[39:40], vcc_lo, v[31:32], v[29:30], v[31:32]
	s_delay_alu instid0(VALU_DEP_2) | instskip(SKIP_2) | instid1(VALU_DEP_1)
	v_rcp_f64_e32 v[35:36], v[33:34]
	s_waitcnt_depctr 0xfff
	v_fma_f64 v[37:38], -v[33:34], v[35:36], 1.0
	v_fma_f64 v[35:36], v[35:36], v[37:38], v[35:36]
	s_delay_alu instid0(VALU_DEP_1) | instskip(NEXT) | instid1(VALU_DEP_1)
	v_fma_f64 v[37:38], -v[33:34], v[35:36], 1.0
	v_fma_f64 v[35:36], v[35:36], v[37:38], v[35:36]
	s_delay_alu instid0(VALU_DEP_1) | instskip(NEXT) | instid1(VALU_DEP_1)
	v_mul_f64 v[37:38], v[39:40], v[35:36]
	v_fma_f64 v[33:34], -v[33:34], v[37:38], v[39:40]
	s_delay_alu instid0(VALU_DEP_1) | instskip(NEXT) | instid1(VALU_DEP_1)
	v_div_fmas_f64 v[33:34], v[33:34], v[35:36], v[37:38]
	v_div_fixup_f64 v[33:34], v[33:34], v[29:30], v[31:32]
	s_delay_alu instid0(VALU_DEP_1) | instskip(NEXT) | instid1(VALU_DEP_1)
	v_fma_f64 v[29:30], v[31:32], v[33:34], v[29:30]
	v_div_scale_f64 v[31:32], null, v[29:30], v[29:30], 1.0
	v_div_scale_f64 v[39:40], vcc_lo, 1.0, v[29:30], 1.0
	s_delay_alu instid0(VALU_DEP_2) | instskip(SKIP_2) | instid1(VALU_DEP_1)
	v_rcp_f64_e32 v[35:36], v[31:32]
	s_waitcnt_depctr 0xfff
	v_fma_f64 v[37:38], -v[31:32], v[35:36], 1.0
	v_fma_f64 v[35:36], v[35:36], v[37:38], v[35:36]
	s_delay_alu instid0(VALU_DEP_1) | instskip(NEXT) | instid1(VALU_DEP_1)
	v_fma_f64 v[37:38], -v[31:32], v[35:36], 1.0
	v_fma_f64 v[35:36], v[35:36], v[37:38], v[35:36]
	s_delay_alu instid0(VALU_DEP_1) | instskip(NEXT) | instid1(VALU_DEP_1)
	v_mul_f64 v[37:38], v[39:40], v[35:36]
	v_fma_f64 v[31:32], -v[31:32], v[37:38], v[39:40]
                                        ; implicit-def: $vgpr39_vgpr40
	s_delay_alu instid0(VALU_DEP_1) | instskip(SKIP_2) | instid1(VALU_DEP_3)
	v_div_fmas_f64 v[31:32], v[31:32], v[35:36], v[37:38]
	v_fma_f64 v[35:36], v[27:28], v[33:34], v[25:26]
	v_fma_f64 v[25:26], -v[25:26], v[33:34], v[27:28]
                                        ; implicit-def: $vgpr37_vgpr38
	v_div_fixup_f64 v[29:30], v[31:32], v[29:30], 1.0
	s_delay_alu instid0(VALU_DEP_1) | instskip(NEXT) | instid1(VALU_DEP_3)
	v_mul_f64 v[33:34], v[35:36], v[29:30]
	v_mul_f64 v[35:36], v[25:26], v[29:30]
                                        ; implicit-def: $vgpr25_vgpr26
.LBB73_74:                              ;   in Loop: Header=BB73_4 Depth=1
	s_and_not1_saveexec_b32 s17, s6
	s_cbranch_execz .LBB73_76
; %bb.75:                               ;   in Loop: Header=BB73_4 Depth=1
	v_div_scale_f64 v[29:30], null, v[37:38], v[37:38], v[25:26]
	v_div_scale_f64 v[31:32], null, v[39:40], v[39:40], v[27:28]
	v_div_scale_f64 v[55:56], vcc_lo, v[25:26], v[37:38], v[25:26]
	s_delay_alu instid0(VALU_DEP_3) | instskip(NEXT) | instid1(VALU_DEP_2)
	v_rcp_f64_e32 v[33:34], v[29:30]
	v_rcp_f64_e32 v[35:36], v[31:32]
	s_waitcnt_depctr 0xfff
	v_fma_f64 v[45:46], -v[29:30], v[33:34], 1.0
	v_fma_f64 v[47:48], -v[31:32], v[35:36], 1.0
	s_delay_alu instid0(VALU_DEP_2) | instskip(NEXT) | instid1(VALU_DEP_2)
	v_fma_f64 v[33:34], v[33:34], v[45:46], v[33:34]
	v_fma_f64 v[35:36], v[35:36], v[47:48], v[35:36]
	s_delay_alu instid0(VALU_DEP_2) | instskip(NEXT) | instid1(VALU_DEP_2)
	v_fma_f64 v[45:46], -v[29:30], v[33:34], 1.0
	v_fma_f64 v[47:48], -v[31:32], v[35:36], 1.0
	s_delay_alu instid0(VALU_DEP_2) | instskip(SKIP_1) | instid1(VALU_DEP_3)
	v_fma_f64 v[33:34], v[33:34], v[45:46], v[33:34]
	v_div_scale_f64 v[45:46], s6, v[27:28], v[39:40], v[27:28]
	v_fma_f64 v[35:36], v[35:36], v[47:48], v[35:36]
	s_delay_alu instid0(VALU_DEP_3) | instskip(NEXT) | instid1(VALU_DEP_2)
	v_mul_f64 v[47:48], v[55:56], v[33:34]
	v_mul_f64 v[57:58], v[45:46], v[35:36]
	s_delay_alu instid0(VALU_DEP_2) | instskip(NEXT) | instid1(VALU_DEP_2)
	v_fma_f64 v[29:30], -v[29:30], v[47:48], v[55:56]
	v_fma_f64 v[31:32], -v[31:32], v[57:58], v[45:46]
	s_delay_alu instid0(VALU_DEP_2) | instskip(SKIP_1) | instid1(VALU_DEP_2)
	v_div_fmas_f64 v[29:30], v[29:30], v[33:34], v[47:48]
	s_mov_b32 vcc_lo, s6
	v_div_fmas_f64 v[31:32], v[31:32], v[35:36], v[57:58]
	s_delay_alu instid0(VALU_DEP_2) | instskip(NEXT) | instid1(VALU_DEP_2)
	v_div_fixup_f64 v[33:34], v[29:30], v[37:38], v[25:26]
	v_div_fixup_f64 v[35:36], v[31:32], v[39:40], v[27:28]
.LBB73_76:                              ;   in Loop: Header=BB73_4 Depth=1
	s_or_b32 exec_lo, exec_lo, s17
                                        ; implicit-def: $vgpr31_vgpr32
                                        ; implicit-def: $vgpr25_vgpr26
.LBB73_77:                              ;   in Loop: Header=BB73_4 Depth=1
	s_and_not1_saveexec_b32 s6, s7
	s_cbranch_execz .LBB73_79
; %bb.78:                               ;   in Loop: Header=BB73_4 Depth=1
	v_div_scale_f64 v[33:34], null, v[31:32], v[31:32], v[29:30]
	v_div_scale_f64 v[39:40], vcc_lo, v[29:30], v[31:32], v[29:30]
	s_delay_alu instid0(VALU_DEP_2) | instskip(SKIP_2) | instid1(VALU_DEP_1)
	v_rcp_f64_e32 v[35:36], v[33:34]
	s_waitcnt_depctr 0xfff
	v_fma_f64 v[37:38], -v[33:34], v[35:36], 1.0
	v_fma_f64 v[35:36], v[35:36], v[37:38], v[35:36]
	s_delay_alu instid0(VALU_DEP_1) | instskip(NEXT) | instid1(VALU_DEP_1)
	v_fma_f64 v[37:38], -v[33:34], v[35:36], 1.0
	v_fma_f64 v[35:36], v[35:36], v[37:38], v[35:36]
	s_delay_alu instid0(VALU_DEP_1) | instskip(NEXT) | instid1(VALU_DEP_1)
	v_mul_f64 v[37:38], v[39:40], v[35:36]
	v_fma_f64 v[33:34], -v[33:34], v[37:38], v[39:40]
	s_delay_alu instid0(VALU_DEP_1) | instskip(NEXT) | instid1(VALU_DEP_1)
	v_div_fmas_f64 v[33:34], v[33:34], v[35:36], v[37:38]
	v_div_fixup_f64 v[33:34], v[33:34], v[31:32], v[29:30]
	s_delay_alu instid0(VALU_DEP_1) | instskip(NEXT) | instid1(VALU_DEP_1)
	v_fma_f64 v[29:30], v[29:30], v[33:34], v[31:32]
	v_div_scale_f64 v[31:32], null, v[29:30], v[29:30], 1.0
	v_div_scale_f64 v[39:40], vcc_lo, 1.0, v[29:30], 1.0
	s_delay_alu instid0(VALU_DEP_2) | instskip(SKIP_2) | instid1(VALU_DEP_1)
	v_rcp_f64_e32 v[35:36], v[31:32]
	s_waitcnt_depctr 0xfff
	v_fma_f64 v[37:38], -v[31:32], v[35:36], 1.0
	v_fma_f64 v[35:36], v[35:36], v[37:38], v[35:36]
	s_delay_alu instid0(VALU_DEP_1) | instskip(NEXT) | instid1(VALU_DEP_1)
	v_fma_f64 v[37:38], -v[31:32], v[35:36], 1.0
	v_fma_f64 v[35:36], v[35:36], v[37:38], v[35:36]
	s_delay_alu instid0(VALU_DEP_1) | instskip(NEXT) | instid1(VALU_DEP_1)
	v_mul_f64 v[37:38], v[39:40], v[35:36]
	v_fma_f64 v[31:32], -v[31:32], v[37:38], v[39:40]
	s_delay_alu instid0(VALU_DEP_1) | instskip(SKIP_2) | instid1(VALU_DEP_3)
	v_div_fmas_f64 v[31:32], v[31:32], v[35:36], v[37:38]
	v_fma_f64 v[35:36], v[25:26], v[33:34], v[27:28]
	v_fma_f64 v[25:26], v[27:28], v[33:34], -v[25:26]
	v_div_fixup_f64 v[29:30], v[31:32], v[29:30], 1.0
	s_delay_alu instid0(VALU_DEP_1) | instskip(NEXT) | instid1(VALU_DEP_3)
	v_mul_f64 v[33:34], v[35:36], v[29:30]
	v_mul_f64 v[35:36], v[25:26], v[29:30]
.LBB73_79:                              ;   in Loop: Header=BB73_4 Depth=1
	s_or_b32 exec_lo, exec_lo, s6
.LBB73_80:                              ;   in Loop: Header=BB73_4 Depth=1
	v_cmp_gt_f64_e32 vcc_lo, 0, v[21:22]
	v_cmp_gt_f64_e64 s6, 0, v[23:24]
	v_xor_b32_e32 v25, 0x80000000, v22
	v_xor_b32_e32 v27, 0x80000000, v24
	s_delay_alu instid0(VALU_DEP_2) | instskip(NEXT) | instid1(VALU_DEP_2)
	v_cndmask_b32_e32 v26, v22, v25, vcc_lo
	v_cndmask_b32_e64 v28, v24, v27, s6
	v_cndmask_b32_e32 v25, v21, v21, vcc_lo
	v_cndmask_b32_e64 v27, v23, v23, s6
	s_and_not1_b32 vcc_lo, exec_lo, s31
	s_delay_alu instid0(VALU_DEP_1)
	v_cmp_ge_f64_e64 s6, v[25:26], v[27:28]
	s_cbranch_vccnz .LBB73_90
; %bb.81:                               ;   in Loop: Header=BB73_4 Depth=1
                                        ; implicit-def: $vgpr29_vgpr30
                                        ; implicit-def: $vgpr31_vgpr32
	s_delay_alu instid0(VALU_DEP_1) | instskip(NEXT) | instid1(SALU_CYCLE_1)
	s_and_saveexec_b32 s7, s6
	s_xor_b32 s17, exec_lo, s7
	s_cbranch_execz .LBB73_87
; %bb.82:                               ;   in Loop: Header=BB73_4 Depth=1
	v_cmp_neq_f64_e32 vcc_lo, 0, v[21:22]
	v_cmp_neq_f64_e64 s7, 0, v[23:24]
                                        ; implicit-def: $vgpr29_vgpr30
                                        ; implicit-def: $vgpr31_vgpr32
	s_delay_alu instid0(VALU_DEP_1) | instskip(NEXT) | instid1(SALU_CYCLE_1)
	s_or_b32 s7, s7, vcc_lo
	s_and_saveexec_b32 s34, s7
	s_delay_alu instid0(SALU_CYCLE_1)
	s_xor_b32 s7, exec_lo, s34
	s_cbranch_execz .LBB73_84
; %bb.83:                               ;   in Loop: Header=BB73_4 Depth=1
	v_div_scale_f64 v[29:30], null, v[21:22], v[21:22], v[23:24]
	v_div_scale_f64 v[39:40], vcc_lo, v[23:24], v[21:22], v[23:24]
	s_delay_alu instid0(VALU_DEP_2) | instskip(SKIP_2) | instid1(VALU_DEP_1)
	v_rcp_f64_e32 v[31:32], v[29:30]
	s_waitcnt_depctr 0xfff
	v_fma_f64 v[37:38], -v[29:30], v[31:32], 1.0
	v_fma_f64 v[31:32], v[31:32], v[37:38], v[31:32]
	s_delay_alu instid0(VALU_DEP_1) | instskip(NEXT) | instid1(VALU_DEP_1)
	v_fma_f64 v[37:38], -v[29:30], v[31:32], 1.0
	v_fma_f64 v[31:32], v[31:32], v[37:38], v[31:32]
	s_delay_alu instid0(VALU_DEP_1) | instskip(NEXT) | instid1(VALU_DEP_1)
	v_mul_f64 v[37:38], v[39:40], v[31:32]
	v_fma_f64 v[29:30], -v[29:30], v[37:38], v[39:40]
	s_delay_alu instid0(VALU_DEP_1) | instskip(NEXT) | instid1(VALU_DEP_1)
	v_div_fmas_f64 v[29:30], v[29:30], v[31:32], v[37:38]
	v_div_fixup_f64 v[29:30], v[29:30], v[21:22], v[23:24]
	s_delay_alu instid0(VALU_DEP_1) | instskip(NEXT) | instid1(VALU_DEP_1)
	v_fma_f64 v[31:32], v[23:24], v[29:30], v[21:22]
	v_div_scale_f64 v[37:38], null, v[31:32], v[31:32], 1.0
	v_div_scale_f64 v[47:48], vcc_lo, 1.0, v[31:32], 1.0
	s_delay_alu instid0(VALU_DEP_2) | instskip(SKIP_2) | instid1(VALU_DEP_1)
	v_rcp_f64_e32 v[39:40], v[37:38]
	s_waitcnt_depctr 0xfff
	v_fma_f64 v[45:46], -v[37:38], v[39:40], 1.0
	v_fma_f64 v[39:40], v[39:40], v[45:46], v[39:40]
	s_delay_alu instid0(VALU_DEP_1) | instskip(NEXT) | instid1(VALU_DEP_1)
	v_fma_f64 v[45:46], -v[37:38], v[39:40], 1.0
	v_fma_f64 v[39:40], v[39:40], v[45:46], v[39:40]
	s_delay_alu instid0(VALU_DEP_1) | instskip(NEXT) | instid1(VALU_DEP_1)
	v_mul_f64 v[45:46], v[47:48], v[39:40]
	v_fma_f64 v[37:38], -v[37:38], v[45:46], v[47:48]
	s_delay_alu instid0(VALU_DEP_1) | instskip(SKIP_2) | instid1(VALU_DEP_3)
	v_div_fmas_f64 v[37:38], v[37:38], v[39:40], v[45:46]
	v_fma_f64 v[39:40], v[19:20], v[29:30], v[17:18]
	v_fma_f64 v[29:30], -v[17:18], v[29:30], v[19:20]
	v_div_fixup_f64 v[37:38], v[37:38], v[31:32], 1.0
	s_delay_alu instid0(VALU_DEP_1) | instskip(NEXT) | instid1(VALU_DEP_3)
	v_mul_f64 v[31:32], v[39:40], v[37:38]
	v_mul_f64 v[29:30], v[29:30], v[37:38]
.LBB73_84:                              ;   in Loop: Header=BB73_4 Depth=1
	s_and_not1_saveexec_b32 s34, s7
	s_cbranch_execz .LBB73_86
; %bb.85:                               ;   in Loop: Header=BB73_4 Depth=1
	v_div_scale_f64 v[29:30], null, v[25:26], v[25:26], v[17:18]
	v_div_scale_f64 v[31:32], null, v[27:28], v[27:28], v[19:20]
	v_div_scale_f64 v[55:56], vcc_lo, v[17:18], v[25:26], v[17:18]
	s_delay_alu instid0(VALU_DEP_3) | instskip(NEXT) | instid1(VALU_DEP_2)
	v_rcp_f64_e32 v[37:38], v[29:30]
	v_rcp_f64_e32 v[39:40], v[31:32]
	s_waitcnt_depctr 0xfff
	v_fma_f64 v[45:46], -v[29:30], v[37:38], 1.0
	v_fma_f64 v[47:48], -v[31:32], v[39:40], 1.0
	s_delay_alu instid0(VALU_DEP_2) | instskip(NEXT) | instid1(VALU_DEP_2)
	v_fma_f64 v[37:38], v[37:38], v[45:46], v[37:38]
	v_fma_f64 v[39:40], v[39:40], v[47:48], v[39:40]
	s_delay_alu instid0(VALU_DEP_2) | instskip(NEXT) | instid1(VALU_DEP_2)
	v_fma_f64 v[45:46], -v[29:30], v[37:38], 1.0
	v_fma_f64 v[47:48], -v[31:32], v[39:40], 1.0
	s_delay_alu instid0(VALU_DEP_2) | instskip(SKIP_1) | instid1(VALU_DEP_3)
	v_fma_f64 v[37:38], v[37:38], v[45:46], v[37:38]
	v_div_scale_f64 v[45:46], s7, v[19:20], v[27:28], v[19:20]
	v_fma_f64 v[39:40], v[39:40], v[47:48], v[39:40]
	s_delay_alu instid0(VALU_DEP_3) | instskip(NEXT) | instid1(VALU_DEP_2)
	v_mul_f64 v[47:48], v[55:56], v[37:38]
	v_mul_f64 v[57:58], v[45:46], v[39:40]
	s_delay_alu instid0(VALU_DEP_2) | instskip(NEXT) | instid1(VALU_DEP_2)
	v_fma_f64 v[29:30], -v[29:30], v[47:48], v[55:56]
	v_fma_f64 v[31:32], -v[31:32], v[57:58], v[45:46]
	s_delay_alu instid0(VALU_DEP_2) | instskip(SKIP_1) | instid1(VALU_DEP_2)
	v_div_fmas_f64 v[29:30], v[29:30], v[37:38], v[47:48]
	s_mov_b32 vcc_lo, s7
	v_div_fmas_f64 v[37:38], v[31:32], v[39:40], v[57:58]
	s_delay_alu instid0(VALU_DEP_2) | instskip(NEXT) | instid1(VALU_DEP_2)
	v_div_fixup_f64 v[31:32], v[29:30], v[25:26], v[17:18]
	v_div_fixup_f64 v[29:30], v[37:38], v[27:28], v[19:20]
.LBB73_86:                              ;   in Loop: Header=BB73_4 Depth=1
	s_or_b32 exec_lo, exec_lo, s34
.LBB73_87:                              ;   in Loop: Header=BB73_4 Depth=1
	s_and_not1_saveexec_b32 s7, s17
	s_cbranch_execz .LBB73_89
; %bb.88:                               ;   in Loop: Header=BB73_4 Depth=1
	v_div_scale_f64 v[29:30], null, v[23:24], v[23:24], v[21:22]
	v_div_scale_f64 v[39:40], vcc_lo, v[21:22], v[23:24], v[21:22]
	s_delay_alu instid0(VALU_DEP_2) | instskip(SKIP_2) | instid1(VALU_DEP_1)
	v_rcp_f64_e32 v[31:32], v[29:30]
	s_waitcnt_depctr 0xfff
	v_fma_f64 v[37:38], -v[29:30], v[31:32], 1.0
	v_fma_f64 v[31:32], v[31:32], v[37:38], v[31:32]
	s_delay_alu instid0(VALU_DEP_1) | instskip(NEXT) | instid1(VALU_DEP_1)
	v_fma_f64 v[37:38], -v[29:30], v[31:32], 1.0
	v_fma_f64 v[31:32], v[31:32], v[37:38], v[31:32]
	s_delay_alu instid0(VALU_DEP_1) | instskip(NEXT) | instid1(VALU_DEP_1)
	v_mul_f64 v[37:38], v[39:40], v[31:32]
	v_fma_f64 v[29:30], -v[29:30], v[37:38], v[39:40]
	s_delay_alu instid0(VALU_DEP_1) | instskip(NEXT) | instid1(VALU_DEP_1)
	v_div_fmas_f64 v[29:30], v[29:30], v[31:32], v[37:38]
	v_div_fixup_f64 v[29:30], v[29:30], v[23:24], v[21:22]
	s_delay_alu instid0(VALU_DEP_1) | instskip(NEXT) | instid1(VALU_DEP_1)
	v_fma_f64 v[31:32], v[21:22], v[29:30], v[23:24]
	v_div_scale_f64 v[37:38], null, v[31:32], v[31:32], 1.0
	v_div_scale_f64 v[47:48], vcc_lo, 1.0, v[31:32], 1.0
	s_delay_alu instid0(VALU_DEP_2) | instskip(SKIP_2) | instid1(VALU_DEP_1)
	v_rcp_f64_e32 v[39:40], v[37:38]
	s_waitcnt_depctr 0xfff
	v_fma_f64 v[45:46], -v[37:38], v[39:40], 1.0
	v_fma_f64 v[39:40], v[39:40], v[45:46], v[39:40]
	s_delay_alu instid0(VALU_DEP_1) | instskip(NEXT) | instid1(VALU_DEP_1)
	v_fma_f64 v[45:46], -v[37:38], v[39:40], 1.0
	v_fma_f64 v[39:40], v[39:40], v[45:46], v[39:40]
	s_delay_alu instid0(VALU_DEP_1) | instskip(NEXT) | instid1(VALU_DEP_1)
	v_mul_f64 v[45:46], v[47:48], v[39:40]
	v_fma_f64 v[37:38], -v[37:38], v[45:46], v[47:48]
	s_delay_alu instid0(VALU_DEP_1) | instskip(SKIP_2) | instid1(VALU_DEP_3)
	v_div_fmas_f64 v[37:38], v[37:38], v[39:40], v[45:46]
	v_fma_f64 v[39:40], v[17:18], v[29:30], v[19:20]
	v_fma_f64 v[29:30], v[19:20], v[29:30], -v[17:18]
	v_div_fixup_f64 v[37:38], v[37:38], v[31:32], 1.0
	s_delay_alu instid0(VALU_DEP_1) | instskip(NEXT) | instid1(VALU_DEP_3)
	v_mul_f64 v[31:32], v[39:40], v[37:38]
	v_mul_f64 v[29:30], v[29:30], v[37:38]
.LBB73_89:                              ;   in Loop: Header=BB73_4 Depth=1
	s_or_b32 exec_lo, exec_lo, s7
	s_delay_alu instid0(VALU_DEP_1) | instskip(SKIP_1) | instid1(VALU_DEP_2)
	v_mul_f64 v[37:38], s[10:11], v[29:30]
	v_mul_f64 v[39:40], s[8:9], v[29:30]
	v_fma_f64 v[29:30], s[8:9], v[31:32], -v[37:38]
	s_delay_alu instid0(VALU_DEP_2)
	v_fma_f64 v[31:32], s[10:11], v[31:32], v[39:40]
	s_branch .LBB73_100
.LBB73_90:                              ;   in Loop: Header=BB73_4 Depth=1
                                        ; implicit-def: $vgpr31_vgpr32
                                        ; implicit-def: $vgpr29_vgpr30
	s_cbranch_execz .LBB73_100
; %bb.91:                               ;   in Loop: Header=BB73_4 Depth=1
                                        ; implicit-def: $vgpr31_vgpr32
                                        ; implicit-def: $vgpr29_vgpr30
	s_delay_alu instid0(VALU_DEP_1) | instskip(NEXT) | instid1(SALU_CYCLE_1)
	s_and_saveexec_b32 s7, s6
	s_xor_b32 s7, exec_lo, s7
	s_cbranch_execz .LBB73_97
; %bb.92:                               ;   in Loop: Header=BB73_4 Depth=1
	v_cmp_neq_f64_e32 vcc_lo, 0, v[21:22]
	v_cmp_neq_f64_e64 s6, 0, v[23:24]
                                        ; implicit-def: $vgpr31_vgpr32
                                        ; implicit-def: $vgpr29_vgpr30
	s_delay_alu instid0(VALU_DEP_1) | instskip(NEXT) | instid1(SALU_CYCLE_1)
	s_or_b32 s6, s6, vcc_lo
	s_and_saveexec_b32 s17, s6
	s_delay_alu instid0(SALU_CYCLE_1)
	s_xor_b32 s6, exec_lo, s17
	s_cbranch_execz .LBB73_94
; %bb.93:                               ;   in Loop: Header=BB73_4 Depth=1
	v_div_scale_f64 v[25:26], null, v[21:22], v[21:22], v[23:24]
	v_div_scale_f64 v[31:32], vcc_lo, v[23:24], v[21:22], v[23:24]
	s_delay_alu instid0(VALU_DEP_2) | instskip(SKIP_2) | instid1(VALU_DEP_1)
	v_rcp_f64_e32 v[27:28], v[25:26]
	s_waitcnt_depctr 0xfff
	v_fma_f64 v[29:30], -v[25:26], v[27:28], 1.0
	v_fma_f64 v[27:28], v[27:28], v[29:30], v[27:28]
	s_delay_alu instid0(VALU_DEP_1) | instskip(NEXT) | instid1(VALU_DEP_1)
	v_fma_f64 v[29:30], -v[25:26], v[27:28], 1.0
	v_fma_f64 v[27:28], v[27:28], v[29:30], v[27:28]
	s_delay_alu instid0(VALU_DEP_1) | instskip(NEXT) | instid1(VALU_DEP_1)
	v_mul_f64 v[29:30], v[31:32], v[27:28]
	v_fma_f64 v[25:26], -v[25:26], v[29:30], v[31:32]
	s_delay_alu instid0(VALU_DEP_1) | instskip(NEXT) | instid1(VALU_DEP_1)
	v_div_fmas_f64 v[25:26], v[25:26], v[27:28], v[29:30]
	v_div_fixup_f64 v[25:26], v[25:26], v[21:22], v[23:24]
	s_delay_alu instid0(VALU_DEP_1) | instskip(NEXT) | instid1(VALU_DEP_1)
	v_fma_f64 v[21:22], v[23:24], v[25:26], v[21:22]
	v_div_scale_f64 v[23:24], null, v[21:22], v[21:22], 1.0
	v_div_scale_f64 v[31:32], vcc_lo, 1.0, v[21:22], 1.0
	s_delay_alu instid0(VALU_DEP_2) | instskip(SKIP_2) | instid1(VALU_DEP_1)
	v_rcp_f64_e32 v[27:28], v[23:24]
	s_waitcnt_depctr 0xfff
	v_fma_f64 v[29:30], -v[23:24], v[27:28], 1.0
	v_fma_f64 v[27:28], v[27:28], v[29:30], v[27:28]
	s_delay_alu instid0(VALU_DEP_1) | instskip(NEXT) | instid1(VALU_DEP_1)
	v_fma_f64 v[29:30], -v[23:24], v[27:28], 1.0
	v_fma_f64 v[27:28], v[27:28], v[29:30], v[27:28]
	s_delay_alu instid0(VALU_DEP_1) | instskip(NEXT) | instid1(VALU_DEP_1)
	v_mul_f64 v[29:30], v[31:32], v[27:28]
	v_fma_f64 v[23:24], -v[23:24], v[29:30], v[31:32]
	s_delay_alu instid0(VALU_DEP_1) | instskip(SKIP_2) | instid1(VALU_DEP_3)
	v_div_fmas_f64 v[23:24], v[23:24], v[27:28], v[29:30]
	v_fma_f64 v[27:28], v[19:20], v[25:26], v[17:18]
	v_fma_f64 v[17:18], -v[17:18], v[25:26], v[19:20]
                                        ; implicit-def: $vgpr25_vgpr26
	v_div_fixup_f64 v[21:22], v[23:24], v[21:22], 1.0
	s_delay_alu instid0(VALU_DEP_1) | instskip(NEXT) | instid1(VALU_DEP_3)
	v_mul_f64 v[29:30], v[27:28], v[21:22]
	v_mul_f64 v[31:32], v[17:18], v[21:22]
                                        ; implicit-def: $vgpr17_vgpr18
                                        ; implicit-def: $vgpr27_vgpr28
.LBB73_94:                              ;   in Loop: Header=BB73_4 Depth=1
	s_and_not1_saveexec_b32 s17, s6
	s_cbranch_execz .LBB73_96
; %bb.95:                               ;   in Loop: Header=BB73_4 Depth=1
	v_div_scale_f64 v[21:22], null, v[25:26], v[25:26], v[17:18]
	v_div_scale_f64 v[23:24], null, v[27:28], v[27:28], v[19:20]
	v_div_scale_f64 v[45:46], vcc_lo, v[17:18], v[25:26], v[17:18]
	s_delay_alu instid0(VALU_DEP_3) | instskip(NEXT) | instid1(VALU_DEP_2)
	v_rcp_f64_e32 v[29:30], v[21:22]
	v_rcp_f64_e32 v[31:32], v[23:24]
	s_waitcnt_depctr 0xfff
	v_fma_f64 v[37:38], -v[21:22], v[29:30], 1.0
	v_fma_f64 v[39:40], -v[23:24], v[31:32], 1.0
	s_delay_alu instid0(VALU_DEP_2) | instskip(NEXT) | instid1(VALU_DEP_2)
	v_fma_f64 v[29:30], v[29:30], v[37:38], v[29:30]
	v_fma_f64 v[31:32], v[31:32], v[39:40], v[31:32]
	s_delay_alu instid0(VALU_DEP_2) | instskip(NEXT) | instid1(VALU_DEP_2)
	v_fma_f64 v[37:38], -v[21:22], v[29:30], 1.0
	v_fma_f64 v[39:40], -v[23:24], v[31:32], 1.0
	s_delay_alu instid0(VALU_DEP_2) | instskip(SKIP_1) | instid1(VALU_DEP_3)
	v_fma_f64 v[29:30], v[29:30], v[37:38], v[29:30]
	v_div_scale_f64 v[37:38], s6, v[19:20], v[27:28], v[19:20]
	v_fma_f64 v[31:32], v[31:32], v[39:40], v[31:32]
	s_delay_alu instid0(VALU_DEP_3) | instskip(NEXT) | instid1(VALU_DEP_2)
	v_mul_f64 v[39:40], v[45:46], v[29:30]
	v_mul_f64 v[47:48], v[37:38], v[31:32]
	s_delay_alu instid0(VALU_DEP_2) | instskip(NEXT) | instid1(VALU_DEP_2)
	v_fma_f64 v[21:22], -v[21:22], v[39:40], v[45:46]
	v_fma_f64 v[23:24], -v[23:24], v[47:48], v[37:38]
	s_delay_alu instid0(VALU_DEP_2) | instskip(SKIP_1) | instid1(VALU_DEP_2)
	v_div_fmas_f64 v[21:22], v[21:22], v[29:30], v[39:40]
	s_mov_b32 vcc_lo, s6
	v_div_fmas_f64 v[23:24], v[23:24], v[31:32], v[47:48]
	s_delay_alu instid0(VALU_DEP_2) | instskip(NEXT) | instid1(VALU_DEP_2)
	v_div_fixup_f64 v[29:30], v[21:22], v[25:26], v[17:18]
	v_div_fixup_f64 v[31:32], v[23:24], v[27:28], v[19:20]
.LBB73_96:                              ;   in Loop: Header=BB73_4 Depth=1
	s_or_b32 exec_lo, exec_lo, s17
                                        ; implicit-def: $vgpr23_vgpr24
                                        ; implicit-def: $vgpr17_vgpr18
.LBB73_97:                              ;   in Loop: Header=BB73_4 Depth=1
	s_and_not1_saveexec_b32 s6, s7
	s_cbranch_execz .LBB73_99
; %bb.98:                               ;   in Loop: Header=BB73_4 Depth=1
	v_div_scale_f64 v[25:26], null, v[23:24], v[23:24], v[21:22]
	v_div_scale_f64 v[31:32], vcc_lo, v[21:22], v[23:24], v[21:22]
	s_delay_alu instid0(VALU_DEP_2) | instskip(SKIP_2) | instid1(VALU_DEP_1)
	v_rcp_f64_e32 v[27:28], v[25:26]
	s_waitcnt_depctr 0xfff
	v_fma_f64 v[29:30], -v[25:26], v[27:28], 1.0
	v_fma_f64 v[27:28], v[27:28], v[29:30], v[27:28]
	s_delay_alu instid0(VALU_DEP_1) | instskip(NEXT) | instid1(VALU_DEP_1)
	v_fma_f64 v[29:30], -v[25:26], v[27:28], 1.0
	v_fma_f64 v[27:28], v[27:28], v[29:30], v[27:28]
	s_delay_alu instid0(VALU_DEP_1) | instskip(NEXT) | instid1(VALU_DEP_1)
	v_mul_f64 v[29:30], v[31:32], v[27:28]
	v_fma_f64 v[25:26], -v[25:26], v[29:30], v[31:32]
	s_delay_alu instid0(VALU_DEP_1) | instskip(NEXT) | instid1(VALU_DEP_1)
	v_div_fmas_f64 v[25:26], v[25:26], v[27:28], v[29:30]
	v_div_fixup_f64 v[25:26], v[25:26], v[23:24], v[21:22]
	s_delay_alu instid0(VALU_DEP_1) | instskip(NEXT) | instid1(VALU_DEP_1)
	v_fma_f64 v[21:22], v[21:22], v[25:26], v[23:24]
	v_div_scale_f64 v[23:24], null, v[21:22], v[21:22], 1.0
	v_div_scale_f64 v[31:32], vcc_lo, 1.0, v[21:22], 1.0
	s_delay_alu instid0(VALU_DEP_2) | instskip(SKIP_2) | instid1(VALU_DEP_1)
	v_rcp_f64_e32 v[27:28], v[23:24]
	s_waitcnt_depctr 0xfff
	v_fma_f64 v[29:30], -v[23:24], v[27:28], 1.0
	v_fma_f64 v[27:28], v[27:28], v[29:30], v[27:28]
	s_delay_alu instid0(VALU_DEP_1) | instskip(NEXT) | instid1(VALU_DEP_1)
	v_fma_f64 v[29:30], -v[23:24], v[27:28], 1.0
	v_fma_f64 v[27:28], v[27:28], v[29:30], v[27:28]
	s_delay_alu instid0(VALU_DEP_1) | instskip(NEXT) | instid1(VALU_DEP_1)
	v_mul_f64 v[29:30], v[31:32], v[27:28]
	v_fma_f64 v[23:24], -v[23:24], v[29:30], v[31:32]
	s_delay_alu instid0(VALU_DEP_1) | instskip(SKIP_2) | instid1(VALU_DEP_3)
	v_div_fmas_f64 v[23:24], v[23:24], v[27:28], v[29:30]
	v_fma_f64 v[27:28], v[17:18], v[25:26], v[19:20]
	v_fma_f64 v[17:18], v[19:20], v[25:26], -v[17:18]
	v_div_fixup_f64 v[21:22], v[23:24], v[21:22], 1.0
	s_delay_alu instid0(VALU_DEP_1) | instskip(NEXT) | instid1(VALU_DEP_3)
	v_mul_f64 v[29:30], v[27:28], v[21:22]
	v_mul_f64 v[31:32], v[17:18], v[21:22]
.LBB73_99:                              ;   in Loop: Header=BB73_4 Depth=1
	s_or_b32 exec_lo, exec_lo, s6
.LBB73_100:                             ;   in Loop: Header=BB73_4 Depth=1
	s_and_saveexec_b32 s6, s2
	s_delay_alu instid0(SALU_CYCLE_1)
	s_xor_b32 s2, exec_lo, s6
	s_cbranch_execnz .LBB73_104
; %bb.101:                              ;   in Loop: Header=BB73_4 Depth=1
	s_or_b32 exec_lo, exec_lo, s2
	s_and_saveexec_b32 s2, s3
	s_cbranch_execnz .LBB73_105
.LBB73_102:                             ;   in Loop: Header=BB73_4 Depth=1
	s_or_b32 exec_lo, exec_lo, s2
	s_and_saveexec_b32 s2, s4
	s_cbranch_execnz .LBB73_106
.LBB73_103:                             ;   in Loop: Header=BB73_4 Depth=1
	s_or_b32 exec_lo, exec_lo, s2
	s_and_saveexec_b32 s2, s5
	s_cbranch_execz .LBB73_3
	s_branch .LBB73_107
.LBB73_104:                             ;   in Loop: Header=BB73_4 Depth=1
	v_add_f64 v[3:4], v[3:4], v[53:54]
	v_add_f64 v[1:2], v[1:2], v[51:52]
	v_add_co_u32 v17, vcc_lo, v61, s14
	v_add_co_ci_u32_e32 v18, vcc_lo, s15, v62, vcc_lo
	global_store_b128 v[17:18], v[1:4], off offset:-8
	s_or_b32 exec_lo, exec_lo, s2
	s_and_saveexec_b32 s2, s3
	s_cbranch_execz .LBB73_102
.LBB73_105:                             ;   in Loop: Header=BB73_4 Depth=1
	v_add_f64 v[3:4], v[7:8], v[43:44]
	v_add_f64 v[1:2], v[5:6], v[41:42]
	v_add_co_u32 v5, vcc_lo, v67, s14
	v_add_co_ci_u32_e32 v6, vcc_lo, s15, v68, vcc_lo
	global_store_b128 v[5:6], v[1:4], off
	s_or_b32 exec_lo, exec_lo, s2
	s_and_saveexec_b32 s2, s4
	s_cbranch_execz .LBB73_103
.LBB73_106:                             ;   in Loop: Header=BB73_4 Depth=1
	v_add_f64 v[3:4], v[11:12], v[35:36]
	v_add_f64 v[1:2], v[9:10], v[33:34]
	v_add_co_u32 v5, vcc_lo, v81, s14
	v_add_co_ci_u32_e32 v6, vcc_lo, s15, v82, vcc_lo
	global_store_b128 v[5:6], v[1:4], off offset:-8
	s_or_b32 exec_lo, exec_lo, s2
	s_and_saveexec_b32 s2, s5
	s_cbranch_execz .LBB73_3
.LBB73_107:                             ;   in Loop: Header=BB73_4 Depth=1
	s_delay_alu instid0(VALU_DEP_1) | instskip(NEXT) | instid1(VALU_DEP_3)
	v_add_f64 v[3:4], v[15:16], v[31:32]
	v_add_f64 v[1:2], v[13:14], v[29:30]
	v_add_co_u32 v5, vcc_lo, v73, s14
	v_add_co_ci_u32_e32 v6, vcc_lo, s15, v74, vcc_lo
	global_store_b128 v[5:6], v[1:4], off offset:-8
	s_branch .LBB73_3
.LBB73_108:
	s_mov_b32 s16, 0
.LBB73_109:
	s_delay_alu instid0(SALU_CYCLE_1)
	s_and_not1_b32 vcc_lo, exec_lo, s16
	s_cbranch_vccnz .LBB73_193
; %bb.110:
	v_dual_mov_b32 v49, 0 :: v_dual_lshlrev_b32 v48, 2, v0
	s_mov_b32 s2, 0
	s_mov_b32 s3, exec_lo
	s_delay_alu instid0(VALU_DEP_1)
	v_cmpx_gt_i64_e64 s[12:13], v[48:49]
	s_cbranch_execz .LBB73_193
; %bb.111:
	s_waitcnt lgkmcnt(0)
	v_cmp_neq_f64_e64 s4, s[8:9], 1.0
	v_cmp_neq_f64_e64 s5, s[10:11], 0
	s_load_b32 s0, s[0:1], 0xc6c
	v_lshlrev_b32_e32 v60, 6, v0
	s_waitcnt lgkmcnt(0)
	s_and_b32 s0, s0, 0xffff
	s_delay_alu instid0(SALU_CYCLE_1) | instskip(SKIP_1) | instid1(VALU_DEP_3)
	v_add_lshl_u32 v48, v0, s0, 2
	s_lshl_b32 s3, s0, 2
	s_or_b32 s4, s4, s5
	s_lshl_b32 s5, s0, 6
	s_branch .LBB73_114
.LBB73_112:                             ;   in Loop: Header=BB73_114 Depth=1
	s_or_b32 exec_lo, exec_lo, s0
.LBB73_113:                             ;   in Loop: Header=BB73_114 Depth=1
	v_add_f64 v[10:11], v[10:11], v[54:55]
	v_add_f64 v[8:9], v[8:9], v[52:53]
	;; [unrolled: 1-line block ×8, first 2 shown]
	v_cmp_le_i64_e32 vcc_lo, s[12:13], v[48:49]
	v_cmp_lt_u64_e64 s0, 0xffff, v[48:49]
	s_clause 0x3
	global_store_b128 v[50:51], v[8:11], off
	global_store_b128 v[50:51], v[4:7], off offset:16
	global_store_b128 v[50:51], v[12:15], off offset:32
	;; [unrolled: 1-line block ×3, first 2 shown]
	s_or_b32 s0, vcc_lo, s0
	s_add_u32 s22, s22, s5
	s_addc_u32 s23, s23, 0
	s_add_u32 s26, s26, s5
	s_addc_u32 s27, s27, 0
	v_add_co_u32 v48, vcc_lo, v48, s3
	s_add_u32 s24, s24, s5
	s_addc_u32 s25, s25, 0
	v_add_co_ci_u32_e32 v49, vcc_lo, 0, v49, vcc_lo
	s_and_b32 s0, exec_lo, s0
	s_delay_alu instid0(SALU_CYCLE_1) | instskip(NEXT) | instid1(SALU_CYCLE_1)
	s_or_b32 s2, s0, s2
	s_and_not1_b32 exec_lo, exec_lo, s2
	s_cbranch_execz .LBB73_193
.LBB73_114:                             ; =>This Inner Loop Header: Depth=1
	v_add_co_u32 v28, s0, s26, v60
	s_delay_alu instid0(VALU_DEP_1) | instskip(SKIP_1) | instid1(VALU_DEP_1)
	v_add_co_ci_u32_e64 v29, null, s27, 0, s0
	v_add_co_u32 v50, s0, s22, v60
	v_add_co_ci_u32_e64 v51, null, s23, 0, s0
	s_clause 0x1
	global_load_b128 v[44:47], v[28:29], off
	global_load_b128 v[36:39], v[28:29], off offset:16
	v_add_co_u32 v20, s0, s24, v60
	s_delay_alu instid0(VALU_DEP_1)
	v_add_co_ci_u32_e64 v21, null, s25, 0, s0
	s_clause 0x3
	global_load_b128 v[0:3], v[50:51], off offset:48
	global_load_b128 v[12:15], v[50:51], off offset:32
	;; [unrolled: 1-line block ×3, first 2 shown]
	global_load_b128 v[8:11], v[50:51], off
	s_clause 0x3
	global_load_b128 v[16:19], v[20:21], off offset:48
	global_load_b128 v[24:27], v[20:21], off offset:32
	global_load_b128 v[32:35], v[20:21], off offset:16
	global_load_b128 v[40:43], v[20:21], off
	s_clause 0x1
	global_load_b128 v[20:23], v[28:29], off offset:48
	global_load_b128 v[28:31], v[28:29], off offset:32
	s_waitcnt vmcnt(11)
	v_cmp_gt_f64_e32 vcc_lo, 0, v[44:45]
	v_xor_b32_e32 v52, 0x80000000, v45
	v_mov_b32_e32 v56, v44
	v_xor_b32_e32 v53, 0x80000000, v47
	s_delay_alu instid0(VALU_DEP_3) | instskip(SKIP_1) | instid1(VALU_DEP_3)
	v_dual_mov_b32 v58, v46 :: v_dual_cndmask_b32 v57, v45, v52
	v_cmp_gt_f64_e32 vcc_lo, 0, v[46:47]
	v_cndmask_b32_e32 v59, v47, v53, vcc_lo
	s_and_b32 vcc_lo, exec_lo, s4
	s_delay_alu instid0(VALU_DEP_1)
	v_cmp_ge_f64_e64 s0, v[56:57], v[58:59]
	s_cbranch_vccz .LBB73_124
; %bb.115:                              ;   in Loop: Header=BB73_114 Depth=1
                                        ; implicit-def: $vgpr52_vgpr53
                                        ; implicit-def: $vgpr54_vgpr55
	s_delay_alu instid0(VALU_DEP_1) | instskip(NEXT) | instid1(SALU_CYCLE_1)
	s_and_saveexec_b32 s1, s0
	s_xor_b32 s6, exec_lo, s1
	s_cbranch_execz .LBB73_121
; %bb.116:                              ;   in Loop: Header=BB73_114 Depth=1
	v_cmp_neq_f64_e32 vcc_lo, 0, v[44:45]
	v_cmp_neq_f64_e64 s1, 0, v[46:47]
                                        ; implicit-def: $vgpr52_vgpr53
                                        ; implicit-def: $vgpr54_vgpr55
	s_delay_alu instid0(VALU_DEP_1) | instskip(NEXT) | instid1(SALU_CYCLE_1)
	s_or_b32 s1, vcc_lo, s1
	s_and_saveexec_b32 s7, s1
	s_delay_alu instid0(SALU_CYCLE_1)
	s_xor_b32 s1, exec_lo, s7
	s_cbranch_execz .LBB73_118
; %bb.117:                              ;   in Loop: Header=BB73_114 Depth=1
	v_div_scale_f64 v[52:53], null, v[44:45], v[44:45], v[46:47]
	v_div_scale_f64 v[63:64], vcc_lo, v[46:47], v[44:45], v[46:47]
	s_delay_alu instid0(VALU_DEP_2) | instskip(SKIP_2) | instid1(VALU_DEP_1)
	v_rcp_f64_e32 v[54:55], v[52:53]
	s_waitcnt_depctr 0xfff
	v_fma_f64 v[61:62], -v[52:53], v[54:55], 1.0
	v_fma_f64 v[54:55], v[54:55], v[61:62], v[54:55]
	s_delay_alu instid0(VALU_DEP_1) | instskip(NEXT) | instid1(VALU_DEP_1)
	v_fma_f64 v[61:62], -v[52:53], v[54:55], 1.0
	v_fma_f64 v[54:55], v[54:55], v[61:62], v[54:55]
	s_delay_alu instid0(VALU_DEP_1) | instskip(NEXT) | instid1(VALU_DEP_1)
	v_mul_f64 v[61:62], v[63:64], v[54:55]
	v_fma_f64 v[52:53], -v[52:53], v[61:62], v[63:64]
	s_delay_alu instid0(VALU_DEP_1) | instskip(NEXT) | instid1(VALU_DEP_1)
	v_div_fmas_f64 v[52:53], v[52:53], v[54:55], v[61:62]
	v_div_fixup_f64 v[52:53], v[52:53], v[44:45], v[46:47]
	s_delay_alu instid0(VALU_DEP_1) | instskip(NEXT) | instid1(VALU_DEP_1)
	v_fma_f64 v[54:55], v[46:47], v[52:53], v[44:45]
	v_div_scale_f64 v[61:62], null, v[54:55], v[54:55], 1.0
	v_div_scale_f64 v[67:68], vcc_lo, 1.0, v[54:55], 1.0
	s_delay_alu instid0(VALU_DEP_2) | instskip(SKIP_2) | instid1(VALU_DEP_1)
	v_rcp_f64_e32 v[63:64], v[61:62]
	s_waitcnt_depctr 0xfff
	v_fma_f64 v[65:66], -v[61:62], v[63:64], 1.0
	v_fma_f64 v[63:64], v[63:64], v[65:66], v[63:64]
	s_delay_alu instid0(VALU_DEP_1) | instskip(NEXT) | instid1(VALU_DEP_1)
	v_fma_f64 v[65:66], -v[61:62], v[63:64], 1.0
	v_fma_f64 v[63:64], v[63:64], v[65:66], v[63:64]
	s_delay_alu instid0(VALU_DEP_1) | instskip(NEXT) | instid1(VALU_DEP_1)
	v_mul_f64 v[65:66], v[67:68], v[63:64]
	v_fma_f64 v[61:62], -v[61:62], v[65:66], v[67:68]
	s_delay_alu instid0(VALU_DEP_1) | instskip(SKIP_3) | instid1(VALU_DEP_3)
	v_div_fmas_f64 v[61:62], v[61:62], v[63:64], v[65:66]
	s_waitcnt vmcnt(2)
	v_fma_f64 v[63:64], v[42:43], v[52:53], v[40:41]
	v_fma_f64 v[52:53], -v[40:41], v[52:53], v[42:43]
	v_div_fixup_f64 v[61:62], v[61:62], v[54:55], 1.0
	s_delay_alu instid0(VALU_DEP_1) | instskip(NEXT) | instid1(VALU_DEP_3)
	v_mul_f64 v[54:55], v[63:64], v[61:62]
	v_mul_f64 v[52:53], v[52:53], v[61:62]
.LBB73_118:                             ;   in Loop: Header=BB73_114 Depth=1
	s_and_not1_saveexec_b32 s7, s1
	s_cbranch_execz .LBB73_120
; %bb.119:                              ;   in Loop: Header=BB73_114 Depth=1
	s_waitcnt vmcnt(2)
	v_div_scale_f64 v[52:53], null, v[56:57], v[56:57], v[40:41]
	v_div_scale_f64 v[54:55], null, v[58:59], v[58:59], v[42:43]
	v_div_scale_f64 v[69:70], vcc_lo, v[40:41], v[56:57], v[40:41]
	s_delay_alu instid0(VALU_DEP_3) | instskip(NEXT) | instid1(VALU_DEP_2)
	v_rcp_f64_e32 v[61:62], v[52:53]
	v_rcp_f64_e32 v[63:64], v[54:55]
	s_waitcnt_depctr 0xfff
	v_fma_f64 v[65:66], -v[52:53], v[61:62], 1.0
	v_fma_f64 v[67:68], -v[54:55], v[63:64], 1.0
	s_delay_alu instid0(VALU_DEP_2) | instskip(NEXT) | instid1(VALU_DEP_2)
	v_fma_f64 v[61:62], v[61:62], v[65:66], v[61:62]
	v_fma_f64 v[63:64], v[63:64], v[67:68], v[63:64]
	s_delay_alu instid0(VALU_DEP_2) | instskip(NEXT) | instid1(VALU_DEP_2)
	v_fma_f64 v[65:66], -v[52:53], v[61:62], 1.0
	v_fma_f64 v[67:68], -v[54:55], v[63:64], 1.0
	s_delay_alu instid0(VALU_DEP_2) | instskip(SKIP_1) | instid1(VALU_DEP_3)
	v_fma_f64 v[61:62], v[61:62], v[65:66], v[61:62]
	v_div_scale_f64 v[65:66], s1, v[42:43], v[58:59], v[42:43]
	v_fma_f64 v[63:64], v[63:64], v[67:68], v[63:64]
	s_delay_alu instid0(VALU_DEP_3) | instskip(NEXT) | instid1(VALU_DEP_2)
	v_mul_f64 v[67:68], v[69:70], v[61:62]
	v_mul_f64 v[71:72], v[65:66], v[63:64]
	s_delay_alu instid0(VALU_DEP_2) | instskip(NEXT) | instid1(VALU_DEP_2)
	v_fma_f64 v[52:53], -v[52:53], v[67:68], v[69:70]
	v_fma_f64 v[54:55], -v[54:55], v[71:72], v[65:66]
	s_delay_alu instid0(VALU_DEP_2) | instskip(SKIP_1) | instid1(VALU_DEP_2)
	v_div_fmas_f64 v[52:53], v[52:53], v[61:62], v[67:68]
	s_mov_b32 vcc_lo, s1
	v_div_fmas_f64 v[61:62], v[54:55], v[63:64], v[71:72]
	s_delay_alu instid0(VALU_DEP_2) | instskip(NEXT) | instid1(VALU_DEP_2)
	v_div_fixup_f64 v[54:55], v[52:53], v[56:57], v[40:41]
	v_div_fixup_f64 v[52:53], v[61:62], v[58:59], v[42:43]
.LBB73_120:                             ;   in Loop: Header=BB73_114 Depth=1
	s_or_b32 exec_lo, exec_lo, s7
.LBB73_121:                             ;   in Loop: Header=BB73_114 Depth=1
	s_and_not1_saveexec_b32 s1, s6
	s_cbranch_execz .LBB73_123
; %bb.122:                              ;   in Loop: Header=BB73_114 Depth=1
	v_div_scale_f64 v[52:53], null, v[46:47], v[46:47], v[44:45]
	v_div_scale_f64 v[63:64], vcc_lo, v[44:45], v[46:47], v[44:45]
	s_delay_alu instid0(VALU_DEP_2) | instskip(SKIP_2) | instid1(VALU_DEP_1)
	v_rcp_f64_e32 v[54:55], v[52:53]
	s_waitcnt_depctr 0xfff
	v_fma_f64 v[61:62], -v[52:53], v[54:55], 1.0
	v_fma_f64 v[54:55], v[54:55], v[61:62], v[54:55]
	s_delay_alu instid0(VALU_DEP_1) | instskip(NEXT) | instid1(VALU_DEP_1)
	v_fma_f64 v[61:62], -v[52:53], v[54:55], 1.0
	v_fma_f64 v[54:55], v[54:55], v[61:62], v[54:55]
	s_delay_alu instid0(VALU_DEP_1) | instskip(NEXT) | instid1(VALU_DEP_1)
	v_mul_f64 v[61:62], v[63:64], v[54:55]
	v_fma_f64 v[52:53], -v[52:53], v[61:62], v[63:64]
	s_delay_alu instid0(VALU_DEP_1) | instskip(NEXT) | instid1(VALU_DEP_1)
	v_div_fmas_f64 v[52:53], v[52:53], v[54:55], v[61:62]
	v_div_fixup_f64 v[52:53], v[52:53], v[46:47], v[44:45]
	s_delay_alu instid0(VALU_DEP_1) | instskip(NEXT) | instid1(VALU_DEP_1)
	v_fma_f64 v[54:55], v[44:45], v[52:53], v[46:47]
	v_div_scale_f64 v[61:62], null, v[54:55], v[54:55], 1.0
	v_div_scale_f64 v[67:68], vcc_lo, 1.0, v[54:55], 1.0
	s_delay_alu instid0(VALU_DEP_2) | instskip(SKIP_2) | instid1(VALU_DEP_1)
	v_rcp_f64_e32 v[63:64], v[61:62]
	s_waitcnt_depctr 0xfff
	v_fma_f64 v[65:66], -v[61:62], v[63:64], 1.0
	v_fma_f64 v[63:64], v[63:64], v[65:66], v[63:64]
	s_delay_alu instid0(VALU_DEP_1) | instskip(NEXT) | instid1(VALU_DEP_1)
	v_fma_f64 v[65:66], -v[61:62], v[63:64], 1.0
	v_fma_f64 v[63:64], v[63:64], v[65:66], v[63:64]
	s_delay_alu instid0(VALU_DEP_1) | instskip(NEXT) | instid1(VALU_DEP_1)
	v_mul_f64 v[65:66], v[67:68], v[63:64]
	v_fma_f64 v[61:62], -v[61:62], v[65:66], v[67:68]
	s_delay_alu instid0(VALU_DEP_1) | instskip(SKIP_3) | instid1(VALU_DEP_3)
	v_div_fmas_f64 v[61:62], v[61:62], v[63:64], v[65:66]
	s_waitcnt vmcnt(2)
	v_fma_f64 v[63:64], v[40:41], v[52:53], v[42:43]
	v_fma_f64 v[52:53], v[42:43], v[52:53], -v[40:41]
	v_div_fixup_f64 v[61:62], v[61:62], v[54:55], 1.0
	s_delay_alu instid0(VALU_DEP_1) | instskip(NEXT) | instid1(VALU_DEP_3)
	v_mul_f64 v[54:55], v[63:64], v[61:62]
	v_mul_f64 v[52:53], v[52:53], v[61:62]
.LBB73_123:                             ;   in Loop: Header=BB73_114 Depth=1
	s_or_b32 exec_lo, exec_lo, s1
	s_delay_alu instid0(VALU_DEP_1) | instskip(SKIP_1) | instid1(VALU_DEP_2)
	v_mul_f64 v[61:62], s[10:11], v[52:53]
	v_mul_f64 v[63:64], s[8:9], v[52:53]
	v_fma_f64 v[52:53], s[8:9], v[54:55], -v[61:62]
	s_delay_alu instid0(VALU_DEP_2)
	v_fma_f64 v[54:55], s[10:11], v[54:55], v[63:64]
	s_branch .LBB73_134
.LBB73_124:                             ;   in Loop: Header=BB73_114 Depth=1
                                        ; implicit-def: $vgpr54_vgpr55
                                        ; implicit-def: $vgpr52_vgpr53
	s_cbranch_execz .LBB73_134
; %bb.125:                              ;   in Loop: Header=BB73_114 Depth=1
                                        ; implicit-def: $vgpr54_vgpr55
                                        ; implicit-def: $vgpr52_vgpr53
	s_delay_alu instid0(VALU_DEP_1) | instskip(NEXT) | instid1(SALU_CYCLE_1)
	s_and_saveexec_b32 s1, s0
	s_xor_b32 s1, exec_lo, s1
	s_cbranch_execz .LBB73_131
; %bb.126:                              ;   in Loop: Header=BB73_114 Depth=1
	v_cmp_neq_f64_e32 vcc_lo, 0, v[44:45]
	v_cmp_neq_f64_e64 s0, 0, v[46:47]
                                        ; implicit-def: $vgpr54_vgpr55
                                        ; implicit-def: $vgpr52_vgpr53
	s_delay_alu instid0(VALU_DEP_1) | instskip(NEXT) | instid1(SALU_CYCLE_1)
	s_or_b32 s0, vcc_lo, s0
	s_and_saveexec_b32 s6, s0
	s_delay_alu instid0(SALU_CYCLE_1)
	s_xor_b32 s0, exec_lo, s6
	s_cbranch_execz .LBB73_128
; %bb.127:                              ;   in Loop: Header=BB73_114 Depth=1
	v_div_scale_f64 v[52:53], null, v[44:45], v[44:45], v[46:47]
	v_div_scale_f64 v[58:59], vcc_lo, v[46:47], v[44:45], v[46:47]
	s_delay_alu instid0(VALU_DEP_2) | instskip(SKIP_2) | instid1(VALU_DEP_1)
	v_rcp_f64_e32 v[54:55], v[52:53]
	s_waitcnt_depctr 0xfff
	v_fma_f64 v[56:57], -v[52:53], v[54:55], 1.0
	v_fma_f64 v[54:55], v[54:55], v[56:57], v[54:55]
	s_delay_alu instid0(VALU_DEP_1) | instskip(NEXT) | instid1(VALU_DEP_1)
	v_fma_f64 v[56:57], -v[52:53], v[54:55], 1.0
	v_fma_f64 v[54:55], v[54:55], v[56:57], v[54:55]
	s_delay_alu instid0(VALU_DEP_1) | instskip(NEXT) | instid1(VALU_DEP_1)
	v_mul_f64 v[56:57], v[58:59], v[54:55]
	v_fma_f64 v[52:53], -v[52:53], v[56:57], v[58:59]
	s_delay_alu instid0(VALU_DEP_1) | instskip(NEXT) | instid1(VALU_DEP_1)
	v_div_fmas_f64 v[52:53], v[52:53], v[54:55], v[56:57]
	v_div_fixup_f64 v[52:53], v[52:53], v[44:45], v[46:47]
	s_delay_alu instid0(VALU_DEP_1) | instskip(NEXT) | instid1(VALU_DEP_1)
	v_fma_f64 v[44:45], v[46:47], v[52:53], v[44:45]
	v_div_scale_f64 v[46:47], null, v[44:45], v[44:45], 1.0
	v_div_scale_f64 v[58:59], vcc_lo, 1.0, v[44:45], 1.0
	s_delay_alu instid0(VALU_DEP_2) | instskip(SKIP_2) | instid1(VALU_DEP_1)
	v_rcp_f64_e32 v[54:55], v[46:47]
	s_waitcnt_depctr 0xfff
	v_fma_f64 v[56:57], -v[46:47], v[54:55], 1.0
	v_fma_f64 v[54:55], v[54:55], v[56:57], v[54:55]
	s_delay_alu instid0(VALU_DEP_1) | instskip(NEXT) | instid1(VALU_DEP_1)
	v_fma_f64 v[56:57], -v[46:47], v[54:55], 1.0
	v_fma_f64 v[54:55], v[54:55], v[56:57], v[54:55]
	s_delay_alu instid0(VALU_DEP_1) | instskip(NEXT) | instid1(VALU_DEP_1)
	v_mul_f64 v[56:57], v[58:59], v[54:55]
	v_fma_f64 v[46:47], -v[46:47], v[56:57], v[58:59]
                                        ; implicit-def: $vgpr58_vgpr59
	s_delay_alu instid0(VALU_DEP_1) | instskip(SKIP_3) | instid1(VALU_DEP_3)
	v_div_fmas_f64 v[46:47], v[46:47], v[54:55], v[56:57]
	s_waitcnt vmcnt(2)
	v_fma_f64 v[54:55], v[42:43], v[52:53], v[40:41]
	v_fma_f64 v[40:41], -v[40:41], v[52:53], v[42:43]
                                        ; implicit-def: $vgpr56_vgpr57
	v_div_fixup_f64 v[44:45], v[46:47], v[44:45], 1.0
	s_delay_alu instid0(VALU_DEP_1) | instskip(NEXT) | instid1(VALU_DEP_3)
	v_mul_f64 v[52:53], v[54:55], v[44:45]
	v_mul_f64 v[54:55], v[40:41], v[44:45]
                                        ; implicit-def: $vgpr40_vgpr41
.LBB73_128:                             ;   in Loop: Header=BB73_114 Depth=1
	s_and_not1_saveexec_b32 s6, s0
	s_cbranch_execz .LBB73_130
; %bb.129:                              ;   in Loop: Header=BB73_114 Depth=1
	s_waitcnt vmcnt(2)
	v_div_scale_f64 v[44:45], null, v[56:57], v[56:57], v[40:41]
	v_div_scale_f64 v[46:47], null, v[58:59], v[58:59], v[42:43]
	v_div_scale_f64 v[65:66], vcc_lo, v[40:41], v[56:57], v[40:41]
	s_delay_alu instid0(VALU_DEP_3) | instskip(NEXT) | instid1(VALU_DEP_2)
	v_rcp_f64_e32 v[52:53], v[44:45]
	v_rcp_f64_e32 v[54:55], v[46:47]
	s_waitcnt_depctr 0xfff
	v_fma_f64 v[61:62], -v[44:45], v[52:53], 1.0
	v_fma_f64 v[63:64], -v[46:47], v[54:55], 1.0
	s_delay_alu instid0(VALU_DEP_2) | instskip(NEXT) | instid1(VALU_DEP_2)
	v_fma_f64 v[52:53], v[52:53], v[61:62], v[52:53]
	v_fma_f64 v[54:55], v[54:55], v[63:64], v[54:55]
	s_delay_alu instid0(VALU_DEP_2) | instskip(NEXT) | instid1(VALU_DEP_2)
	v_fma_f64 v[61:62], -v[44:45], v[52:53], 1.0
	v_fma_f64 v[63:64], -v[46:47], v[54:55], 1.0
	s_delay_alu instid0(VALU_DEP_2) | instskip(SKIP_1) | instid1(VALU_DEP_3)
	v_fma_f64 v[52:53], v[52:53], v[61:62], v[52:53]
	v_div_scale_f64 v[61:62], s0, v[42:43], v[58:59], v[42:43]
	v_fma_f64 v[54:55], v[54:55], v[63:64], v[54:55]
	s_delay_alu instid0(VALU_DEP_3) | instskip(NEXT) | instid1(VALU_DEP_2)
	v_mul_f64 v[63:64], v[65:66], v[52:53]
	v_mul_f64 v[67:68], v[61:62], v[54:55]
	s_delay_alu instid0(VALU_DEP_2) | instskip(NEXT) | instid1(VALU_DEP_2)
	v_fma_f64 v[44:45], -v[44:45], v[63:64], v[65:66]
	v_fma_f64 v[46:47], -v[46:47], v[67:68], v[61:62]
	s_delay_alu instid0(VALU_DEP_2) | instskip(SKIP_1) | instid1(VALU_DEP_2)
	v_div_fmas_f64 v[44:45], v[44:45], v[52:53], v[63:64]
	s_mov_b32 vcc_lo, s0
	v_div_fmas_f64 v[46:47], v[46:47], v[54:55], v[67:68]
	s_delay_alu instid0(VALU_DEP_2) | instskip(NEXT) | instid1(VALU_DEP_2)
	v_div_fixup_f64 v[52:53], v[44:45], v[56:57], v[40:41]
	v_div_fixup_f64 v[54:55], v[46:47], v[58:59], v[42:43]
.LBB73_130:                             ;   in Loop: Header=BB73_114 Depth=1
	s_or_b32 exec_lo, exec_lo, s6
                                        ; implicit-def: $vgpr46_vgpr47
                                        ; implicit-def: $vgpr40_vgpr41
.LBB73_131:                             ;   in Loop: Header=BB73_114 Depth=1
	s_and_not1_saveexec_b32 s0, s1
	s_cbranch_execz .LBB73_133
; %bb.132:                              ;   in Loop: Header=BB73_114 Depth=1
	v_div_scale_f64 v[52:53], null, v[46:47], v[46:47], v[44:45]
	v_div_scale_f64 v[58:59], vcc_lo, v[44:45], v[46:47], v[44:45]
	s_delay_alu instid0(VALU_DEP_2) | instskip(SKIP_2) | instid1(VALU_DEP_1)
	v_rcp_f64_e32 v[54:55], v[52:53]
	s_waitcnt_depctr 0xfff
	v_fma_f64 v[56:57], -v[52:53], v[54:55], 1.0
	v_fma_f64 v[54:55], v[54:55], v[56:57], v[54:55]
	s_delay_alu instid0(VALU_DEP_1) | instskip(NEXT) | instid1(VALU_DEP_1)
	v_fma_f64 v[56:57], -v[52:53], v[54:55], 1.0
	v_fma_f64 v[54:55], v[54:55], v[56:57], v[54:55]
	s_delay_alu instid0(VALU_DEP_1) | instskip(NEXT) | instid1(VALU_DEP_1)
	v_mul_f64 v[56:57], v[58:59], v[54:55]
	v_fma_f64 v[52:53], -v[52:53], v[56:57], v[58:59]
	s_delay_alu instid0(VALU_DEP_1) | instskip(NEXT) | instid1(VALU_DEP_1)
	v_div_fmas_f64 v[52:53], v[52:53], v[54:55], v[56:57]
	v_div_fixup_f64 v[52:53], v[52:53], v[46:47], v[44:45]
	s_delay_alu instid0(VALU_DEP_1) | instskip(NEXT) | instid1(VALU_DEP_1)
	v_fma_f64 v[44:45], v[44:45], v[52:53], v[46:47]
	v_div_scale_f64 v[46:47], null, v[44:45], v[44:45], 1.0
	v_div_scale_f64 v[58:59], vcc_lo, 1.0, v[44:45], 1.0
	s_delay_alu instid0(VALU_DEP_2) | instskip(SKIP_2) | instid1(VALU_DEP_1)
	v_rcp_f64_e32 v[54:55], v[46:47]
	s_waitcnt_depctr 0xfff
	v_fma_f64 v[56:57], -v[46:47], v[54:55], 1.0
	v_fma_f64 v[54:55], v[54:55], v[56:57], v[54:55]
	s_delay_alu instid0(VALU_DEP_1) | instskip(NEXT) | instid1(VALU_DEP_1)
	v_fma_f64 v[56:57], -v[46:47], v[54:55], 1.0
	v_fma_f64 v[54:55], v[54:55], v[56:57], v[54:55]
	s_delay_alu instid0(VALU_DEP_1) | instskip(NEXT) | instid1(VALU_DEP_1)
	v_mul_f64 v[56:57], v[58:59], v[54:55]
	v_fma_f64 v[46:47], -v[46:47], v[56:57], v[58:59]
	s_delay_alu instid0(VALU_DEP_1) | instskip(SKIP_3) | instid1(VALU_DEP_3)
	v_div_fmas_f64 v[46:47], v[46:47], v[54:55], v[56:57]
	s_waitcnt vmcnt(2)
	v_fma_f64 v[54:55], v[40:41], v[52:53], v[42:43]
	v_fma_f64 v[40:41], v[42:43], v[52:53], -v[40:41]
	v_div_fixup_f64 v[44:45], v[46:47], v[44:45], 1.0
	s_delay_alu instid0(VALU_DEP_1) | instskip(NEXT) | instid1(VALU_DEP_3)
	v_mul_f64 v[52:53], v[54:55], v[44:45]
	v_mul_f64 v[54:55], v[40:41], v[44:45]
.LBB73_133:                             ;   in Loop: Header=BB73_114 Depth=1
	s_or_b32 exec_lo, exec_lo, s0
.LBB73_134:                             ;   in Loop: Header=BB73_114 Depth=1
	s_waitcnt vmcnt(10)
	v_cmp_gt_f64_e32 vcc_lo, 0, v[36:37]
	s_waitcnt vmcnt(2)
	v_xor_b32_e32 v40, 0x80000000, v37
	v_mov_b32_e32 v44, v36
	v_xor_b32_e32 v41, 0x80000000, v39
	s_delay_alu instid0(VALU_DEP_3) | instskip(SKIP_1) | instid1(VALU_DEP_3)
	v_dual_mov_b32 v46, v38 :: v_dual_cndmask_b32 v45, v37, v40
	v_cmp_gt_f64_e32 vcc_lo, 0, v[38:39]
	v_cndmask_b32_e32 v47, v39, v41, vcc_lo
	s_and_not1_b32 vcc_lo, exec_lo, s4
	s_delay_alu instid0(VALU_DEP_1)
	v_cmp_ge_f64_e64 s0, v[44:45], v[46:47]
	s_cbranch_vccnz .LBB73_144
; %bb.135:                              ;   in Loop: Header=BB73_114 Depth=1
                                        ; implicit-def: $vgpr40_vgpr41
                                        ; implicit-def: $vgpr42_vgpr43
	s_delay_alu instid0(VALU_DEP_1) | instskip(NEXT) | instid1(SALU_CYCLE_1)
	s_and_saveexec_b32 s1, s0
	s_xor_b32 s6, exec_lo, s1
	s_cbranch_execz .LBB73_141
; %bb.136:                              ;   in Loop: Header=BB73_114 Depth=1
	v_cmp_neq_f64_e32 vcc_lo, 0, v[36:37]
	v_cmp_neq_f64_e64 s1, 0, v[38:39]
                                        ; implicit-def: $vgpr40_vgpr41
                                        ; implicit-def: $vgpr42_vgpr43
	s_delay_alu instid0(VALU_DEP_1) | instskip(NEXT) | instid1(SALU_CYCLE_1)
	s_or_b32 s1, vcc_lo, s1
	s_and_saveexec_b32 s7, s1
	s_delay_alu instid0(SALU_CYCLE_1)
	s_xor_b32 s1, exec_lo, s7
	s_cbranch_execz .LBB73_138
; %bb.137:                              ;   in Loop: Header=BB73_114 Depth=1
	v_div_scale_f64 v[40:41], null, v[36:37], v[36:37], v[38:39]
	v_div_scale_f64 v[58:59], vcc_lo, v[38:39], v[36:37], v[38:39]
	s_delay_alu instid0(VALU_DEP_2) | instskip(SKIP_2) | instid1(VALU_DEP_1)
	v_rcp_f64_e32 v[42:43], v[40:41]
	s_waitcnt_depctr 0xfff
	v_fma_f64 v[56:57], -v[40:41], v[42:43], 1.0
	v_fma_f64 v[42:43], v[42:43], v[56:57], v[42:43]
	s_delay_alu instid0(VALU_DEP_1) | instskip(NEXT) | instid1(VALU_DEP_1)
	v_fma_f64 v[56:57], -v[40:41], v[42:43], 1.0
	v_fma_f64 v[42:43], v[42:43], v[56:57], v[42:43]
	s_delay_alu instid0(VALU_DEP_1) | instskip(NEXT) | instid1(VALU_DEP_1)
	v_mul_f64 v[56:57], v[58:59], v[42:43]
	v_fma_f64 v[40:41], -v[40:41], v[56:57], v[58:59]
	s_delay_alu instid0(VALU_DEP_1) | instskip(NEXT) | instid1(VALU_DEP_1)
	v_div_fmas_f64 v[40:41], v[40:41], v[42:43], v[56:57]
	v_div_fixup_f64 v[40:41], v[40:41], v[36:37], v[38:39]
	s_delay_alu instid0(VALU_DEP_1) | instskip(NEXT) | instid1(VALU_DEP_1)
	v_fma_f64 v[42:43], v[38:39], v[40:41], v[36:37]
	v_div_scale_f64 v[56:57], null, v[42:43], v[42:43], 1.0
	v_div_scale_f64 v[63:64], vcc_lo, 1.0, v[42:43], 1.0
	s_delay_alu instid0(VALU_DEP_2) | instskip(SKIP_2) | instid1(VALU_DEP_1)
	v_rcp_f64_e32 v[58:59], v[56:57]
	s_waitcnt_depctr 0xfff
	v_fma_f64 v[61:62], -v[56:57], v[58:59], 1.0
	v_fma_f64 v[58:59], v[58:59], v[61:62], v[58:59]
	s_delay_alu instid0(VALU_DEP_1) | instskip(NEXT) | instid1(VALU_DEP_1)
	v_fma_f64 v[61:62], -v[56:57], v[58:59], 1.0
	v_fma_f64 v[58:59], v[58:59], v[61:62], v[58:59]
	s_delay_alu instid0(VALU_DEP_1) | instskip(NEXT) | instid1(VALU_DEP_1)
	v_mul_f64 v[61:62], v[63:64], v[58:59]
	v_fma_f64 v[56:57], -v[56:57], v[61:62], v[63:64]
	s_delay_alu instid0(VALU_DEP_1) | instskip(SKIP_2) | instid1(VALU_DEP_3)
	v_div_fmas_f64 v[56:57], v[56:57], v[58:59], v[61:62]
	v_fma_f64 v[58:59], v[34:35], v[40:41], v[32:33]
	v_fma_f64 v[40:41], -v[32:33], v[40:41], v[34:35]
	v_div_fixup_f64 v[56:57], v[56:57], v[42:43], 1.0
	s_delay_alu instid0(VALU_DEP_1) | instskip(NEXT) | instid1(VALU_DEP_3)
	v_mul_f64 v[42:43], v[58:59], v[56:57]
	v_mul_f64 v[40:41], v[40:41], v[56:57]
.LBB73_138:                             ;   in Loop: Header=BB73_114 Depth=1
	s_and_not1_saveexec_b32 s7, s1
	s_cbranch_execz .LBB73_140
; %bb.139:                              ;   in Loop: Header=BB73_114 Depth=1
	v_div_scale_f64 v[40:41], null, v[44:45], v[44:45], v[32:33]
	v_div_scale_f64 v[42:43], null, v[46:47], v[46:47], v[34:35]
	v_div_scale_f64 v[65:66], vcc_lo, v[32:33], v[44:45], v[32:33]
	s_delay_alu instid0(VALU_DEP_3) | instskip(NEXT) | instid1(VALU_DEP_2)
	v_rcp_f64_e32 v[56:57], v[40:41]
	v_rcp_f64_e32 v[58:59], v[42:43]
	s_waitcnt_depctr 0xfff
	v_fma_f64 v[61:62], -v[40:41], v[56:57], 1.0
	v_fma_f64 v[63:64], -v[42:43], v[58:59], 1.0
	s_delay_alu instid0(VALU_DEP_2) | instskip(NEXT) | instid1(VALU_DEP_2)
	v_fma_f64 v[56:57], v[56:57], v[61:62], v[56:57]
	v_fma_f64 v[58:59], v[58:59], v[63:64], v[58:59]
	s_delay_alu instid0(VALU_DEP_2) | instskip(NEXT) | instid1(VALU_DEP_2)
	v_fma_f64 v[61:62], -v[40:41], v[56:57], 1.0
	v_fma_f64 v[63:64], -v[42:43], v[58:59], 1.0
	s_delay_alu instid0(VALU_DEP_2) | instskip(SKIP_1) | instid1(VALU_DEP_3)
	v_fma_f64 v[56:57], v[56:57], v[61:62], v[56:57]
	v_div_scale_f64 v[61:62], s1, v[34:35], v[46:47], v[34:35]
	v_fma_f64 v[58:59], v[58:59], v[63:64], v[58:59]
	s_delay_alu instid0(VALU_DEP_3) | instskip(NEXT) | instid1(VALU_DEP_2)
	v_mul_f64 v[63:64], v[65:66], v[56:57]
	v_mul_f64 v[67:68], v[61:62], v[58:59]
	s_delay_alu instid0(VALU_DEP_2) | instskip(NEXT) | instid1(VALU_DEP_2)
	v_fma_f64 v[40:41], -v[40:41], v[63:64], v[65:66]
	v_fma_f64 v[42:43], -v[42:43], v[67:68], v[61:62]
	s_delay_alu instid0(VALU_DEP_2) | instskip(SKIP_1) | instid1(VALU_DEP_2)
	v_div_fmas_f64 v[40:41], v[40:41], v[56:57], v[63:64]
	s_mov_b32 vcc_lo, s1
	v_div_fmas_f64 v[56:57], v[42:43], v[58:59], v[67:68]
	s_delay_alu instid0(VALU_DEP_2) | instskip(NEXT) | instid1(VALU_DEP_2)
	v_div_fixup_f64 v[42:43], v[40:41], v[44:45], v[32:33]
	v_div_fixup_f64 v[40:41], v[56:57], v[46:47], v[34:35]
.LBB73_140:                             ;   in Loop: Header=BB73_114 Depth=1
	s_or_b32 exec_lo, exec_lo, s7
.LBB73_141:                             ;   in Loop: Header=BB73_114 Depth=1
	s_and_not1_saveexec_b32 s1, s6
	s_cbranch_execz .LBB73_143
; %bb.142:                              ;   in Loop: Header=BB73_114 Depth=1
	v_div_scale_f64 v[40:41], null, v[38:39], v[38:39], v[36:37]
	v_div_scale_f64 v[58:59], vcc_lo, v[36:37], v[38:39], v[36:37]
	s_delay_alu instid0(VALU_DEP_2) | instskip(SKIP_2) | instid1(VALU_DEP_1)
	v_rcp_f64_e32 v[42:43], v[40:41]
	s_waitcnt_depctr 0xfff
	v_fma_f64 v[56:57], -v[40:41], v[42:43], 1.0
	v_fma_f64 v[42:43], v[42:43], v[56:57], v[42:43]
	s_delay_alu instid0(VALU_DEP_1) | instskip(NEXT) | instid1(VALU_DEP_1)
	v_fma_f64 v[56:57], -v[40:41], v[42:43], 1.0
	v_fma_f64 v[42:43], v[42:43], v[56:57], v[42:43]
	s_delay_alu instid0(VALU_DEP_1) | instskip(NEXT) | instid1(VALU_DEP_1)
	v_mul_f64 v[56:57], v[58:59], v[42:43]
	v_fma_f64 v[40:41], -v[40:41], v[56:57], v[58:59]
	s_delay_alu instid0(VALU_DEP_1) | instskip(NEXT) | instid1(VALU_DEP_1)
	v_div_fmas_f64 v[40:41], v[40:41], v[42:43], v[56:57]
	v_div_fixup_f64 v[40:41], v[40:41], v[38:39], v[36:37]
	s_delay_alu instid0(VALU_DEP_1) | instskip(NEXT) | instid1(VALU_DEP_1)
	v_fma_f64 v[42:43], v[36:37], v[40:41], v[38:39]
	v_div_scale_f64 v[56:57], null, v[42:43], v[42:43], 1.0
	v_div_scale_f64 v[63:64], vcc_lo, 1.0, v[42:43], 1.0
	s_delay_alu instid0(VALU_DEP_2) | instskip(SKIP_2) | instid1(VALU_DEP_1)
	v_rcp_f64_e32 v[58:59], v[56:57]
	s_waitcnt_depctr 0xfff
	v_fma_f64 v[61:62], -v[56:57], v[58:59], 1.0
	v_fma_f64 v[58:59], v[58:59], v[61:62], v[58:59]
	s_delay_alu instid0(VALU_DEP_1) | instskip(NEXT) | instid1(VALU_DEP_1)
	v_fma_f64 v[61:62], -v[56:57], v[58:59], 1.0
	v_fma_f64 v[58:59], v[58:59], v[61:62], v[58:59]
	s_delay_alu instid0(VALU_DEP_1) | instskip(NEXT) | instid1(VALU_DEP_1)
	v_mul_f64 v[61:62], v[63:64], v[58:59]
	v_fma_f64 v[56:57], -v[56:57], v[61:62], v[63:64]
	s_delay_alu instid0(VALU_DEP_1) | instskip(SKIP_2) | instid1(VALU_DEP_3)
	v_div_fmas_f64 v[56:57], v[56:57], v[58:59], v[61:62]
	v_fma_f64 v[58:59], v[32:33], v[40:41], v[34:35]
	v_fma_f64 v[40:41], v[34:35], v[40:41], -v[32:33]
	v_div_fixup_f64 v[56:57], v[56:57], v[42:43], 1.0
	s_delay_alu instid0(VALU_DEP_1) | instskip(NEXT) | instid1(VALU_DEP_3)
	v_mul_f64 v[42:43], v[58:59], v[56:57]
	v_mul_f64 v[40:41], v[40:41], v[56:57]
.LBB73_143:                             ;   in Loop: Header=BB73_114 Depth=1
	s_or_b32 exec_lo, exec_lo, s1
	s_delay_alu instid0(VALU_DEP_1) | instskip(SKIP_1) | instid1(VALU_DEP_2)
	v_mul_f64 v[56:57], s[10:11], v[40:41]
	v_mul_f64 v[58:59], s[8:9], v[40:41]
	v_fma_f64 v[40:41], s[8:9], v[42:43], -v[56:57]
	s_delay_alu instid0(VALU_DEP_2)
	v_fma_f64 v[42:43], s[10:11], v[42:43], v[58:59]
	s_branch .LBB73_154
.LBB73_144:                             ;   in Loop: Header=BB73_114 Depth=1
                                        ; implicit-def: $vgpr42_vgpr43
                                        ; implicit-def: $vgpr40_vgpr41
	s_cbranch_execz .LBB73_154
; %bb.145:                              ;   in Loop: Header=BB73_114 Depth=1
                                        ; implicit-def: $vgpr42_vgpr43
                                        ; implicit-def: $vgpr40_vgpr41
	s_delay_alu instid0(VALU_DEP_1) | instskip(NEXT) | instid1(SALU_CYCLE_1)
	s_and_saveexec_b32 s1, s0
	s_xor_b32 s1, exec_lo, s1
	s_cbranch_execz .LBB73_151
; %bb.146:                              ;   in Loop: Header=BB73_114 Depth=1
	v_cmp_neq_f64_e32 vcc_lo, 0, v[36:37]
	v_cmp_neq_f64_e64 s0, 0, v[38:39]
                                        ; implicit-def: $vgpr42_vgpr43
                                        ; implicit-def: $vgpr40_vgpr41
	s_delay_alu instid0(VALU_DEP_1) | instskip(NEXT) | instid1(SALU_CYCLE_1)
	s_or_b32 s0, vcc_lo, s0
	s_and_saveexec_b32 s6, s0
	s_delay_alu instid0(SALU_CYCLE_1)
	s_xor_b32 s0, exec_lo, s6
	s_cbranch_execz .LBB73_148
; %bb.147:                              ;   in Loop: Header=BB73_114 Depth=1
	v_div_scale_f64 v[40:41], null, v[36:37], v[36:37], v[38:39]
	v_div_scale_f64 v[46:47], vcc_lo, v[38:39], v[36:37], v[38:39]
	s_delay_alu instid0(VALU_DEP_2) | instskip(SKIP_2) | instid1(VALU_DEP_1)
	v_rcp_f64_e32 v[42:43], v[40:41]
	s_waitcnt_depctr 0xfff
	v_fma_f64 v[44:45], -v[40:41], v[42:43], 1.0
	v_fma_f64 v[42:43], v[42:43], v[44:45], v[42:43]
	s_delay_alu instid0(VALU_DEP_1) | instskip(NEXT) | instid1(VALU_DEP_1)
	v_fma_f64 v[44:45], -v[40:41], v[42:43], 1.0
	v_fma_f64 v[42:43], v[42:43], v[44:45], v[42:43]
	s_delay_alu instid0(VALU_DEP_1) | instskip(NEXT) | instid1(VALU_DEP_1)
	v_mul_f64 v[44:45], v[46:47], v[42:43]
	v_fma_f64 v[40:41], -v[40:41], v[44:45], v[46:47]
	s_delay_alu instid0(VALU_DEP_1) | instskip(NEXT) | instid1(VALU_DEP_1)
	v_div_fmas_f64 v[40:41], v[40:41], v[42:43], v[44:45]
	v_div_fixup_f64 v[40:41], v[40:41], v[36:37], v[38:39]
	s_delay_alu instid0(VALU_DEP_1) | instskip(NEXT) | instid1(VALU_DEP_1)
	v_fma_f64 v[36:37], v[38:39], v[40:41], v[36:37]
	v_div_scale_f64 v[38:39], null, v[36:37], v[36:37], 1.0
	v_div_scale_f64 v[46:47], vcc_lo, 1.0, v[36:37], 1.0
	s_delay_alu instid0(VALU_DEP_2) | instskip(SKIP_2) | instid1(VALU_DEP_1)
	v_rcp_f64_e32 v[42:43], v[38:39]
	s_waitcnt_depctr 0xfff
	v_fma_f64 v[44:45], -v[38:39], v[42:43], 1.0
	v_fma_f64 v[42:43], v[42:43], v[44:45], v[42:43]
	s_delay_alu instid0(VALU_DEP_1) | instskip(NEXT) | instid1(VALU_DEP_1)
	v_fma_f64 v[44:45], -v[38:39], v[42:43], 1.0
	v_fma_f64 v[42:43], v[42:43], v[44:45], v[42:43]
	s_delay_alu instid0(VALU_DEP_1) | instskip(NEXT) | instid1(VALU_DEP_1)
	v_mul_f64 v[44:45], v[46:47], v[42:43]
	v_fma_f64 v[38:39], -v[38:39], v[44:45], v[46:47]
                                        ; implicit-def: $vgpr46_vgpr47
	s_delay_alu instid0(VALU_DEP_1) | instskip(SKIP_2) | instid1(VALU_DEP_3)
	v_div_fmas_f64 v[38:39], v[38:39], v[42:43], v[44:45]
	v_fma_f64 v[42:43], v[34:35], v[40:41], v[32:33]
	v_fma_f64 v[32:33], -v[32:33], v[40:41], v[34:35]
                                        ; implicit-def: $vgpr44_vgpr45
	v_div_fixup_f64 v[36:37], v[38:39], v[36:37], 1.0
	s_delay_alu instid0(VALU_DEP_1) | instskip(NEXT) | instid1(VALU_DEP_3)
	v_mul_f64 v[40:41], v[42:43], v[36:37]
	v_mul_f64 v[42:43], v[32:33], v[36:37]
                                        ; implicit-def: $vgpr32_vgpr33
.LBB73_148:                             ;   in Loop: Header=BB73_114 Depth=1
	s_and_not1_saveexec_b32 s6, s0
	s_cbranch_execz .LBB73_150
; %bb.149:                              ;   in Loop: Header=BB73_114 Depth=1
	v_div_scale_f64 v[36:37], null, v[44:45], v[44:45], v[32:33]
	v_div_scale_f64 v[38:39], null, v[46:47], v[46:47], v[34:35]
	v_div_scale_f64 v[61:62], vcc_lo, v[32:33], v[44:45], v[32:33]
	s_delay_alu instid0(VALU_DEP_3) | instskip(NEXT) | instid1(VALU_DEP_2)
	v_rcp_f64_e32 v[40:41], v[36:37]
	v_rcp_f64_e32 v[42:43], v[38:39]
	s_waitcnt_depctr 0xfff
	v_fma_f64 v[56:57], -v[36:37], v[40:41], 1.0
	v_fma_f64 v[58:59], -v[38:39], v[42:43], 1.0
	s_delay_alu instid0(VALU_DEP_2) | instskip(NEXT) | instid1(VALU_DEP_2)
	v_fma_f64 v[40:41], v[40:41], v[56:57], v[40:41]
	v_fma_f64 v[42:43], v[42:43], v[58:59], v[42:43]
	s_delay_alu instid0(VALU_DEP_2) | instskip(NEXT) | instid1(VALU_DEP_2)
	v_fma_f64 v[56:57], -v[36:37], v[40:41], 1.0
	v_fma_f64 v[58:59], -v[38:39], v[42:43], 1.0
	s_delay_alu instid0(VALU_DEP_2) | instskip(SKIP_1) | instid1(VALU_DEP_3)
	v_fma_f64 v[40:41], v[40:41], v[56:57], v[40:41]
	v_div_scale_f64 v[56:57], s0, v[34:35], v[46:47], v[34:35]
	v_fma_f64 v[42:43], v[42:43], v[58:59], v[42:43]
	s_delay_alu instid0(VALU_DEP_3) | instskip(NEXT) | instid1(VALU_DEP_2)
	v_mul_f64 v[58:59], v[61:62], v[40:41]
	v_mul_f64 v[63:64], v[56:57], v[42:43]
	s_delay_alu instid0(VALU_DEP_2) | instskip(NEXT) | instid1(VALU_DEP_2)
	v_fma_f64 v[36:37], -v[36:37], v[58:59], v[61:62]
	v_fma_f64 v[38:39], -v[38:39], v[63:64], v[56:57]
	s_delay_alu instid0(VALU_DEP_2) | instskip(SKIP_1) | instid1(VALU_DEP_2)
	v_div_fmas_f64 v[36:37], v[36:37], v[40:41], v[58:59]
	s_mov_b32 vcc_lo, s0
	v_div_fmas_f64 v[38:39], v[38:39], v[42:43], v[63:64]
	s_delay_alu instid0(VALU_DEP_2) | instskip(NEXT) | instid1(VALU_DEP_2)
	v_div_fixup_f64 v[40:41], v[36:37], v[44:45], v[32:33]
	v_div_fixup_f64 v[42:43], v[38:39], v[46:47], v[34:35]
.LBB73_150:                             ;   in Loop: Header=BB73_114 Depth=1
	s_or_b32 exec_lo, exec_lo, s6
                                        ; implicit-def: $vgpr38_vgpr39
                                        ; implicit-def: $vgpr32_vgpr33
.LBB73_151:                             ;   in Loop: Header=BB73_114 Depth=1
	s_and_not1_saveexec_b32 s0, s1
	s_cbranch_execz .LBB73_153
; %bb.152:                              ;   in Loop: Header=BB73_114 Depth=1
	v_div_scale_f64 v[40:41], null, v[38:39], v[38:39], v[36:37]
	v_div_scale_f64 v[46:47], vcc_lo, v[36:37], v[38:39], v[36:37]
	s_delay_alu instid0(VALU_DEP_2) | instskip(SKIP_2) | instid1(VALU_DEP_1)
	v_rcp_f64_e32 v[42:43], v[40:41]
	s_waitcnt_depctr 0xfff
	v_fma_f64 v[44:45], -v[40:41], v[42:43], 1.0
	v_fma_f64 v[42:43], v[42:43], v[44:45], v[42:43]
	s_delay_alu instid0(VALU_DEP_1) | instskip(NEXT) | instid1(VALU_DEP_1)
	v_fma_f64 v[44:45], -v[40:41], v[42:43], 1.0
	v_fma_f64 v[42:43], v[42:43], v[44:45], v[42:43]
	s_delay_alu instid0(VALU_DEP_1) | instskip(NEXT) | instid1(VALU_DEP_1)
	v_mul_f64 v[44:45], v[46:47], v[42:43]
	v_fma_f64 v[40:41], -v[40:41], v[44:45], v[46:47]
	s_delay_alu instid0(VALU_DEP_1) | instskip(NEXT) | instid1(VALU_DEP_1)
	v_div_fmas_f64 v[40:41], v[40:41], v[42:43], v[44:45]
	v_div_fixup_f64 v[40:41], v[40:41], v[38:39], v[36:37]
	s_delay_alu instid0(VALU_DEP_1) | instskip(NEXT) | instid1(VALU_DEP_1)
	v_fma_f64 v[36:37], v[36:37], v[40:41], v[38:39]
	v_div_scale_f64 v[38:39], null, v[36:37], v[36:37], 1.0
	v_div_scale_f64 v[46:47], vcc_lo, 1.0, v[36:37], 1.0
	s_delay_alu instid0(VALU_DEP_2) | instskip(SKIP_2) | instid1(VALU_DEP_1)
	v_rcp_f64_e32 v[42:43], v[38:39]
	s_waitcnt_depctr 0xfff
	v_fma_f64 v[44:45], -v[38:39], v[42:43], 1.0
	v_fma_f64 v[42:43], v[42:43], v[44:45], v[42:43]
	s_delay_alu instid0(VALU_DEP_1) | instskip(NEXT) | instid1(VALU_DEP_1)
	v_fma_f64 v[44:45], -v[38:39], v[42:43], 1.0
	v_fma_f64 v[42:43], v[42:43], v[44:45], v[42:43]
	s_delay_alu instid0(VALU_DEP_1) | instskip(NEXT) | instid1(VALU_DEP_1)
	v_mul_f64 v[44:45], v[46:47], v[42:43]
	v_fma_f64 v[38:39], -v[38:39], v[44:45], v[46:47]
	s_delay_alu instid0(VALU_DEP_1) | instskip(SKIP_2) | instid1(VALU_DEP_3)
	v_div_fmas_f64 v[38:39], v[38:39], v[42:43], v[44:45]
	v_fma_f64 v[42:43], v[32:33], v[40:41], v[34:35]
	v_fma_f64 v[32:33], v[34:35], v[40:41], -v[32:33]
	v_div_fixup_f64 v[36:37], v[38:39], v[36:37], 1.0
	s_delay_alu instid0(VALU_DEP_1) | instskip(NEXT) | instid1(VALU_DEP_3)
	v_mul_f64 v[40:41], v[42:43], v[36:37]
	v_mul_f64 v[42:43], v[32:33], v[36:37]
.LBB73_153:                             ;   in Loop: Header=BB73_114 Depth=1
	s_or_b32 exec_lo, exec_lo, s0
.LBB73_154:                             ;   in Loop: Header=BB73_114 Depth=1
	s_waitcnt vmcnt(0)
	v_cmp_gt_f64_e32 vcc_lo, 0, v[28:29]
	v_xor_b32_e32 v32, 0x80000000, v29
	v_mov_b32_e32 v36, v28
	v_xor_b32_e32 v33, 0x80000000, v31
	s_delay_alu instid0(VALU_DEP_3) | instskip(SKIP_1) | instid1(VALU_DEP_3)
	v_dual_mov_b32 v38, v30 :: v_dual_cndmask_b32 v37, v29, v32
	v_cmp_gt_f64_e32 vcc_lo, 0, v[30:31]
	v_cndmask_b32_e32 v39, v31, v33, vcc_lo
	s_and_not1_b32 vcc_lo, exec_lo, s4
	s_delay_alu instid0(VALU_DEP_1)
	v_cmp_ge_f64_e64 s0, v[36:37], v[38:39]
	s_cbranch_vccnz .LBB73_164
; %bb.155:                              ;   in Loop: Header=BB73_114 Depth=1
                                        ; implicit-def: $vgpr32_vgpr33
                                        ; implicit-def: $vgpr34_vgpr35
	s_delay_alu instid0(VALU_DEP_1) | instskip(NEXT) | instid1(SALU_CYCLE_1)
	s_and_saveexec_b32 s1, s0
	s_xor_b32 s6, exec_lo, s1
	s_cbranch_execz .LBB73_161
; %bb.156:                              ;   in Loop: Header=BB73_114 Depth=1
	v_cmp_neq_f64_e32 vcc_lo, 0, v[28:29]
	v_cmp_neq_f64_e64 s1, 0, v[30:31]
                                        ; implicit-def: $vgpr32_vgpr33
                                        ; implicit-def: $vgpr34_vgpr35
	s_delay_alu instid0(VALU_DEP_1) | instskip(NEXT) | instid1(SALU_CYCLE_1)
	s_or_b32 s1, vcc_lo, s1
	s_and_saveexec_b32 s7, s1
	s_delay_alu instid0(SALU_CYCLE_1)
	s_xor_b32 s1, exec_lo, s7
	s_cbranch_execz .LBB73_158
; %bb.157:                              ;   in Loop: Header=BB73_114 Depth=1
	v_div_scale_f64 v[32:33], null, v[28:29], v[28:29], v[30:31]
	v_div_scale_f64 v[46:47], vcc_lo, v[30:31], v[28:29], v[30:31]
	s_delay_alu instid0(VALU_DEP_2) | instskip(SKIP_2) | instid1(VALU_DEP_1)
	v_rcp_f64_e32 v[34:35], v[32:33]
	s_waitcnt_depctr 0xfff
	v_fma_f64 v[44:45], -v[32:33], v[34:35], 1.0
	v_fma_f64 v[34:35], v[34:35], v[44:45], v[34:35]
	s_delay_alu instid0(VALU_DEP_1) | instskip(NEXT) | instid1(VALU_DEP_1)
	v_fma_f64 v[44:45], -v[32:33], v[34:35], 1.0
	v_fma_f64 v[34:35], v[34:35], v[44:45], v[34:35]
	s_delay_alu instid0(VALU_DEP_1) | instskip(NEXT) | instid1(VALU_DEP_1)
	v_mul_f64 v[44:45], v[46:47], v[34:35]
	v_fma_f64 v[32:33], -v[32:33], v[44:45], v[46:47]
	s_delay_alu instid0(VALU_DEP_1) | instskip(NEXT) | instid1(VALU_DEP_1)
	v_div_fmas_f64 v[32:33], v[32:33], v[34:35], v[44:45]
	v_div_fixup_f64 v[32:33], v[32:33], v[28:29], v[30:31]
	s_delay_alu instid0(VALU_DEP_1) | instskip(NEXT) | instid1(VALU_DEP_1)
	v_fma_f64 v[34:35], v[30:31], v[32:33], v[28:29]
	v_div_scale_f64 v[44:45], null, v[34:35], v[34:35], 1.0
	v_div_scale_f64 v[58:59], vcc_lo, 1.0, v[34:35], 1.0
	s_delay_alu instid0(VALU_DEP_2) | instskip(SKIP_2) | instid1(VALU_DEP_1)
	v_rcp_f64_e32 v[46:47], v[44:45]
	s_waitcnt_depctr 0xfff
	v_fma_f64 v[56:57], -v[44:45], v[46:47], 1.0
	v_fma_f64 v[46:47], v[46:47], v[56:57], v[46:47]
	s_delay_alu instid0(VALU_DEP_1) | instskip(NEXT) | instid1(VALU_DEP_1)
	v_fma_f64 v[56:57], -v[44:45], v[46:47], 1.0
	v_fma_f64 v[46:47], v[46:47], v[56:57], v[46:47]
	s_delay_alu instid0(VALU_DEP_1) | instskip(NEXT) | instid1(VALU_DEP_1)
	v_mul_f64 v[56:57], v[58:59], v[46:47]
	v_fma_f64 v[44:45], -v[44:45], v[56:57], v[58:59]
	s_delay_alu instid0(VALU_DEP_1) | instskip(SKIP_2) | instid1(VALU_DEP_3)
	v_div_fmas_f64 v[44:45], v[44:45], v[46:47], v[56:57]
	v_fma_f64 v[46:47], v[26:27], v[32:33], v[24:25]
	v_fma_f64 v[32:33], -v[24:25], v[32:33], v[26:27]
	v_div_fixup_f64 v[44:45], v[44:45], v[34:35], 1.0
	s_delay_alu instid0(VALU_DEP_1) | instskip(NEXT) | instid1(VALU_DEP_3)
	v_mul_f64 v[34:35], v[46:47], v[44:45]
	v_mul_f64 v[32:33], v[32:33], v[44:45]
.LBB73_158:                             ;   in Loop: Header=BB73_114 Depth=1
	s_and_not1_saveexec_b32 s7, s1
	s_cbranch_execz .LBB73_160
; %bb.159:                              ;   in Loop: Header=BB73_114 Depth=1
	v_div_scale_f64 v[32:33], null, v[36:37], v[36:37], v[24:25]
	v_div_scale_f64 v[34:35], null, v[38:39], v[38:39], v[26:27]
	v_div_scale_f64 v[61:62], vcc_lo, v[24:25], v[36:37], v[24:25]
	s_delay_alu instid0(VALU_DEP_3) | instskip(NEXT) | instid1(VALU_DEP_2)
	v_rcp_f64_e32 v[44:45], v[32:33]
	v_rcp_f64_e32 v[46:47], v[34:35]
	s_waitcnt_depctr 0xfff
	v_fma_f64 v[56:57], -v[32:33], v[44:45], 1.0
	v_fma_f64 v[58:59], -v[34:35], v[46:47], 1.0
	s_delay_alu instid0(VALU_DEP_2) | instskip(NEXT) | instid1(VALU_DEP_2)
	v_fma_f64 v[44:45], v[44:45], v[56:57], v[44:45]
	v_fma_f64 v[46:47], v[46:47], v[58:59], v[46:47]
	s_delay_alu instid0(VALU_DEP_2) | instskip(NEXT) | instid1(VALU_DEP_2)
	v_fma_f64 v[56:57], -v[32:33], v[44:45], 1.0
	v_fma_f64 v[58:59], -v[34:35], v[46:47], 1.0
	s_delay_alu instid0(VALU_DEP_2) | instskip(SKIP_1) | instid1(VALU_DEP_3)
	v_fma_f64 v[44:45], v[44:45], v[56:57], v[44:45]
	v_div_scale_f64 v[56:57], s1, v[26:27], v[38:39], v[26:27]
	v_fma_f64 v[46:47], v[46:47], v[58:59], v[46:47]
	s_delay_alu instid0(VALU_DEP_3) | instskip(NEXT) | instid1(VALU_DEP_2)
	v_mul_f64 v[58:59], v[61:62], v[44:45]
	v_mul_f64 v[63:64], v[56:57], v[46:47]
	s_delay_alu instid0(VALU_DEP_2) | instskip(NEXT) | instid1(VALU_DEP_2)
	v_fma_f64 v[32:33], -v[32:33], v[58:59], v[61:62]
	v_fma_f64 v[34:35], -v[34:35], v[63:64], v[56:57]
	s_delay_alu instid0(VALU_DEP_2) | instskip(SKIP_1) | instid1(VALU_DEP_2)
	v_div_fmas_f64 v[32:33], v[32:33], v[44:45], v[58:59]
	s_mov_b32 vcc_lo, s1
	v_div_fmas_f64 v[44:45], v[34:35], v[46:47], v[63:64]
	s_delay_alu instid0(VALU_DEP_2) | instskip(NEXT) | instid1(VALU_DEP_2)
	v_div_fixup_f64 v[34:35], v[32:33], v[36:37], v[24:25]
	v_div_fixup_f64 v[32:33], v[44:45], v[38:39], v[26:27]
.LBB73_160:                             ;   in Loop: Header=BB73_114 Depth=1
	s_or_b32 exec_lo, exec_lo, s7
.LBB73_161:                             ;   in Loop: Header=BB73_114 Depth=1
	s_and_not1_saveexec_b32 s1, s6
	s_cbranch_execz .LBB73_163
; %bb.162:                              ;   in Loop: Header=BB73_114 Depth=1
	v_div_scale_f64 v[32:33], null, v[30:31], v[30:31], v[28:29]
	v_div_scale_f64 v[46:47], vcc_lo, v[28:29], v[30:31], v[28:29]
	s_delay_alu instid0(VALU_DEP_2) | instskip(SKIP_2) | instid1(VALU_DEP_1)
	v_rcp_f64_e32 v[34:35], v[32:33]
	s_waitcnt_depctr 0xfff
	v_fma_f64 v[44:45], -v[32:33], v[34:35], 1.0
	v_fma_f64 v[34:35], v[34:35], v[44:45], v[34:35]
	s_delay_alu instid0(VALU_DEP_1) | instskip(NEXT) | instid1(VALU_DEP_1)
	v_fma_f64 v[44:45], -v[32:33], v[34:35], 1.0
	v_fma_f64 v[34:35], v[34:35], v[44:45], v[34:35]
	s_delay_alu instid0(VALU_DEP_1) | instskip(NEXT) | instid1(VALU_DEP_1)
	v_mul_f64 v[44:45], v[46:47], v[34:35]
	v_fma_f64 v[32:33], -v[32:33], v[44:45], v[46:47]
	s_delay_alu instid0(VALU_DEP_1) | instskip(NEXT) | instid1(VALU_DEP_1)
	v_div_fmas_f64 v[32:33], v[32:33], v[34:35], v[44:45]
	v_div_fixup_f64 v[32:33], v[32:33], v[30:31], v[28:29]
	s_delay_alu instid0(VALU_DEP_1) | instskip(NEXT) | instid1(VALU_DEP_1)
	v_fma_f64 v[34:35], v[28:29], v[32:33], v[30:31]
	v_div_scale_f64 v[44:45], null, v[34:35], v[34:35], 1.0
	v_div_scale_f64 v[58:59], vcc_lo, 1.0, v[34:35], 1.0
	s_delay_alu instid0(VALU_DEP_2) | instskip(SKIP_2) | instid1(VALU_DEP_1)
	v_rcp_f64_e32 v[46:47], v[44:45]
	s_waitcnt_depctr 0xfff
	v_fma_f64 v[56:57], -v[44:45], v[46:47], 1.0
	v_fma_f64 v[46:47], v[46:47], v[56:57], v[46:47]
	s_delay_alu instid0(VALU_DEP_1) | instskip(NEXT) | instid1(VALU_DEP_1)
	v_fma_f64 v[56:57], -v[44:45], v[46:47], 1.0
	v_fma_f64 v[46:47], v[46:47], v[56:57], v[46:47]
	s_delay_alu instid0(VALU_DEP_1) | instskip(NEXT) | instid1(VALU_DEP_1)
	v_mul_f64 v[56:57], v[58:59], v[46:47]
	v_fma_f64 v[44:45], -v[44:45], v[56:57], v[58:59]
	s_delay_alu instid0(VALU_DEP_1) | instskip(SKIP_2) | instid1(VALU_DEP_3)
	v_div_fmas_f64 v[44:45], v[44:45], v[46:47], v[56:57]
	v_fma_f64 v[46:47], v[24:25], v[32:33], v[26:27]
	v_fma_f64 v[32:33], v[26:27], v[32:33], -v[24:25]
	v_div_fixup_f64 v[44:45], v[44:45], v[34:35], 1.0
	s_delay_alu instid0(VALU_DEP_1) | instskip(NEXT) | instid1(VALU_DEP_3)
	v_mul_f64 v[34:35], v[46:47], v[44:45]
	v_mul_f64 v[32:33], v[32:33], v[44:45]
.LBB73_163:                             ;   in Loop: Header=BB73_114 Depth=1
	s_or_b32 exec_lo, exec_lo, s1
	s_delay_alu instid0(VALU_DEP_1) | instskip(SKIP_1) | instid1(VALU_DEP_2)
	v_mul_f64 v[44:45], s[10:11], v[32:33]
	v_mul_f64 v[46:47], s[8:9], v[32:33]
	v_fma_f64 v[32:33], s[8:9], v[34:35], -v[44:45]
	s_delay_alu instid0(VALU_DEP_2)
	v_fma_f64 v[34:35], s[10:11], v[34:35], v[46:47]
	s_branch .LBB73_174
.LBB73_164:                             ;   in Loop: Header=BB73_114 Depth=1
                                        ; implicit-def: $vgpr34_vgpr35
                                        ; implicit-def: $vgpr32_vgpr33
	s_cbranch_execz .LBB73_174
; %bb.165:                              ;   in Loop: Header=BB73_114 Depth=1
                                        ; implicit-def: $vgpr34_vgpr35
                                        ; implicit-def: $vgpr32_vgpr33
	s_delay_alu instid0(VALU_DEP_1) | instskip(NEXT) | instid1(SALU_CYCLE_1)
	s_and_saveexec_b32 s1, s0
	s_xor_b32 s1, exec_lo, s1
	s_cbranch_execz .LBB73_171
; %bb.166:                              ;   in Loop: Header=BB73_114 Depth=1
	v_cmp_neq_f64_e32 vcc_lo, 0, v[28:29]
	v_cmp_neq_f64_e64 s0, 0, v[30:31]
                                        ; implicit-def: $vgpr34_vgpr35
                                        ; implicit-def: $vgpr32_vgpr33
	s_delay_alu instid0(VALU_DEP_1) | instskip(NEXT) | instid1(SALU_CYCLE_1)
	s_or_b32 s0, vcc_lo, s0
	s_and_saveexec_b32 s6, s0
	s_delay_alu instid0(SALU_CYCLE_1)
	s_xor_b32 s0, exec_lo, s6
	s_cbranch_execz .LBB73_168
; %bb.167:                              ;   in Loop: Header=BB73_114 Depth=1
	v_div_scale_f64 v[32:33], null, v[28:29], v[28:29], v[30:31]
	v_div_scale_f64 v[38:39], vcc_lo, v[30:31], v[28:29], v[30:31]
	s_delay_alu instid0(VALU_DEP_2) | instskip(SKIP_2) | instid1(VALU_DEP_1)
	v_rcp_f64_e32 v[34:35], v[32:33]
	s_waitcnt_depctr 0xfff
	v_fma_f64 v[36:37], -v[32:33], v[34:35], 1.0
	v_fma_f64 v[34:35], v[34:35], v[36:37], v[34:35]
	s_delay_alu instid0(VALU_DEP_1) | instskip(NEXT) | instid1(VALU_DEP_1)
	v_fma_f64 v[36:37], -v[32:33], v[34:35], 1.0
	v_fma_f64 v[34:35], v[34:35], v[36:37], v[34:35]
	s_delay_alu instid0(VALU_DEP_1) | instskip(NEXT) | instid1(VALU_DEP_1)
	v_mul_f64 v[36:37], v[38:39], v[34:35]
	v_fma_f64 v[32:33], -v[32:33], v[36:37], v[38:39]
	s_delay_alu instid0(VALU_DEP_1) | instskip(NEXT) | instid1(VALU_DEP_1)
	v_div_fmas_f64 v[32:33], v[32:33], v[34:35], v[36:37]
	v_div_fixup_f64 v[32:33], v[32:33], v[28:29], v[30:31]
	s_delay_alu instid0(VALU_DEP_1) | instskip(NEXT) | instid1(VALU_DEP_1)
	v_fma_f64 v[28:29], v[30:31], v[32:33], v[28:29]
	v_div_scale_f64 v[30:31], null, v[28:29], v[28:29], 1.0
	v_div_scale_f64 v[38:39], vcc_lo, 1.0, v[28:29], 1.0
	s_delay_alu instid0(VALU_DEP_2) | instskip(SKIP_2) | instid1(VALU_DEP_1)
	v_rcp_f64_e32 v[34:35], v[30:31]
	s_waitcnt_depctr 0xfff
	v_fma_f64 v[36:37], -v[30:31], v[34:35], 1.0
	v_fma_f64 v[34:35], v[34:35], v[36:37], v[34:35]
	s_delay_alu instid0(VALU_DEP_1) | instskip(NEXT) | instid1(VALU_DEP_1)
	v_fma_f64 v[36:37], -v[30:31], v[34:35], 1.0
	v_fma_f64 v[34:35], v[34:35], v[36:37], v[34:35]
	s_delay_alu instid0(VALU_DEP_1) | instskip(NEXT) | instid1(VALU_DEP_1)
	v_mul_f64 v[36:37], v[38:39], v[34:35]
	v_fma_f64 v[30:31], -v[30:31], v[36:37], v[38:39]
                                        ; implicit-def: $vgpr38_vgpr39
	s_delay_alu instid0(VALU_DEP_1) | instskip(SKIP_2) | instid1(VALU_DEP_3)
	v_div_fmas_f64 v[30:31], v[30:31], v[34:35], v[36:37]
	v_fma_f64 v[34:35], v[26:27], v[32:33], v[24:25]
	v_fma_f64 v[24:25], -v[24:25], v[32:33], v[26:27]
                                        ; implicit-def: $vgpr36_vgpr37
	v_div_fixup_f64 v[28:29], v[30:31], v[28:29], 1.0
	s_delay_alu instid0(VALU_DEP_1) | instskip(NEXT) | instid1(VALU_DEP_3)
	v_mul_f64 v[32:33], v[34:35], v[28:29]
	v_mul_f64 v[34:35], v[24:25], v[28:29]
                                        ; implicit-def: $vgpr24_vgpr25
.LBB73_168:                             ;   in Loop: Header=BB73_114 Depth=1
	s_and_not1_saveexec_b32 s6, s0
	s_cbranch_execz .LBB73_170
; %bb.169:                              ;   in Loop: Header=BB73_114 Depth=1
	v_div_scale_f64 v[28:29], null, v[36:37], v[36:37], v[24:25]
	v_div_scale_f64 v[30:31], null, v[38:39], v[38:39], v[26:27]
	v_div_scale_f64 v[56:57], vcc_lo, v[24:25], v[36:37], v[24:25]
	s_delay_alu instid0(VALU_DEP_3) | instskip(NEXT) | instid1(VALU_DEP_2)
	v_rcp_f64_e32 v[32:33], v[28:29]
	v_rcp_f64_e32 v[34:35], v[30:31]
	s_waitcnt_depctr 0xfff
	v_fma_f64 v[44:45], -v[28:29], v[32:33], 1.0
	v_fma_f64 v[46:47], -v[30:31], v[34:35], 1.0
	s_delay_alu instid0(VALU_DEP_2) | instskip(NEXT) | instid1(VALU_DEP_2)
	v_fma_f64 v[32:33], v[32:33], v[44:45], v[32:33]
	v_fma_f64 v[34:35], v[34:35], v[46:47], v[34:35]
	s_delay_alu instid0(VALU_DEP_2) | instskip(NEXT) | instid1(VALU_DEP_2)
	v_fma_f64 v[44:45], -v[28:29], v[32:33], 1.0
	v_fma_f64 v[46:47], -v[30:31], v[34:35], 1.0
	s_delay_alu instid0(VALU_DEP_2) | instskip(SKIP_1) | instid1(VALU_DEP_3)
	v_fma_f64 v[32:33], v[32:33], v[44:45], v[32:33]
	v_div_scale_f64 v[44:45], s0, v[26:27], v[38:39], v[26:27]
	v_fma_f64 v[34:35], v[34:35], v[46:47], v[34:35]
	s_delay_alu instid0(VALU_DEP_3) | instskip(NEXT) | instid1(VALU_DEP_2)
	v_mul_f64 v[46:47], v[56:57], v[32:33]
	v_mul_f64 v[58:59], v[44:45], v[34:35]
	s_delay_alu instid0(VALU_DEP_2) | instskip(NEXT) | instid1(VALU_DEP_2)
	v_fma_f64 v[28:29], -v[28:29], v[46:47], v[56:57]
	v_fma_f64 v[30:31], -v[30:31], v[58:59], v[44:45]
	s_delay_alu instid0(VALU_DEP_2) | instskip(SKIP_1) | instid1(VALU_DEP_2)
	v_div_fmas_f64 v[28:29], v[28:29], v[32:33], v[46:47]
	s_mov_b32 vcc_lo, s0
	v_div_fmas_f64 v[30:31], v[30:31], v[34:35], v[58:59]
	s_delay_alu instid0(VALU_DEP_2) | instskip(NEXT) | instid1(VALU_DEP_2)
	v_div_fixup_f64 v[32:33], v[28:29], v[36:37], v[24:25]
	v_div_fixup_f64 v[34:35], v[30:31], v[38:39], v[26:27]
.LBB73_170:                             ;   in Loop: Header=BB73_114 Depth=1
	s_or_b32 exec_lo, exec_lo, s6
                                        ; implicit-def: $vgpr30_vgpr31
                                        ; implicit-def: $vgpr24_vgpr25
.LBB73_171:                             ;   in Loop: Header=BB73_114 Depth=1
	s_and_not1_saveexec_b32 s0, s1
	s_cbranch_execz .LBB73_173
; %bb.172:                              ;   in Loop: Header=BB73_114 Depth=1
	v_div_scale_f64 v[32:33], null, v[30:31], v[30:31], v[28:29]
	v_div_scale_f64 v[38:39], vcc_lo, v[28:29], v[30:31], v[28:29]
	s_delay_alu instid0(VALU_DEP_2) | instskip(SKIP_2) | instid1(VALU_DEP_1)
	v_rcp_f64_e32 v[34:35], v[32:33]
	s_waitcnt_depctr 0xfff
	v_fma_f64 v[36:37], -v[32:33], v[34:35], 1.0
	v_fma_f64 v[34:35], v[34:35], v[36:37], v[34:35]
	s_delay_alu instid0(VALU_DEP_1) | instskip(NEXT) | instid1(VALU_DEP_1)
	v_fma_f64 v[36:37], -v[32:33], v[34:35], 1.0
	v_fma_f64 v[34:35], v[34:35], v[36:37], v[34:35]
	s_delay_alu instid0(VALU_DEP_1) | instskip(NEXT) | instid1(VALU_DEP_1)
	v_mul_f64 v[36:37], v[38:39], v[34:35]
	v_fma_f64 v[32:33], -v[32:33], v[36:37], v[38:39]
	s_delay_alu instid0(VALU_DEP_1) | instskip(NEXT) | instid1(VALU_DEP_1)
	v_div_fmas_f64 v[32:33], v[32:33], v[34:35], v[36:37]
	v_div_fixup_f64 v[32:33], v[32:33], v[30:31], v[28:29]
	s_delay_alu instid0(VALU_DEP_1) | instskip(NEXT) | instid1(VALU_DEP_1)
	v_fma_f64 v[28:29], v[28:29], v[32:33], v[30:31]
	v_div_scale_f64 v[30:31], null, v[28:29], v[28:29], 1.0
	v_div_scale_f64 v[38:39], vcc_lo, 1.0, v[28:29], 1.0
	s_delay_alu instid0(VALU_DEP_2) | instskip(SKIP_2) | instid1(VALU_DEP_1)
	v_rcp_f64_e32 v[34:35], v[30:31]
	s_waitcnt_depctr 0xfff
	v_fma_f64 v[36:37], -v[30:31], v[34:35], 1.0
	v_fma_f64 v[34:35], v[34:35], v[36:37], v[34:35]
	s_delay_alu instid0(VALU_DEP_1) | instskip(NEXT) | instid1(VALU_DEP_1)
	v_fma_f64 v[36:37], -v[30:31], v[34:35], 1.0
	v_fma_f64 v[34:35], v[34:35], v[36:37], v[34:35]
	s_delay_alu instid0(VALU_DEP_1) | instskip(NEXT) | instid1(VALU_DEP_1)
	v_mul_f64 v[36:37], v[38:39], v[34:35]
	v_fma_f64 v[30:31], -v[30:31], v[36:37], v[38:39]
	s_delay_alu instid0(VALU_DEP_1) | instskip(SKIP_2) | instid1(VALU_DEP_3)
	v_div_fmas_f64 v[30:31], v[30:31], v[34:35], v[36:37]
	v_fma_f64 v[34:35], v[24:25], v[32:33], v[26:27]
	v_fma_f64 v[24:25], v[26:27], v[32:33], -v[24:25]
	v_div_fixup_f64 v[28:29], v[30:31], v[28:29], 1.0
	s_delay_alu instid0(VALU_DEP_1) | instskip(NEXT) | instid1(VALU_DEP_3)
	v_mul_f64 v[32:33], v[34:35], v[28:29]
	v_mul_f64 v[34:35], v[24:25], v[28:29]
.LBB73_173:                             ;   in Loop: Header=BB73_114 Depth=1
	s_or_b32 exec_lo, exec_lo, s0
.LBB73_174:                             ;   in Loop: Header=BB73_114 Depth=1
	v_cmp_gt_f64_e32 vcc_lo, 0, v[20:21]
	v_xor_b32_e32 v25, 0x80000000, v21
	v_mov_b32_e32 v24, v20
	v_xor_b32_e32 v26, 0x80000000, v23
	s_delay_alu instid0(VALU_DEP_3) | instskip(SKIP_1) | instid1(VALU_DEP_3)
	v_cndmask_b32_e32 v25, v21, v25, vcc_lo
	v_cmp_gt_f64_e32 vcc_lo, 0, v[22:23]
	v_dual_cndmask_b32 v27, v23, v26 :: v_dual_mov_b32 v26, v22
	s_and_not1_b32 vcc_lo, exec_lo, s4
	s_delay_alu instid0(VALU_DEP_1)
	v_cmp_ge_f64_e64 s0, v[24:25], v[26:27]
	s_cbranch_vccnz .LBB73_184
; %bb.175:                              ;   in Loop: Header=BB73_114 Depth=1
                                        ; implicit-def: $vgpr28_vgpr29
                                        ; implicit-def: $vgpr30_vgpr31
	s_delay_alu instid0(VALU_DEP_1) | instskip(NEXT) | instid1(SALU_CYCLE_1)
	s_and_saveexec_b32 s1, s0
	s_xor_b32 s6, exec_lo, s1
	s_cbranch_execz .LBB73_181
; %bb.176:                              ;   in Loop: Header=BB73_114 Depth=1
	v_cmp_neq_f64_e32 vcc_lo, 0, v[20:21]
	v_cmp_neq_f64_e64 s1, 0, v[22:23]
                                        ; implicit-def: $vgpr28_vgpr29
                                        ; implicit-def: $vgpr30_vgpr31
	s_delay_alu instid0(VALU_DEP_1) | instskip(NEXT) | instid1(SALU_CYCLE_1)
	s_or_b32 s1, vcc_lo, s1
	s_and_saveexec_b32 s7, s1
	s_delay_alu instid0(SALU_CYCLE_1)
	s_xor_b32 s1, exec_lo, s7
	s_cbranch_execz .LBB73_178
; %bb.177:                              ;   in Loop: Header=BB73_114 Depth=1
	v_div_scale_f64 v[28:29], null, v[20:21], v[20:21], v[22:23]
	v_div_scale_f64 v[38:39], vcc_lo, v[22:23], v[20:21], v[22:23]
	s_delay_alu instid0(VALU_DEP_2) | instskip(SKIP_2) | instid1(VALU_DEP_1)
	v_rcp_f64_e32 v[30:31], v[28:29]
	s_waitcnt_depctr 0xfff
	v_fma_f64 v[36:37], -v[28:29], v[30:31], 1.0
	v_fma_f64 v[30:31], v[30:31], v[36:37], v[30:31]
	s_delay_alu instid0(VALU_DEP_1) | instskip(NEXT) | instid1(VALU_DEP_1)
	v_fma_f64 v[36:37], -v[28:29], v[30:31], 1.0
	v_fma_f64 v[30:31], v[30:31], v[36:37], v[30:31]
	s_delay_alu instid0(VALU_DEP_1) | instskip(NEXT) | instid1(VALU_DEP_1)
	v_mul_f64 v[36:37], v[38:39], v[30:31]
	v_fma_f64 v[28:29], -v[28:29], v[36:37], v[38:39]
	s_delay_alu instid0(VALU_DEP_1) | instskip(NEXT) | instid1(VALU_DEP_1)
	v_div_fmas_f64 v[28:29], v[28:29], v[30:31], v[36:37]
	v_div_fixup_f64 v[28:29], v[28:29], v[20:21], v[22:23]
	s_delay_alu instid0(VALU_DEP_1) | instskip(NEXT) | instid1(VALU_DEP_1)
	v_fma_f64 v[30:31], v[22:23], v[28:29], v[20:21]
	v_div_scale_f64 v[36:37], null, v[30:31], v[30:31], 1.0
	v_div_scale_f64 v[46:47], vcc_lo, 1.0, v[30:31], 1.0
	s_delay_alu instid0(VALU_DEP_2) | instskip(SKIP_2) | instid1(VALU_DEP_1)
	v_rcp_f64_e32 v[38:39], v[36:37]
	s_waitcnt_depctr 0xfff
	v_fma_f64 v[44:45], -v[36:37], v[38:39], 1.0
	v_fma_f64 v[38:39], v[38:39], v[44:45], v[38:39]
	s_delay_alu instid0(VALU_DEP_1) | instskip(NEXT) | instid1(VALU_DEP_1)
	v_fma_f64 v[44:45], -v[36:37], v[38:39], 1.0
	v_fma_f64 v[38:39], v[38:39], v[44:45], v[38:39]
	s_delay_alu instid0(VALU_DEP_1) | instskip(NEXT) | instid1(VALU_DEP_1)
	v_mul_f64 v[44:45], v[46:47], v[38:39]
	v_fma_f64 v[36:37], -v[36:37], v[44:45], v[46:47]
	s_delay_alu instid0(VALU_DEP_1) | instskip(SKIP_2) | instid1(VALU_DEP_3)
	v_div_fmas_f64 v[36:37], v[36:37], v[38:39], v[44:45]
	v_fma_f64 v[38:39], v[18:19], v[28:29], v[16:17]
	v_fma_f64 v[28:29], -v[16:17], v[28:29], v[18:19]
	v_div_fixup_f64 v[36:37], v[36:37], v[30:31], 1.0
	s_delay_alu instid0(VALU_DEP_1) | instskip(NEXT) | instid1(VALU_DEP_3)
	v_mul_f64 v[30:31], v[38:39], v[36:37]
	v_mul_f64 v[28:29], v[28:29], v[36:37]
.LBB73_178:                             ;   in Loop: Header=BB73_114 Depth=1
	s_and_not1_saveexec_b32 s7, s1
	s_cbranch_execz .LBB73_180
; %bb.179:                              ;   in Loop: Header=BB73_114 Depth=1
	v_div_scale_f64 v[28:29], null, v[24:25], v[24:25], v[16:17]
	v_div_scale_f64 v[30:31], null, v[26:27], v[26:27], v[18:19]
	v_div_scale_f64 v[56:57], vcc_lo, v[16:17], v[24:25], v[16:17]
	s_delay_alu instid0(VALU_DEP_3) | instskip(NEXT) | instid1(VALU_DEP_2)
	v_rcp_f64_e32 v[36:37], v[28:29]
	v_rcp_f64_e32 v[38:39], v[30:31]
	s_waitcnt_depctr 0xfff
	v_fma_f64 v[44:45], -v[28:29], v[36:37], 1.0
	v_fma_f64 v[46:47], -v[30:31], v[38:39], 1.0
	s_delay_alu instid0(VALU_DEP_2) | instskip(NEXT) | instid1(VALU_DEP_2)
	v_fma_f64 v[36:37], v[36:37], v[44:45], v[36:37]
	v_fma_f64 v[38:39], v[38:39], v[46:47], v[38:39]
	s_delay_alu instid0(VALU_DEP_2) | instskip(NEXT) | instid1(VALU_DEP_2)
	v_fma_f64 v[44:45], -v[28:29], v[36:37], 1.0
	v_fma_f64 v[46:47], -v[30:31], v[38:39], 1.0
	s_delay_alu instid0(VALU_DEP_2) | instskip(SKIP_1) | instid1(VALU_DEP_3)
	v_fma_f64 v[36:37], v[36:37], v[44:45], v[36:37]
	v_div_scale_f64 v[44:45], s1, v[18:19], v[26:27], v[18:19]
	v_fma_f64 v[38:39], v[38:39], v[46:47], v[38:39]
	s_delay_alu instid0(VALU_DEP_3) | instskip(NEXT) | instid1(VALU_DEP_2)
	v_mul_f64 v[46:47], v[56:57], v[36:37]
	v_mul_f64 v[58:59], v[44:45], v[38:39]
	s_delay_alu instid0(VALU_DEP_2) | instskip(NEXT) | instid1(VALU_DEP_2)
	v_fma_f64 v[28:29], -v[28:29], v[46:47], v[56:57]
	v_fma_f64 v[30:31], -v[30:31], v[58:59], v[44:45]
	s_delay_alu instid0(VALU_DEP_2) | instskip(SKIP_1) | instid1(VALU_DEP_2)
	v_div_fmas_f64 v[28:29], v[28:29], v[36:37], v[46:47]
	s_mov_b32 vcc_lo, s1
	v_div_fmas_f64 v[36:37], v[30:31], v[38:39], v[58:59]
	s_delay_alu instid0(VALU_DEP_2) | instskip(NEXT) | instid1(VALU_DEP_2)
	v_div_fixup_f64 v[30:31], v[28:29], v[24:25], v[16:17]
	v_div_fixup_f64 v[28:29], v[36:37], v[26:27], v[18:19]
.LBB73_180:                             ;   in Loop: Header=BB73_114 Depth=1
	s_or_b32 exec_lo, exec_lo, s7
.LBB73_181:                             ;   in Loop: Header=BB73_114 Depth=1
	s_and_not1_saveexec_b32 s1, s6
	s_cbranch_execz .LBB73_183
; %bb.182:                              ;   in Loop: Header=BB73_114 Depth=1
	v_div_scale_f64 v[28:29], null, v[22:23], v[22:23], v[20:21]
	v_div_scale_f64 v[38:39], vcc_lo, v[20:21], v[22:23], v[20:21]
	s_delay_alu instid0(VALU_DEP_2) | instskip(SKIP_2) | instid1(VALU_DEP_1)
	v_rcp_f64_e32 v[30:31], v[28:29]
	s_waitcnt_depctr 0xfff
	v_fma_f64 v[36:37], -v[28:29], v[30:31], 1.0
	v_fma_f64 v[30:31], v[30:31], v[36:37], v[30:31]
	s_delay_alu instid0(VALU_DEP_1) | instskip(NEXT) | instid1(VALU_DEP_1)
	v_fma_f64 v[36:37], -v[28:29], v[30:31], 1.0
	v_fma_f64 v[30:31], v[30:31], v[36:37], v[30:31]
	s_delay_alu instid0(VALU_DEP_1) | instskip(NEXT) | instid1(VALU_DEP_1)
	v_mul_f64 v[36:37], v[38:39], v[30:31]
	v_fma_f64 v[28:29], -v[28:29], v[36:37], v[38:39]
	s_delay_alu instid0(VALU_DEP_1) | instskip(NEXT) | instid1(VALU_DEP_1)
	v_div_fmas_f64 v[28:29], v[28:29], v[30:31], v[36:37]
	v_div_fixup_f64 v[28:29], v[28:29], v[22:23], v[20:21]
	s_delay_alu instid0(VALU_DEP_1) | instskip(NEXT) | instid1(VALU_DEP_1)
	v_fma_f64 v[30:31], v[20:21], v[28:29], v[22:23]
	v_div_scale_f64 v[36:37], null, v[30:31], v[30:31], 1.0
	v_div_scale_f64 v[46:47], vcc_lo, 1.0, v[30:31], 1.0
	s_delay_alu instid0(VALU_DEP_2) | instskip(SKIP_2) | instid1(VALU_DEP_1)
	v_rcp_f64_e32 v[38:39], v[36:37]
	s_waitcnt_depctr 0xfff
	v_fma_f64 v[44:45], -v[36:37], v[38:39], 1.0
	v_fma_f64 v[38:39], v[38:39], v[44:45], v[38:39]
	s_delay_alu instid0(VALU_DEP_1) | instskip(NEXT) | instid1(VALU_DEP_1)
	v_fma_f64 v[44:45], -v[36:37], v[38:39], 1.0
	v_fma_f64 v[38:39], v[38:39], v[44:45], v[38:39]
	s_delay_alu instid0(VALU_DEP_1) | instskip(NEXT) | instid1(VALU_DEP_1)
	v_mul_f64 v[44:45], v[46:47], v[38:39]
	v_fma_f64 v[36:37], -v[36:37], v[44:45], v[46:47]
	s_delay_alu instid0(VALU_DEP_1) | instskip(SKIP_2) | instid1(VALU_DEP_3)
	v_div_fmas_f64 v[36:37], v[36:37], v[38:39], v[44:45]
	v_fma_f64 v[38:39], v[16:17], v[28:29], v[18:19]
	v_fma_f64 v[28:29], v[18:19], v[28:29], -v[16:17]
	v_div_fixup_f64 v[36:37], v[36:37], v[30:31], 1.0
	s_delay_alu instid0(VALU_DEP_1) | instskip(NEXT) | instid1(VALU_DEP_3)
	v_mul_f64 v[30:31], v[38:39], v[36:37]
	v_mul_f64 v[28:29], v[28:29], v[36:37]
.LBB73_183:                             ;   in Loop: Header=BB73_114 Depth=1
	s_or_b32 exec_lo, exec_lo, s1
	s_delay_alu instid0(VALU_DEP_1) | instskip(SKIP_1) | instid1(VALU_DEP_2)
	v_mul_f64 v[36:37], s[10:11], v[28:29]
	v_mul_f64 v[38:39], s[8:9], v[28:29]
	v_fma_f64 v[28:29], s[8:9], v[30:31], -v[36:37]
	s_delay_alu instid0(VALU_DEP_2)
	v_fma_f64 v[30:31], s[10:11], v[30:31], v[38:39]
	s_branch .LBB73_113
.LBB73_184:                             ;   in Loop: Header=BB73_114 Depth=1
                                        ; implicit-def: $vgpr30_vgpr31
                                        ; implicit-def: $vgpr28_vgpr29
	s_cbranch_execz .LBB73_113
; %bb.185:                              ;   in Loop: Header=BB73_114 Depth=1
                                        ; implicit-def: $vgpr30_vgpr31
                                        ; implicit-def: $vgpr28_vgpr29
	s_delay_alu instid0(VALU_DEP_1) | instskip(NEXT) | instid1(SALU_CYCLE_1)
	s_and_saveexec_b32 s1, s0
	s_xor_b32 s1, exec_lo, s1
	s_cbranch_execz .LBB73_191
; %bb.186:                              ;   in Loop: Header=BB73_114 Depth=1
	v_cmp_neq_f64_e32 vcc_lo, 0, v[20:21]
	v_cmp_neq_f64_e64 s0, 0, v[22:23]
                                        ; implicit-def: $vgpr30_vgpr31
                                        ; implicit-def: $vgpr28_vgpr29
	s_delay_alu instid0(VALU_DEP_1) | instskip(NEXT) | instid1(SALU_CYCLE_1)
	s_or_b32 s0, vcc_lo, s0
	s_and_saveexec_b32 s6, s0
	s_delay_alu instid0(SALU_CYCLE_1)
	s_xor_b32 s0, exec_lo, s6
	s_cbranch_execz .LBB73_188
; %bb.187:                              ;   in Loop: Header=BB73_114 Depth=1
	v_div_scale_f64 v[24:25], null, v[20:21], v[20:21], v[22:23]
	v_div_scale_f64 v[30:31], vcc_lo, v[22:23], v[20:21], v[22:23]
	s_delay_alu instid0(VALU_DEP_2) | instskip(SKIP_2) | instid1(VALU_DEP_1)
	v_rcp_f64_e32 v[26:27], v[24:25]
	s_waitcnt_depctr 0xfff
	v_fma_f64 v[28:29], -v[24:25], v[26:27], 1.0
	v_fma_f64 v[26:27], v[26:27], v[28:29], v[26:27]
	s_delay_alu instid0(VALU_DEP_1) | instskip(NEXT) | instid1(VALU_DEP_1)
	v_fma_f64 v[28:29], -v[24:25], v[26:27], 1.0
	v_fma_f64 v[26:27], v[26:27], v[28:29], v[26:27]
	s_delay_alu instid0(VALU_DEP_1) | instskip(NEXT) | instid1(VALU_DEP_1)
	v_mul_f64 v[28:29], v[30:31], v[26:27]
	v_fma_f64 v[24:25], -v[24:25], v[28:29], v[30:31]
	s_delay_alu instid0(VALU_DEP_1) | instskip(NEXT) | instid1(VALU_DEP_1)
	v_div_fmas_f64 v[24:25], v[24:25], v[26:27], v[28:29]
	v_div_fixup_f64 v[24:25], v[24:25], v[20:21], v[22:23]
	s_delay_alu instid0(VALU_DEP_1) | instskip(NEXT) | instid1(VALU_DEP_1)
	v_fma_f64 v[20:21], v[22:23], v[24:25], v[20:21]
	v_div_scale_f64 v[22:23], null, v[20:21], v[20:21], 1.0
	v_div_scale_f64 v[30:31], vcc_lo, 1.0, v[20:21], 1.0
	s_delay_alu instid0(VALU_DEP_2) | instskip(SKIP_2) | instid1(VALU_DEP_1)
	v_rcp_f64_e32 v[26:27], v[22:23]
	s_waitcnt_depctr 0xfff
	v_fma_f64 v[28:29], -v[22:23], v[26:27], 1.0
	v_fma_f64 v[26:27], v[26:27], v[28:29], v[26:27]
	s_delay_alu instid0(VALU_DEP_1) | instskip(NEXT) | instid1(VALU_DEP_1)
	v_fma_f64 v[28:29], -v[22:23], v[26:27], 1.0
	v_fma_f64 v[26:27], v[26:27], v[28:29], v[26:27]
	s_delay_alu instid0(VALU_DEP_1) | instskip(NEXT) | instid1(VALU_DEP_1)
	v_mul_f64 v[28:29], v[30:31], v[26:27]
	v_fma_f64 v[22:23], -v[22:23], v[28:29], v[30:31]
	s_delay_alu instid0(VALU_DEP_1) | instskip(SKIP_2) | instid1(VALU_DEP_3)
	v_div_fmas_f64 v[22:23], v[22:23], v[26:27], v[28:29]
	v_fma_f64 v[26:27], v[18:19], v[24:25], v[16:17]
	v_fma_f64 v[16:17], -v[16:17], v[24:25], v[18:19]
                                        ; implicit-def: $vgpr24_vgpr25
	v_div_fixup_f64 v[20:21], v[22:23], v[20:21], 1.0
	s_delay_alu instid0(VALU_DEP_1) | instskip(NEXT) | instid1(VALU_DEP_3)
	v_mul_f64 v[28:29], v[26:27], v[20:21]
	v_mul_f64 v[30:31], v[16:17], v[20:21]
                                        ; implicit-def: $vgpr16_vgpr17
                                        ; implicit-def: $vgpr26_vgpr27
.LBB73_188:                             ;   in Loop: Header=BB73_114 Depth=1
	s_and_not1_saveexec_b32 s6, s0
	s_cbranch_execz .LBB73_190
; %bb.189:                              ;   in Loop: Header=BB73_114 Depth=1
	v_div_scale_f64 v[20:21], null, v[24:25], v[24:25], v[16:17]
	v_div_scale_f64 v[22:23], null, v[26:27], v[26:27], v[18:19]
	v_div_scale_f64 v[44:45], vcc_lo, v[16:17], v[24:25], v[16:17]
	s_delay_alu instid0(VALU_DEP_3) | instskip(NEXT) | instid1(VALU_DEP_2)
	v_rcp_f64_e32 v[28:29], v[20:21]
	v_rcp_f64_e32 v[30:31], v[22:23]
	s_waitcnt_depctr 0xfff
	v_fma_f64 v[36:37], -v[20:21], v[28:29], 1.0
	v_fma_f64 v[38:39], -v[22:23], v[30:31], 1.0
	s_delay_alu instid0(VALU_DEP_2) | instskip(NEXT) | instid1(VALU_DEP_2)
	v_fma_f64 v[28:29], v[28:29], v[36:37], v[28:29]
	v_fma_f64 v[30:31], v[30:31], v[38:39], v[30:31]
	s_delay_alu instid0(VALU_DEP_2) | instskip(NEXT) | instid1(VALU_DEP_2)
	v_fma_f64 v[36:37], -v[20:21], v[28:29], 1.0
	v_fma_f64 v[38:39], -v[22:23], v[30:31], 1.0
	s_delay_alu instid0(VALU_DEP_2) | instskip(SKIP_1) | instid1(VALU_DEP_3)
	v_fma_f64 v[28:29], v[28:29], v[36:37], v[28:29]
	v_div_scale_f64 v[36:37], s0, v[18:19], v[26:27], v[18:19]
	v_fma_f64 v[30:31], v[30:31], v[38:39], v[30:31]
	s_delay_alu instid0(VALU_DEP_3) | instskip(NEXT) | instid1(VALU_DEP_2)
	v_mul_f64 v[38:39], v[44:45], v[28:29]
	v_mul_f64 v[46:47], v[36:37], v[30:31]
	s_delay_alu instid0(VALU_DEP_2) | instskip(NEXT) | instid1(VALU_DEP_2)
	v_fma_f64 v[20:21], -v[20:21], v[38:39], v[44:45]
	v_fma_f64 v[22:23], -v[22:23], v[46:47], v[36:37]
	s_delay_alu instid0(VALU_DEP_2) | instskip(SKIP_1) | instid1(VALU_DEP_2)
	v_div_fmas_f64 v[20:21], v[20:21], v[28:29], v[38:39]
	s_mov_b32 vcc_lo, s0
	v_div_fmas_f64 v[22:23], v[22:23], v[30:31], v[46:47]
	s_delay_alu instid0(VALU_DEP_2) | instskip(NEXT) | instid1(VALU_DEP_2)
	v_div_fixup_f64 v[28:29], v[20:21], v[24:25], v[16:17]
	v_div_fixup_f64 v[30:31], v[22:23], v[26:27], v[18:19]
.LBB73_190:                             ;   in Loop: Header=BB73_114 Depth=1
	s_or_b32 exec_lo, exec_lo, s6
                                        ; implicit-def: $vgpr22_vgpr23
                                        ; implicit-def: $vgpr16_vgpr17
.LBB73_191:                             ;   in Loop: Header=BB73_114 Depth=1
	s_and_not1_saveexec_b32 s0, s1
	s_cbranch_execz .LBB73_112
; %bb.192:                              ;   in Loop: Header=BB73_114 Depth=1
	v_div_scale_f64 v[24:25], null, v[22:23], v[22:23], v[20:21]
	v_div_scale_f64 v[30:31], vcc_lo, v[20:21], v[22:23], v[20:21]
	s_delay_alu instid0(VALU_DEP_2) | instskip(SKIP_2) | instid1(VALU_DEP_1)
	v_rcp_f64_e32 v[26:27], v[24:25]
	s_waitcnt_depctr 0xfff
	v_fma_f64 v[28:29], -v[24:25], v[26:27], 1.0
	v_fma_f64 v[26:27], v[26:27], v[28:29], v[26:27]
	s_delay_alu instid0(VALU_DEP_1) | instskip(NEXT) | instid1(VALU_DEP_1)
	v_fma_f64 v[28:29], -v[24:25], v[26:27], 1.0
	v_fma_f64 v[26:27], v[26:27], v[28:29], v[26:27]
	s_delay_alu instid0(VALU_DEP_1) | instskip(NEXT) | instid1(VALU_DEP_1)
	v_mul_f64 v[28:29], v[30:31], v[26:27]
	v_fma_f64 v[24:25], -v[24:25], v[28:29], v[30:31]
	s_delay_alu instid0(VALU_DEP_1) | instskip(NEXT) | instid1(VALU_DEP_1)
	v_div_fmas_f64 v[24:25], v[24:25], v[26:27], v[28:29]
	v_div_fixup_f64 v[24:25], v[24:25], v[22:23], v[20:21]
	s_delay_alu instid0(VALU_DEP_1) | instskip(NEXT) | instid1(VALU_DEP_1)
	v_fma_f64 v[20:21], v[20:21], v[24:25], v[22:23]
	v_div_scale_f64 v[22:23], null, v[20:21], v[20:21], 1.0
	v_div_scale_f64 v[30:31], vcc_lo, 1.0, v[20:21], 1.0
	s_delay_alu instid0(VALU_DEP_2) | instskip(SKIP_2) | instid1(VALU_DEP_1)
	v_rcp_f64_e32 v[26:27], v[22:23]
	s_waitcnt_depctr 0xfff
	v_fma_f64 v[28:29], -v[22:23], v[26:27], 1.0
	v_fma_f64 v[26:27], v[26:27], v[28:29], v[26:27]
	s_delay_alu instid0(VALU_DEP_1) | instskip(NEXT) | instid1(VALU_DEP_1)
	v_fma_f64 v[28:29], -v[22:23], v[26:27], 1.0
	v_fma_f64 v[26:27], v[26:27], v[28:29], v[26:27]
	s_delay_alu instid0(VALU_DEP_1) | instskip(NEXT) | instid1(VALU_DEP_1)
	v_mul_f64 v[28:29], v[30:31], v[26:27]
	v_fma_f64 v[22:23], -v[22:23], v[28:29], v[30:31]
	s_delay_alu instid0(VALU_DEP_1) | instskip(SKIP_2) | instid1(VALU_DEP_3)
	v_div_fmas_f64 v[22:23], v[22:23], v[26:27], v[28:29]
	v_fma_f64 v[26:27], v[16:17], v[24:25], v[18:19]
	v_fma_f64 v[16:17], v[18:19], v[24:25], -v[16:17]
	v_div_fixup_f64 v[20:21], v[22:23], v[20:21], 1.0
	s_delay_alu instid0(VALU_DEP_1) | instskip(NEXT) | instid1(VALU_DEP_3)
	v_mul_f64 v[28:29], v[26:27], v[20:21]
	v_mul_f64 v[30:31], v[16:17], v[20:21]
	s_branch .LBB73_112
.LBB73_193:
	s_nop 0
	s_sendmsg sendmsg(MSG_DEALLOC_VGPRS)
	s_endpgm
	.section	.rodata,"a",@progbits
	.p2align	6, 0x0
	.amdhsa_kernel _ZN2at6native12_GLOBAL__N_125multi_tensor_apply_kernelINS1_18TensorListMetadataILi3EEENS1_24PointwiseOpScalarFunctorIN3c107complexIdEELi3ELi3ELi0EEEJSt7dividesIS8_ES8_EEEvT_T0_DpT1_
		.amdhsa_group_segment_fixed_size 0
		.amdhsa_private_segment_fixed_size 0
		.amdhsa_kernarg_size 3424
		.amdhsa_user_sgpr_count 15
		.amdhsa_user_sgpr_dispatch_ptr 0
		.amdhsa_user_sgpr_queue_ptr 0
		.amdhsa_user_sgpr_kernarg_segment_ptr 1
		.amdhsa_user_sgpr_dispatch_id 0
		.amdhsa_user_sgpr_private_segment_size 0
		.amdhsa_wavefront_size32 1
		.amdhsa_uses_dynamic_stack 0
		.amdhsa_enable_private_segment 0
		.amdhsa_system_sgpr_workgroup_id_x 1
		.amdhsa_system_sgpr_workgroup_id_y 0
		.amdhsa_system_sgpr_workgroup_id_z 0
		.amdhsa_system_sgpr_workgroup_info 0
		.amdhsa_system_vgpr_workitem_id 0
		.amdhsa_next_free_vgpr 95
		.amdhsa_next_free_sgpr 35
		.amdhsa_reserve_vcc 1
		.amdhsa_float_round_mode_32 0
		.amdhsa_float_round_mode_16_64 0
		.amdhsa_float_denorm_mode_32 3
		.amdhsa_float_denorm_mode_16_64 3
		.amdhsa_dx10_clamp 1
		.amdhsa_ieee_mode 1
		.amdhsa_fp16_overflow 0
		.amdhsa_workgroup_processor_mode 1
		.amdhsa_memory_ordered 1
		.amdhsa_forward_progress 0
		.amdhsa_shared_vgpr_count 0
		.amdhsa_exception_fp_ieee_invalid_op 0
		.amdhsa_exception_fp_denorm_src 0
		.amdhsa_exception_fp_ieee_div_zero 0
		.amdhsa_exception_fp_ieee_overflow 0
		.amdhsa_exception_fp_ieee_underflow 0
		.amdhsa_exception_fp_ieee_inexact 0
		.amdhsa_exception_int_div_zero 0
	.end_amdhsa_kernel
	.section	.text._ZN2at6native12_GLOBAL__N_125multi_tensor_apply_kernelINS1_18TensorListMetadataILi3EEENS1_24PointwiseOpScalarFunctorIN3c107complexIdEELi3ELi3ELi0EEEJSt7dividesIS8_ES8_EEEvT_T0_DpT1_,"axG",@progbits,_ZN2at6native12_GLOBAL__N_125multi_tensor_apply_kernelINS1_18TensorListMetadataILi3EEENS1_24PointwiseOpScalarFunctorIN3c107complexIdEELi3ELi3ELi0EEEJSt7dividesIS8_ES8_EEEvT_T0_DpT1_,comdat
.Lfunc_end73:
	.size	_ZN2at6native12_GLOBAL__N_125multi_tensor_apply_kernelINS1_18TensorListMetadataILi3EEENS1_24PointwiseOpScalarFunctorIN3c107complexIdEELi3ELi3ELi0EEEJSt7dividesIS8_ES8_EEEvT_T0_DpT1_, .Lfunc_end73-_ZN2at6native12_GLOBAL__N_125multi_tensor_apply_kernelINS1_18TensorListMetadataILi3EEENS1_24PointwiseOpScalarFunctorIN3c107complexIdEELi3ELi3ELi0EEEJSt7dividesIS8_ES8_EEEvT_T0_DpT1_
                                        ; -- End function
	.section	.AMDGPU.csdata,"",@progbits
; Kernel info:
; codeLenInByte = 15880
; NumSgprs: 37
; NumVgprs: 95
; ScratchSize: 0
; MemoryBound: 1
; FloatMode: 240
; IeeeMode: 1
; LDSByteSize: 0 bytes/workgroup (compile time only)
; SGPRBlocks: 4
; VGPRBlocks: 11
; NumSGPRsForWavesPerEU: 37
; NumVGPRsForWavesPerEU: 95
; Occupancy: 16
; WaveLimiterHint : 0
; COMPUTE_PGM_RSRC2:SCRATCH_EN: 0
; COMPUTE_PGM_RSRC2:USER_SGPR: 15
; COMPUTE_PGM_RSRC2:TRAP_HANDLER: 0
; COMPUTE_PGM_RSRC2:TGID_X_EN: 1
; COMPUTE_PGM_RSRC2:TGID_Y_EN: 0
; COMPUTE_PGM_RSRC2:TGID_Z_EN: 0
; COMPUTE_PGM_RSRC2:TIDIG_COMP_CNT: 0
	.section	.text._ZN2at6native12_GLOBAL__N_125multi_tensor_apply_kernelINS1_18TensorListMetadataILi3EEENS1_24PointwiseOpScalarFunctorIN3c107complexIfEELi3ELi3ELi0EEEJSt7dividesIS8_ES8_EEEvT_T0_DpT1_,"axG",@progbits,_ZN2at6native12_GLOBAL__N_125multi_tensor_apply_kernelINS1_18TensorListMetadataILi3EEENS1_24PointwiseOpScalarFunctorIN3c107complexIfEELi3ELi3ELi0EEEJSt7dividesIS8_ES8_EEEvT_T0_DpT1_,comdat
	.globl	_ZN2at6native12_GLOBAL__N_125multi_tensor_apply_kernelINS1_18TensorListMetadataILi3EEENS1_24PointwiseOpScalarFunctorIN3c107complexIfEELi3ELi3ELi0EEEJSt7dividesIS8_ES8_EEEvT_T0_DpT1_ ; -- Begin function _ZN2at6native12_GLOBAL__N_125multi_tensor_apply_kernelINS1_18TensorListMetadataILi3EEENS1_24PointwiseOpScalarFunctorIN3c107complexIfEELi3ELi3ELi0EEEJSt7dividesIS8_ES8_EEEvT_T0_DpT1_
	.p2align	8
	.type	_ZN2at6native12_GLOBAL__N_125multi_tensor_apply_kernelINS1_18TensorListMetadataILi3EEENS1_24PointwiseOpScalarFunctorIN3c107complexIfEELi3ELi3ELi0EEEJSt7dividesIS8_ES8_EEEvT_T0_DpT1_,@function
_ZN2at6native12_GLOBAL__N_125multi_tensor_apply_kernelINS1_18TensorListMetadataILi3EEENS1_24PointwiseOpScalarFunctorIN3c107complexIfEELi3ELi3ELi0EEEJSt7dividesIS8_ES8_EEEvT_T0_DpT1_: ; @_ZN2at6native12_GLOBAL__N_125multi_tensor_apply_kernelINS1_18TensorListMetadataILi3EEENS1_24PointwiseOpScalarFunctorIN3c107complexIfEELi3ELi3ELi0EEEJSt7dividesIS8_ES8_EEEvT_T0_DpT1_
; %bb.0:
	v_mov_b32_e32 v1, s15
	s_add_u32 s2, s0, s15
	s_mul_hi_u32 s3, s15, 3
	s_mul_i32 s15, s15, 3
	s_addc_u32 s4, s1, 0
	global_load_u8 v1, v1, s[0:1] offset:1536
	s_add_u32 s2, s2, s15
	s_addc_u32 s3, s4, s3
	s_mov_b32 s17, 0
	s_load_b32 s10, s[2:3], 0x740
	s_waitcnt lgkmcnt(0)
	s_ashr_i32 s11, s10, 31
	s_delay_alu instid0(SALU_CYCLE_1) | instskip(SKIP_2) | instid1(VALU_DEP_1)
	s_lshl_b64 s[12:13], s[10:11], 19
	s_waitcnt vmcnt(0)
	v_readfirstlane_b32 s2, v1
	s_lshl_b32 s8, s2, 3
	s_clause 0x3
	s_load_b64 s[2:3], s[0:1], s8 offset:0x0
	s_load_b64 s[4:5], s[0:1], s8 offset:0x180
	;; [unrolled: 1-line block ×4, first 2 shown]
	s_waitcnt lgkmcnt(0)
	s_add_u32 s18, s2, s12
	s_addc_u32 s19, s3, s13
	s_add_u32 s20, s4, s12
	s_addc_u32 s21, s5, s13
	;; [unrolled: 2-line block ×3, first 2 shown]
	s_or_b32 s8, s22, s20
	s_and_b32 s16, s18, 31
	s_and_b32 s8, s8, 31
	s_delay_alu instid0(SALU_CYCLE_1) | instskip(SKIP_3) | instid1(SALU_CYCLE_1)
	s_cmp_eq_u32 s8, 0
	s_load_b64 s[8:9], s[0:1], 0xc50
	s_cselect_b32 s24, -1, 0
	s_lshl_b64 s[10:11], s[10:11], 16
	s_sub_u32 s10, s14, s10
	s_subb_u32 s11, s15, s11
	s_and_b32 s14, s14, 3
	s_mov_b32 s15, s17
	s_delay_alu instid0(SALU_CYCLE_1) | instskip(NEXT) | instid1(SALU_CYCLE_1)
	s_or_b64 s[14:15], s[16:17], s[14:15]
	s_cmp_eq_u64 s[14:15], 0
	s_cselect_b32 s14, -1, 0
	s_delay_alu instid0(SALU_CYCLE_1) | instskip(NEXT) | instid1(SALU_CYCLE_1)
	s_and_b32 s14, s24, s14
	s_and_b32 vcc_lo, exec_lo, s14
	s_mov_b32 s14, -1
	s_cbranch_vccnz .LBB74_109
; %bb.1:
	v_cmp_lt_i64_e64 s14, s[10:11], 1
	s_delay_alu instid0(VALU_DEP_1)
	s_and_b32 vcc_lo, exec_lo, s14
	s_cbranch_vccnz .LBB74_108
; %bb.2:
	s_load_b32 s14, s[0:1], 0xc64
	v_dual_mov_b32 v2, 0 :: v_dual_lshlrev_b32 v1, 3, v0
	v_cmp_gt_u64_e64 s15, 0x10000, s[10:11]
	s_waitcnt lgkmcnt(0)
	v_cmp_neq_f32_e64 s16, s8, 1.0
	s_delay_alu instid0(VALU_DEP_3) | instskip(NEXT) | instid1(VALU_DEP_1)
	v_add_co_u32 v25, s17, s2, v1
	v_add_co_ci_u32_e64 v26, null, s3, 0, s17
	v_add_co_u32 v27, s17, s4, v1
	s_delay_alu instid0(VALU_DEP_1)
	v_add_co_ci_u32_e64 v28, null, s5, 0, s17
	s_and_b32 s17, s14, 0xffff
	s_and_b32 s14, s15, exec_lo
	v_mad_u64_u32 v[3:4], null, s17, 24, v[1:2]
	s_cselect_b32 s15, s11, 0
	s_cselect_b32 s14, s10, 0x10000
	s_and_b32 s24, s9, 0x7fffffff
	s_lshl_b32 s25, s17, 1
	s_cmp_lg_u32 s24, 0
	v_add_co_u32 v29, s24, s6, v1
	s_delay_alu instid0(VALU_DEP_1)
	v_add_co_ci_u32_e64 v30, null, s7, 0, s24
	s_cselect_b32 s24, -1, 0
	v_add_co_u32 v31, vcc_lo, s2, v3
	s_or_b32 s24, s16, s24
	v_add_co_ci_u32_e32 v32, vcc_lo, s3, v4, vcc_lo
	s_lshl_b32 s16, s17, 4
	v_add_co_u32 v33, vcc_lo, s4, v3
	v_add_co_u32 v1, s16, s16, v1
	v_add_co_ci_u32_e32 v34, vcc_lo, s5, v4, vcc_lo
	s_mul_i32 s26, s17, 3
	v_add_co_u32 v35, vcc_lo, s6, v3
	v_add_co_ci_u32_e64 v2, null, 0, 0, s16
	v_add_co_ci_u32_e32 v36, vcc_lo, s7, v4, vcc_lo
	v_add_co_u32 v37, s16, s26, v0
	v_add_co_u32 v39, vcc_lo, s2, v1
	v_add_co_ci_u32_e64 v38, null, 0, 0, s16
	v_add_co_u32 v43, s16, v0, s17
	v_add_co_ci_u32_e32 v40, vcc_lo, s3, v2, vcc_lo
	v_add_co_u32 v41, vcc_lo, s4, v1
	v_add_co_ci_u32_e32 v42, vcc_lo, s5, v2, vcc_lo
	v_add_co_u32 v44, vcc_lo, s6, v1
	v_lshlrev_b32_e32 v1, 3, v43
	v_add_co_ci_u32_e64 v46, null, 0, 0, s16
	v_add_co_u32 v47, s16, s25, v0
	s_delay_alu instid0(VALU_DEP_3) | instskip(NEXT) | instid1(VALU_DEP_1)
	v_add_co_u32 v49, s2, s2, v1
	v_add_co_ci_u32_e64 v50, null, s3, 0, s2
	v_add_co_u32 v51, s2, s4, v1
	s_delay_alu instid0(VALU_DEP_1)
	v_add_co_ci_u32_e64 v52, null, s5, 0, s2
	v_add_co_u32 v53, s2, s6, v1
	v_add_co_ci_u32_e32 v45, vcc_lo, s7, v2, vcc_lo
	v_add_co_ci_u32_e64 v48, null, 0, 0, s16
	v_add_co_ci_u32_e64 v54, null, s7, 0, s2
	s_lshl_b32 s25, s17, 2
	s_lshl_b32 s26, s17, 5
	s_mov_b64 s[16:17], 0
	s_branch .LBB74_4
.LBB74_3:                               ;   in Loop: Header=BB74_4 Depth=1
	s_or_b32 exec_lo, exec_lo, s2
	v_add_co_u32 v25, vcc_lo, v25, s26
	v_add_co_ci_u32_e32 v26, vcc_lo, 0, v26, vcc_lo
	v_add_co_u32 v27, vcc_lo, v27, s26
	v_add_co_ci_u32_e32 v28, vcc_lo, 0, v28, vcc_lo
	;; [unrolled: 2-line block ×9, first 2 shown]
	s_add_u32 s16, s16, s25
	v_add_co_u32 v49, vcc_lo, v49, s26
	s_addc_u32 s17, s17, 0
	v_add_co_ci_u32_e32 v50, vcc_lo, 0, v50, vcc_lo
	v_cmp_ge_i64_e64 s2, s[16:17], s[10:11]
	v_cmp_lt_u64_e64 s3, 0xffff, s[16:17]
	v_add_co_u32 v51, vcc_lo, v51, s26
	v_add_co_ci_u32_e32 v52, vcc_lo, 0, v52, vcc_lo
	v_add_co_u32 v53, vcc_lo, v53, s26
	v_add_co_ci_u32_e32 v54, vcc_lo, 0, v54, vcc_lo
	s_or_b32 s2, s2, s3
	s_delay_alu instid0(SALU_CYCLE_1)
	s_and_b32 vcc_lo, exec_lo, s2
	s_cbranch_vccnz .LBB74_108
.LBB74_4:                               ; =>This Inner Loop Header: Depth=1
	v_add_co_u32 v1, s2, v0, s16
	s_delay_alu instid0(VALU_DEP_1) | instskip(SKIP_1) | instid1(VALU_DEP_2)
	v_add_co_ci_u32_e64 v2, null, 0, s17, s2
	v_dual_mov_b32 v22, 0 :: v_dual_mov_b32 v21, 0
	v_cmp_gt_u64_e64 s2, s[14:15], v[1:2]
	v_dual_mov_b32 v2, 0 :: v_dual_mov_b32 v1, 0
	s_delay_alu instid0(VALU_DEP_2)
	s_and_saveexec_b32 s3, s2
	s_cbranch_execz .LBB74_6
; %bb.5:                                ;   in Loop: Header=BB74_4 Depth=1
	v_add_co_u32 v1, vcc_lo, v25, s12
	v_add_co_ci_u32_e32 v2, vcc_lo, s13, v26, vcc_lo
	v_add_co_u32 v3, vcc_lo, v27, s12
	v_add_co_ci_u32_e32 v4, vcc_lo, s13, v28, vcc_lo
	global_load_b64 v[1:2], v[1:2], off
	global_load_b64 v[21:22], v[3:4], off
.LBB74_6:                               ;   in Loop: Header=BB74_4 Depth=1
	s_or_b32 exec_lo, exec_lo, s3
	v_dual_mov_b32 v18, 0 :: v_dual_mov_b32 v23, 0
	v_mov_b32_e32 v24, 0
	s_and_saveexec_b32 s3, s2
	s_cbranch_execz .LBB74_8
; %bb.7:                                ;   in Loop: Header=BB74_4 Depth=1
	v_add_co_u32 v3, vcc_lo, v29, s12
	v_add_co_ci_u32_e32 v4, vcc_lo, s13, v30, vcc_lo
	global_load_b64 v[23:24], v[3:4], off
.LBB74_8:                               ;   in Loop: Header=BB74_4 Depth=1
	s_or_b32 exec_lo, exec_lo, s3
	v_add_co_u32 v3, vcc_lo, v43, s16
	v_add_co_ci_u32_e32 v4, vcc_lo, s17, v46, vcc_lo
	v_mov_b32_e32 v17, 0
	s_delay_alu instid0(VALU_DEP_2) | instskip(SKIP_1) | instid1(VALU_DEP_2)
	v_cmp_gt_u64_e64 s3, s[14:15], v[3:4]
	v_dual_mov_b32 v4, 0 :: v_dual_mov_b32 v3, 0
	s_and_saveexec_b32 s4, s3
	s_cbranch_execz .LBB74_10
; %bb.9:                                ;   in Loop: Header=BB74_4 Depth=1
	v_add_co_u32 v3, vcc_lo, v49, s12
	v_add_co_ci_u32_e32 v4, vcc_lo, s13, v50, vcc_lo
	v_add_co_u32 v5, vcc_lo, v51, s12
	v_add_co_ci_u32_e32 v6, vcc_lo, s13, v52, vcc_lo
	global_load_b64 v[3:4], v[3:4], off
	global_load_b64 v[17:18], v[5:6], off
.LBB74_10:                              ;   in Loop: Header=BB74_4 Depth=1
	s_or_b32 exec_lo, exec_lo, s4
	v_dual_mov_b32 v14, 0 :: v_dual_mov_b32 v19, 0
	v_mov_b32_e32 v20, 0
	s_and_saveexec_b32 s4, s3
	s_cbranch_execz .LBB74_12
; %bb.11:                               ;   in Loop: Header=BB74_4 Depth=1
	v_add_co_u32 v5, vcc_lo, v53, s12
	v_add_co_ci_u32_e32 v6, vcc_lo, s13, v54, vcc_lo
	global_load_b64 v[19:20], v[5:6], off
.LBB74_12:                              ;   in Loop: Header=BB74_4 Depth=1
	s_or_b32 exec_lo, exec_lo, s4
	v_add_co_u32 v5, vcc_lo, v47, s16
	v_add_co_ci_u32_e32 v6, vcc_lo, s17, v48, vcc_lo
	v_mov_b32_e32 v13, 0
	s_delay_alu instid0(VALU_DEP_2) | instskip(SKIP_1) | instid1(VALU_DEP_2)
	v_cmp_gt_u64_e64 s4, s[14:15], v[5:6]
	v_dual_mov_b32 v6, 0 :: v_dual_mov_b32 v5, 0
	s_and_saveexec_b32 s5, s4
	s_cbranch_execz .LBB74_14
; %bb.13:                               ;   in Loop: Header=BB74_4 Depth=1
	v_add_co_u32 v5, vcc_lo, v39, s12
	v_add_co_ci_u32_e32 v6, vcc_lo, s13, v40, vcc_lo
	v_add_co_u32 v7, vcc_lo, v41, s12
	v_add_co_ci_u32_e32 v8, vcc_lo, s13, v42, vcc_lo
	global_load_b64 v[5:6], v[5:6], off
	global_load_b64 v[13:14], v[7:8], off
.LBB74_14:                              ;   in Loop: Header=BB74_4 Depth=1
	s_or_b32 exec_lo, exec_lo, s5
	v_dual_mov_b32 v10, 0 :: v_dual_mov_b32 v15, 0
	v_mov_b32_e32 v16, 0
	s_and_saveexec_b32 s5, s4
	s_cbranch_execz .LBB74_16
; %bb.15:                               ;   in Loop: Header=BB74_4 Depth=1
	v_add_co_u32 v7, vcc_lo, v44, s12
	v_add_co_ci_u32_e32 v8, vcc_lo, s13, v45, vcc_lo
	global_load_b64 v[15:16], v[7:8], off
.LBB74_16:                              ;   in Loop: Header=BB74_4 Depth=1
	s_or_b32 exec_lo, exec_lo, s5
	v_add_co_u32 v7, vcc_lo, v37, s16
	v_add_co_ci_u32_e32 v8, vcc_lo, s17, v38, vcc_lo
	v_mov_b32_e32 v9, 0
	s_delay_alu instid0(VALU_DEP_2) | instskip(SKIP_1) | instid1(VALU_DEP_2)
	v_cmp_gt_u64_e64 s5, s[14:15], v[7:8]
	v_dual_mov_b32 v8, 0 :: v_dual_mov_b32 v7, 0
	s_and_saveexec_b32 s6, s5
	s_cbranch_execz .LBB74_18
; %bb.17:                               ;   in Loop: Header=BB74_4 Depth=1
	v_add_co_u32 v7, vcc_lo, v31, s12
	v_add_co_ci_u32_e32 v8, vcc_lo, s13, v32, vcc_lo
	v_add_co_u32 v9, vcc_lo, v33, s12
	v_add_co_ci_u32_e32 v10, vcc_lo, s13, v34, vcc_lo
	global_load_b64 v[7:8], v[7:8], off
	global_load_b64 v[9:10], v[9:10], off
.LBB74_18:                              ;   in Loop: Header=BB74_4 Depth=1
	s_or_b32 exec_lo, exec_lo, s6
	v_dual_mov_b32 v12, 0 :: v_dual_mov_b32 v11, 0
	s_and_saveexec_b32 s6, s5
	s_cbranch_execz .LBB74_20
; %bb.19:                               ;   in Loop: Header=BB74_4 Depth=1
	v_add_co_u32 v11, vcc_lo, v35, s12
	v_add_co_ci_u32_e32 v12, vcc_lo, s13, v36, vcc_lo
	global_load_b64 v[11:12], v[11:12], off
.LBB74_20:                              ;   in Loop: Header=BB74_4 Depth=1
	s_or_b32 exec_lo, exec_lo, s6
	s_waitcnt vmcnt(0)
	v_cmp_gt_f32_e32 vcc_lo, 0, v23
	v_cndmask_b32_e64 v57, v23, -v23, vcc_lo
	v_cmp_gt_f32_e32 vcc_lo, 0, v24
	v_cndmask_b32_e64 v58, v24, -v24, vcc_lo
	s_and_b32 vcc_lo, exec_lo, s24
	s_delay_alu instid0(VALU_DEP_1)
	v_cmp_ge_f32_e64 s6, v57, v58
	s_cbranch_vccz .LBB74_30
; %bb.21:                               ;   in Loop: Header=BB74_4 Depth=1
                                        ; implicit-def: $vgpr55
                                        ; implicit-def: $vgpr59
	s_delay_alu instid0(VALU_DEP_1) | instskip(NEXT) | instid1(SALU_CYCLE_1)
	s_and_saveexec_b32 s7, s6
	s_xor_b32 s27, exec_lo, s7
	s_cbranch_execz .LBB74_27
; %bb.22:                               ;   in Loop: Header=BB74_4 Depth=1
	v_cmp_neq_f32_e32 vcc_lo, 0, v23
	v_cmp_neq_f32_e64 s7, 0, v24
                                        ; implicit-def: $vgpr55
                                        ; implicit-def: $vgpr59
	s_delay_alu instid0(VALU_DEP_1) | instskip(NEXT) | instid1(SALU_CYCLE_1)
	s_or_b32 s7, s7, vcc_lo
	s_and_saveexec_b32 s28, s7
	s_delay_alu instid0(SALU_CYCLE_1)
	s_xor_b32 s7, exec_lo, s28
	s_cbranch_execz .LBB74_24
; %bb.23:                               ;   in Loop: Header=BB74_4 Depth=1
	v_div_scale_f32 v55, null, v23, v23, v24
	v_div_scale_f32 v60, vcc_lo, v24, v23, v24
	s_delay_alu instid0(VALU_DEP_2) | instskip(SKIP_2) | instid1(VALU_DEP_1)
	v_rcp_f32_e32 v56, v55
	s_waitcnt_depctr 0xfff
	v_fma_f32 v59, -v55, v56, 1.0
	v_fmac_f32_e32 v56, v59, v56
	s_delay_alu instid0(VALU_DEP_1) | instskip(NEXT) | instid1(VALU_DEP_1)
	v_mul_f32_e32 v59, v60, v56
	v_fma_f32 v61, -v55, v59, v60
	s_delay_alu instid0(VALU_DEP_1) | instskip(NEXT) | instid1(VALU_DEP_1)
	v_fmac_f32_e32 v59, v61, v56
	v_fma_f32 v55, -v55, v59, v60
	s_delay_alu instid0(VALU_DEP_1) | instskip(NEXT) | instid1(VALU_DEP_1)
	v_div_fmas_f32 v55, v55, v56, v59
	v_div_fixup_f32 v55, v55, v23, v24
	s_delay_alu instid0(VALU_DEP_1) | instskip(NEXT) | instid1(VALU_DEP_1)
	v_fma_f32 v56, v24, v55, v23
	v_div_scale_f32 v59, null, v56, v56, 1.0
	v_div_scale_f32 v62, vcc_lo, 1.0, v56, 1.0
	s_delay_alu instid0(VALU_DEP_2) | instskip(SKIP_2) | instid1(VALU_DEP_1)
	v_rcp_f32_e32 v60, v59
	s_waitcnt_depctr 0xfff
	v_fma_f32 v61, -v59, v60, 1.0
	v_fmac_f32_e32 v60, v61, v60
	s_delay_alu instid0(VALU_DEP_1) | instskip(NEXT) | instid1(VALU_DEP_1)
	v_mul_f32_e32 v61, v62, v60
	v_fma_f32 v63, -v59, v61, v62
	s_delay_alu instid0(VALU_DEP_1) | instskip(NEXT) | instid1(VALU_DEP_1)
	v_fmac_f32_e32 v61, v63, v60
	v_fma_f32 v59, -v59, v61, v62
	s_delay_alu instid0(VALU_DEP_1) | instskip(SKIP_2) | instid1(VALU_DEP_3)
	v_div_fmas_f32 v59, v59, v60, v61
	v_fma_f32 v60, v22, v55, v21
	v_fma_f32 v55, -v21, v55, v22
	v_div_fixup_f32 v56, v59, v56, 1.0
	s_delay_alu instid0(VALU_DEP_1) | instskip(NEXT) | instid1(VALU_DEP_3)
	v_mul_f32_e32 v59, v60, v56
	v_mul_f32_e32 v55, v55, v56
.LBB74_24:                              ;   in Loop: Header=BB74_4 Depth=1
	s_and_not1_saveexec_b32 s28, s7
	s_cbranch_execz .LBB74_26
; %bb.25:                               ;   in Loop: Header=BB74_4 Depth=1
	v_div_scale_f32 v55, null, v57, v57, v21
	v_div_scale_f32 v56, null, v58, v58, v22
	v_div_scale_f32 v63, vcc_lo, v21, v57, v21
	s_delay_alu instid0(VALU_DEP_3) | instskip(NEXT) | instid1(VALU_DEP_2)
	v_rcp_f32_e32 v59, v55
	v_rcp_f32_e32 v60, v56
	s_waitcnt_depctr 0xfff
	v_fma_f32 v61, -v55, v59, 1.0
	v_fma_f32 v62, -v56, v60, 1.0
	s_delay_alu instid0(VALU_DEP_1) | instskip(SKIP_1) | instid1(VALU_DEP_2)
	v_dual_fmac_f32 v59, v61, v59 :: v_dual_fmac_f32 v60, v62, v60
	v_div_scale_f32 v61, s7, v22, v58, v22
	v_mul_f32_e32 v62, v63, v59
	s_delay_alu instid0(VALU_DEP_2) | instskip(NEXT) | instid1(VALU_DEP_2)
	v_mul_f32_e32 v64, v61, v60
	v_fma_f32 v65, -v55, v62, v63
	s_delay_alu instid0(VALU_DEP_2) | instskip(NEXT) | instid1(VALU_DEP_2)
	v_fma_f32 v66, -v56, v64, v61
	v_fmac_f32_e32 v62, v65, v59
	s_delay_alu instid0(VALU_DEP_2) | instskip(NEXT) | instid1(VALU_DEP_2)
	v_fmac_f32_e32 v64, v66, v60
	v_fma_f32 v55, -v55, v62, v63
	s_delay_alu instid0(VALU_DEP_2) | instskip(NEXT) | instid1(VALU_DEP_2)
	v_fma_f32 v56, -v56, v64, v61
	v_div_fmas_f32 v55, v55, v59, v62
	s_mov_b32 vcc_lo, s7
	s_delay_alu instid0(VALU_DEP_2) | instskip(NEXT) | instid1(VALU_DEP_2)
	v_div_fmas_f32 v56, v56, v60, v64
	v_div_fixup_f32 v59, v55, v57, v21
	s_delay_alu instid0(VALU_DEP_2)
	v_div_fixup_f32 v55, v56, v58, v22
.LBB74_26:                              ;   in Loop: Header=BB74_4 Depth=1
	s_or_b32 exec_lo, exec_lo, s28
.LBB74_27:                              ;   in Loop: Header=BB74_4 Depth=1
	s_and_not1_saveexec_b32 s7, s27
	s_cbranch_execz .LBB74_29
; %bb.28:                               ;   in Loop: Header=BB74_4 Depth=1
	v_div_scale_f32 v55, null, v24, v24, v23
	v_div_scale_f32 v60, vcc_lo, v23, v24, v23
	s_delay_alu instid0(VALU_DEP_2) | instskip(SKIP_2) | instid1(VALU_DEP_1)
	v_rcp_f32_e32 v56, v55
	s_waitcnt_depctr 0xfff
	v_fma_f32 v59, -v55, v56, 1.0
	v_fmac_f32_e32 v56, v59, v56
	s_delay_alu instid0(VALU_DEP_1) | instskip(NEXT) | instid1(VALU_DEP_1)
	v_mul_f32_e32 v59, v60, v56
	v_fma_f32 v61, -v55, v59, v60
	s_delay_alu instid0(VALU_DEP_1) | instskip(NEXT) | instid1(VALU_DEP_1)
	v_fmac_f32_e32 v59, v61, v56
	v_fma_f32 v55, -v55, v59, v60
	s_delay_alu instid0(VALU_DEP_1) | instskip(NEXT) | instid1(VALU_DEP_1)
	v_div_fmas_f32 v55, v55, v56, v59
	v_div_fixup_f32 v55, v55, v24, v23
	s_delay_alu instid0(VALU_DEP_1) | instskip(NEXT) | instid1(VALU_DEP_1)
	v_fma_f32 v56, v23, v55, v24
	v_div_scale_f32 v59, null, v56, v56, 1.0
	v_div_scale_f32 v62, vcc_lo, 1.0, v56, 1.0
	s_delay_alu instid0(VALU_DEP_2) | instskip(SKIP_2) | instid1(VALU_DEP_1)
	v_rcp_f32_e32 v60, v59
	s_waitcnt_depctr 0xfff
	v_fma_f32 v61, -v59, v60, 1.0
	v_fmac_f32_e32 v60, v61, v60
	s_delay_alu instid0(VALU_DEP_1) | instskip(NEXT) | instid1(VALU_DEP_1)
	v_mul_f32_e32 v61, v62, v60
	v_fma_f32 v63, -v59, v61, v62
	s_delay_alu instid0(VALU_DEP_1) | instskip(NEXT) | instid1(VALU_DEP_1)
	v_fmac_f32_e32 v61, v63, v60
	v_fma_f32 v59, -v59, v61, v62
	s_delay_alu instid0(VALU_DEP_1) | instskip(SKIP_2) | instid1(VALU_DEP_3)
	v_div_fmas_f32 v59, v59, v60, v61
	v_fma_f32 v60, v21, v55, v22
	v_fma_f32 v55, v22, v55, -v21
	v_div_fixup_f32 v56, v59, v56, 1.0
	s_delay_alu instid0(VALU_DEP_1) | instskip(NEXT) | instid1(VALU_DEP_3)
	v_mul_f32_e32 v59, v60, v56
	v_mul_f32_e32 v55, v55, v56
.LBB74_29:                              ;   in Loop: Header=BB74_4 Depth=1
	s_or_b32 exec_lo, exec_lo, s7
	s_delay_alu instid0(VALU_DEP_1) | instskip(SKIP_1) | instid1(VALU_DEP_2)
	v_mul_f32_e32 v56, s9, v55
	v_mul_f32_e32 v55, s8, v55
	v_fma_f32 v56, v59, s8, -v56
	s_delay_alu instid0(VALU_DEP_2)
	v_fmac_f32_e32 v55, s9, v59
	s_branch .LBB74_40
.LBB74_30:                              ;   in Loop: Header=BB74_4 Depth=1
                                        ; implicit-def: $vgpr55
                                        ; implicit-def: $vgpr56
	s_cbranch_execz .LBB74_40
; %bb.31:                               ;   in Loop: Header=BB74_4 Depth=1
                                        ; implicit-def: $vgpr55
                                        ; implicit-def: $vgpr56
	s_delay_alu instid0(VALU_DEP_1) | instskip(NEXT) | instid1(SALU_CYCLE_1)
	s_and_saveexec_b32 s7, s6
	s_xor_b32 s7, exec_lo, s7
	s_cbranch_execz .LBB74_37
; %bb.32:                               ;   in Loop: Header=BB74_4 Depth=1
	v_cmp_neq_f32_e32 vcc_lo, 0, v23
	v_cmp_neq_f32_e64 s6, 0, v24
                                        ; implicit-def: $vgpr55
                                        ; implicit-def: $vgpr56
	s_delay_alu instid0(VALU_DEP_1) | instskip(NEXT) | instid1(SALU_CYCLE_1)
	s_or_b32 s6, s6, vcc_lo
	s_and_saveexec_b32 s27, s6
	s_delay_alu instid0(SALU_CYCLE_1)
	s_xor_b32 s6, exec_lo, s27
	s_cbranch_execz .LBB74_34
; %bb.33:                               ;   in Loop: Header=BB74_4 Depth=1
	v_div_scale_f32 v55, null, v23, v23, v24
	v_div_scale_f32 v58, vcc_lo, v24, v23, v24
	s_delay_alu instid0(VALU_DEP_2) | instskip(SKIP_2) | instid1(VALU_DEP_1)
	v_rcp_f32_e32 v56, v55
	s_waitcnt_depctr 0xfff
	v_fma_f32 v57, -v55, v56, 1.0
	v_fmac_f32_e32 v56, v57, v56
	s_delay_alu instid0(VALU_DEP_1) | instskip(NEXT) | instid1(VALU_DEP_1)
	v_mul_f32_e32 v57, v58, v56
	v_fma_f32 v59, -v55, v57, v58
	s_delay_alu instid0(VALU_DEP_1) | instskip(NEXT) | instid1(VALU_DEP_1)
	v_fmac_f32_e32 v57, v59, v56
	v_fma_f32 v55, -v55, v57, v58
	s_delay_alu instid0(VALU_DEP_1) | instskip(NEXT) | instid1(VALU_DEP_1)
	v_div_fmas_f32 v55, v55, v56, v57
	v_div_fixup_f32 v55, v55, v23, v24
	s_delay_alu instid0(VALU_DEP_1) | instskip(NEXT) | instid1(VALU_DEP_1)
	v_fmac_f32_e32 v23, v24, v55
	v_div_scale_f32 v24, null, v23, v23, 1.0
	v_div_scale_f32 v58, vcc_lo, 1.0, v23, 1.0
	s_delay_alu instid0(VALU_DEP_2) | instskip(SKIP_2) | instid1(VALU_DEP_1)
	v_rcp_f32_e32 v56, v24
	s_waitcnt_depctr 0xfff
	v_fma_f32 v57, -v24, v56, 1.0
	v_fmac_f32_e32 v56, v57, v56
	s_delay_alu instid0(VALU_DEP_1) | instskip(NEXT) | instid1(VALU_DEP_1)
	v_mul_f32_e32 v57, v58, v56
	v_fma_f32 v59, -v24, v57, v58
	s_delay_alu instid0(VALU_DEP_1) | instskip(NEXT) | instid1(VALU_DEP_1)
	v_fmac_f32_e32 v57, v59, v56
	v_fma_f32 v24, -v24, v57, v58
                                        ; implicit-def: $vgpr58
	s_delay_alu instid0(VALU_DEP_1) | instskip(SKIP_2) | instid1(VALU_DEP_3)
	v_div_fmas_f32 v24, v24, v56, v57
	v_fma_f32 v56, v22, v55, v21
	v_fma_f32 v21, -v21, v55, v22
                                        ; implicit-def: $vgpr57
	v_div_fixup_f32 v23, v24, v23, 1.0
	s_delay_alu instid0(VALU_DEP_1) | instskip(NEXT) | instid1(VALU_DEP_3)
	v_mul_f32_e32 v56, v56, v23
	v_mul_f32_e32 v55, v21, v23
                                        ; implicit-def: $vgpr21
.LBB74_34:                              ;   in Loop: Header=BB74_4 Depth=1
	s_and_not1_saveexec_b32 s27, s6
	s_cbranch_execz .LBB74_36
; %bb.35:                               ;   in Loop: Header=BB74_4 Depth=1
	v_div_scale_f32 v23, null, v57, v57, v21
	v_div_scale_f32 v24, null, v58, v58, v22
	v_div_scale_f32 v61, vcc_lo, v21, v57, v21
	s_delay_alu instid0(VALU_DEP_3) | instskip(NEXT) | instid1(VALU_DEP_2)
	v_rcp_f32_e32 v55, v23
	v_rcp_f32_e32 v56, v24
	s_waitcnt_depctr 0xfff
	v_fma_f32 v59, -v23, v55, 1.0
	v_fma_f32 v60, -v24, v56, 1.0
	s_delay_alu instid0(VALU_DEP_1) | instskip(SKIP_1) | instid1(VALU_DEP_2)
	v_dual_fmac_f32 v55, v59, v55 :: v_dual_fmac_f32 v56, v60, v56
	v_div_scale_f32 v59, s6, v22, v58, v22
	v_mul_f32_e32 v60, v61, v55
	s_delay_alu instid0(VALU_DEP_2) | instskip(NEXT) | instid1(VALU_DEP_2)
	v_mul_f32_e32 v62, v59, v56
	v_fma_f32 v63, -v23, v60, v61
	s_delay_alu instid0(VALU_DEP_2) | instskip(NEXT) | instid1(VALU_DEP_2)
	v_fma_f32 v64, -v24, v62, v59
	v_fmac_f32_e32 v60, v63, v55
	s_delay_alu instid0(VALU_DEP_2) | instskip(NEXT) | instid1(VALU_DEP_2)
	v_fmac_f32_e32 v62, v64, v56
	v_fma_f32 v23, -v23, v60, v61
	s_delay_alu instid0(VALU_DEP_2) | instskip(NEXT) | instid1(VALU_DEP_2)
	v_fma_f32 v24, -v24, v62, v59
	v_div_fmas_f32 v23, v23, v55, v60
	s_mov_b32 vcc_lo, s6
	s_delay_alu instid0(VALU_DEP_2) | instskip(NEXT) | instid1(VALU_DEP_2)
	v_div_fmas_f32 v24, v24, v56, v62
	v_div_fixup_f32 v56, v23, v57, v21
	s_delay_alu instid0(VALU_DEP_2)
	v_div_fixup_f32 v55, v24, v58, v22
.LBB74_36:                              ;   in Loop: Header=BB74_4 Depth=1
	s_or_b32 exec_lo, exec_lo, s27
                                        ; implicit-def: $vgpr24
                                        ; implicit-def: $vgpr21
.LBB74_37:                              ;   in Loop: Header=BB74_4 Depth=1
	s_and_not1_saveexec_b32 s6, s7
	s_cbranch_execz .LBB74_39
; %bb.38:                               ;   in Loop: Header=BB74_4 Depth=1
	v_div_scale_f32 v55, null, v24, v24, v23
	v_div_scale_f32 v58, vcc_lo, v23, v24, v23
	s_delay_alu instid0(VALU_DEP_2) | instskip(SKIP_2) | instid1(VALU_DEP_1)
	v_rcp_f32_e32 v56, v55
	s_waitcnt_depctr 0xfff
	v_fma_f32 v57, -v55, v56, 1.0
	v_fmac_f32_e32 v56, v57, v56
	s_delay_alu instid0(VALU_DEP_1) | instskip(NEXT) | instid1(VALU_DEP_1)
	v_mul_f32_e32 v57, v58, v56
	v_fma_f32 v59, -v55, v57, v58
	s_delay_alu instid0(VALU_DEP_1) | instskip(NEXT) | instid1(VALU_DEP_1)
	v_fmac_f32_e32 v57, v59, v56
	v_fma_f32 v55, -v55, v57, v58
	s_delay_alu instid0(VALU_DEP_1) | instskip(NEXT) | instid1(VALU_DEP_1)
	v_div_fmas_f32 v55, v55, v56, v57
	v_div_fixup_f32 v55, v55, v24, v23
	s_delay_alu instid0(VALU_DEP_1) | instskip(NEXT) | instid1(VALU_DEP_1)
	v_fmac_f32_e32 v24, v23, v55
	v_div_scale_f32 v23, null, v24, v24, 1.0
	v_div_scale_f32 v58, vcc_lo, 1.0, v24, 1.0
	s_delay_alu instid0(VALU_DEP_2) | instskip(SKIP_2) | instid1(VALU_DEP_1)
	v_rcp_f32_e32 v56, v23
	s_waitcnt_depctr 0xfff
	v_fma_f32 v57, -v23, v56, 1.0
	v_fmac_f32_e32 v56, v57, v56
	s_delay_alu instid0(VALU_DEP_1) | instskip(NEXT) | instid1(VALU_DEP_1)
	v_mul_f32_e32 v57, v58, v56
	v_fma_f32 v59, -v23, v57, v58
	s_delay_alu instid0(VALU_DEP_1) | instskip(NEXT) | instid1(VALU_DEP_1)
	v_fmac_f32_e32 v57, v59, v56
	v_fma_f32 v23, -v23, v57, v58
	s_delay_alu instid0(VALU_DEP_1) | instskip(SKIP_2) | instid1(VALU_DEP_3)
	v_div_fmas_f32 v23, v23, v56, v57
	v_fma_f32 v56, v21, v55, v22
	v_fma_f32 v21, v22, v55, -v21
	v_div_fixup_f32 v23, v23, v24, 1.0
	s_delay_alu instid0(VALU_DEP_1) | instskip(NEXT) | instid1(VALU_DEP_3)
	v_mul_f32_e32 v56, v56, v23
	v_mul_f32_e32 v55, v21, v23
.LBB74_39:                              ;   in Loop: Header=BB74_4 Depth=1
	s_or_b32 exec_lo, exec_lo, s6
.LBB74_40:                              ;   in Loop: Header=BB74_4 Depth=1
	v_cmp_gt_f32_e32 vcc_lo, 0, v19
	v_cndmask_b32_e64 v23, v19, -v19, vcc_lo
	v_cmp_gt_f32_e32 vcc_lo, 0, v20
	v_cndmask_b32_e64 v24, v20, -v20, vcc_lo
	s_and_not1_b32 vcc_lo, exec_lo, s24
	s_delay_alu instid0(VALU_DEP_1)
	v_cmp_ge_f32_e64 s6, v23, v24
	s_cbranch_vccnz .LBB74_50
; %bb.41:                               ;   in Loop: Header=BB74_4 Depth=1
                                        ; implicit-def: $vgpr21
                                        ; implicit-def: $vgpr57
	s_delay_alu instid0(VALU_DEP_1) | instskip(NEXT) | instid1(SALU_CYCLE_1)
	s_and_saveexec_b32 s7, s6
	s_xor_b32 s27, exec_lo, s7
	s_cbranch_execz .LBB74_47
; %bb.42:                               ;   in Loop: Header=BB74_4 Depth=1
	v_cmp_neq_f32_e32 vcc_lo, 0, v19
	v_cmp_neq_f32_e64 s7, 0, v20
                                        ; implicit-def: $vgpr21
                                        ; implicit-def: $vgpr57
	s_delay_alu instid0(VALU_DEP_1) | instskip(NEXT) | instid1(SALU_CYCLE_1)
	s_or_b32 s7, s7, vcc_lo
	s_and_saveexec_b32 s28, s7
	s_delay_alu instid0(SALU_CYCLE_1)
	s_xor_b32 s7, exec_lo, s28
	s_cbranch_execz .LBB74_44
; %bb.43:                               ;   in Loop: Header=BB74_4 Depth=1
	v_div_scale_f32 v21, null, v19, v19, v20
	v_div_scale_f32 v58, vcc_lo, v20, v19, v20
	s_delay_alu instid0(VALU_DEP_2) | instskip(SKIP_2) | instid1(VALU_DEP_1)
	v_rcp_f32_e32 v22, v21
	s_waitcnt_depctr 0xfff
	v_fma_f32 v57, -v21, v22, 1.0
	v_fmac_f32_e32 v22, v57, v22
	s_delay_alu instid0(VALU_DEP_1) | instskip(NEXT) | instid1(VALU_DEP_1)
	v_mul_f32_e32 v57, v58, v22
	v_fma_f32 v59, -v21, v57, v58
	s_delay_alu instid0(VALU_DEP_1) | instskip(NEXT) | instid1(VALU_DEP_1)
	v_fmac_f32_e32 v57, v59, v22
	v_fma_f32 v21, -v21, v57, v58
	s_delay_alu instid0(VALU_DEP_1) | instskip(NEXT) | instid1(VALU_DEP_1)
	v_div_fmas_f32 v21, v21, v22, v57
	v_div_fixup_f32 v21, v21, v19, v20
	s_delay_alu instid0(VALU_DEP_1) | instskip(NEXT) | instid1(VALU_DEP_1)
	v_fma_f32 v22, v20, v21, v19
	v_div_scale_f32 v57, null, v22, v22, 1.0
	v_div_scale_f32 v60, vcc_lo, 1.0, v22, 1.0
	s_delay_alu instid0(VALU_DEP_2) | instskip(SKIP_2) | instid1(VALU_DEP_1)
	v_rcp_f32_e32 v58, v57
	s_waitcnt_depctr 0xfff
	v_fma_f32 v59, -v57, v58, 1.0
	v_fmac_f32_e32 v58, v59, v58
	s_delay_alu instid0(VALU_DEP_1) | instskip(NEXT) | instid1(VALU_DEP_1)
	v_mul_f32_e32 v59, v60, v58
	v_fma_f32 v61, -v57, v59, v60
	s_delay_alu instid0(VALU_DEP_1) | instskip(NEXT) | instid1(VALU_DEP_1)
	v_fmac_f32_e32 v59, v61, v58
	v_fma_f32 v57, -v57, v59, v60
	s_delay_alu instid0(VALU_DEP_1) | instskip(SKIP_2) | instid1(VALU_DEP_3)
	v_div_fmas_f32 v57, v57, v58, v59
	v_fma_f32 v58, v18, v21, v17
	v_fma_f32 v21, -v17, v21, v18
	v_div_fixup_f32 v22, v57, v22, 1.0
	s_delay_alu instid0(VALU_DEP_1) | instskip(NEXT) | instid1(VALU_DEP_3)
	v_mul_f32_e32 v57, v58, v22
	v_mul_f32_e32 v21, v21, v22
.LBB74_44:                              ;   in Loop: Header=BB74_4 Depth=1
	s_and_not1_saveexec_b32 s28, s7
	s_cbranch_execz .LBB74_46
; %bb.45:                               ;   in Loop: Header=BB74_4 Depth=1
	v_div_scale_f32 v21, null, v23, v23, v17
	v_div_scale_f32 v22, null, v24, v24, v18
	v_div_scale_f32 v61, vcc_lo, v17, v23, v17
	s_delay_alu instid0(VALU_DEP_3) | instskip(NEXT) | instid1(VALU_DEP_2)
	v_rcp_f32_e32 v57, v21
	v_rcp_f32_e32 v58, v22
	s_waitcnt_depctr 0xfff
	v_fma_f32 v59, -v21, v57, 1.0
	v_fma_f32 v60, -v22, v58, 1.0
	s_delay_alu instid0(VALU_DEP_1) | instskip(SKIP_1) | instid1(VALU_DEP_2)
	v_dual_fmac_f32 v57, v59, v57 :: v_dual_fmac_f32 v58, v60, v58
	v_div_scale_f32 v59, s7, v18, v24, v18
	v_mul_f32_e32 v60, v61, v57
	s_delay_alu instid0(VALU_DEP_2) | instskip(NEXT) | instid1(VALU_DEP_2)
	v_mul_f32_e32 v62, v59, v58
	v_fma_f32 v63, -v21, v60, v61
	s_delay_alu instid0(VALU_DEP_2) | instskip(NEXT) | instid1(VALU_DEP_2)
	v_fma_f32 v64, -v22, v62, v59
	v_fmac_f32_e32 v60, v63, v57
	s_delay_alu instid0(VALU_DEP_2) | instskip(NEXT) | instid1(VALU_DEP_2)
	v_fmac_f32_e32 v62, v64, v58
	v_fma_f32 v21, -v21, v60, v61
	s_delay_alu instid0(VALU_DEP_2) | instskip(NEXT) | instid1(VALU_DEP_2)
	v_fma_f32 v22, -v22, v62, v59
	v_div_fmas_f32 v21, v21, v57, v60
	s_mov_b32 vcc_lo, s7
	s_delay_alu instid0(VALU_DEP_2) | instskip(NEXT) | instid1(VALU_DEP_2)
	v_div_fmas_f32 v22, v22, v58, v62
	v_div_fixup_f32 v57, v21, v23, v17
	s_delay_alu instid0(VALU_DEP_2)
	v_div_fixup_f32 v21, v22, v24, v18
.LBB74_46:                              ;   in Loop: Header=BB74_4 Depth=1
	s_or_b32 exec_lo, exec_lo, s28
.LBB74_47:                              ;   in Loop: Header=BB74_4 Depth=1
	s_and_not1_saveexec_b32 s7, s27
	s_cbranch_execz .LBB74_49
; %bb.48:                               ;   in Loop: Header=BB74_4 Depth=1
	v_div_scale_f32 v21, null, v20, v20, v19
	v_div_scale_f32 v58, vcc_lo, v19, v20, v19
	s_delay_alu instid0(VALU_DEP_2) | instskip(SKIP_2) | instid1(VALU_DEP_1)
	v_rcp_f32_e32 v22, v21
	s_waitcnt_depctr 0xfff
	v_fma_f32 v57, -v21, v22, 1.0
	v_fmac_f32_e32 v22, v57, v22
	s_delay_alu instid0(VALU_DEP_1) | instskip(NEXT) | instid1(VALU_DEP_1)
	v_mul_f32_e32 v57, v58, v22
	v_fma_f32 v59, -v21, v57, v58
	s_delay_alu instid0(VALU_DEP_1) | instskip(NEXT) | instid1(VALU_DEP_1)
	v_fmac_f32_e32 v57, v59, v22
	v_fma_f32 v21, -v21, v57, v58
	s_delay_alu instid0(VALU_DEP_1) | instskip(NEXT) | instid1(VALU_DEP_1)
	v_div_fmas_f32 v21, v21, v22, v57
	v_div_fixup_f32 v21, v21, v20, v19
	s_delay_alu instid0(VALU_DEP_1) | instskip(NEXT) | instid1(VALU_DEP_1)
	v_fma_f32 v22, v19, v21, v20
	v_div_scale_f32 v57, null, v22, v22, 1.0
	v_div_scale_f32 v60, vcc_lo, 1.0, v22, 1.0
	s_delay_alu instid0(VALU_DEP_2) | instskip(SKIP_2) | instid1(VALU_DEP_1)
	v_rcp_f32_e32 v58, v57
	s_waitcnt_depctr 0xfff
	v_fma_f32 v59, -v57, v58, 1.0
	v_fmac_f32_e32 v58, v59, v58
	s_delay_alu instid0(VALU_DEP_1) | instskip(NEXT) | instid1(VALU_DEP_1)
	v_mul_f32_e32 v59, v60, v58
	v_fma_f32 v61, -v57, v59, v60
	s_delay_alu instid0(VALU_DEP_1) | instskip(NEXT) | instid1(VALU_DEP_1)
	v_fmac_f32_e32 v59, v61, v58
	v_fma_f32 v57, -v57, v59, v60
	s_delay_alu instid0(VALU_DEP_1) | instskip(SKIP_2) | instid1(VALU_DEP_3)
	v_div_fmas_f32 v57, v57, v58, v59
	v_fma_f32 v58, v17, v21, v18
	v_fma_f32 v21, v18, v21, -v17
	v_div_fixup_f32 v22, v57, v22, 1.0
	s_delay_alu instid0(VALU_DEP_1) | instskip(NEXT) | instid1(VALU_DEP_3)
	v_mul_f32_e32 v57, v58, v22
	v_mul_f32_e32 v21, v21, v22
.LBB74_49:                              ;   in Loop: Header=BB74_4 Depth=1
	s_or_b32 exec_lo, exec_lo, s7
	s_delay_alu instid0(VALU_DEP_1) | instskip(SKIP_1) | instid1(VALU_DEP_2)
	v_mul_f32_e32 v22, s9, v21
	v_mul_f32_e32 v21, s8, v21
	v_fma_f32 v22, v57, s8, -v22
	s_delay_alu instid0(VALU_DEP_2)
	v_fmac_f32_e32 v21, s9, v57
	s_branch .LBB74_60
.LBB74_50:                              ;   in Loop: Header=BB74_4 Depth=1
                                        ; implicit-def: $vgpr21
                                        ; implicit-def: $vgpr22
	s_cbranch_execz .LBB74_60
; %bb.51:                               ;   in Loop: Header=BB74_4 Depth=1
                                        ; implicit-def: $vgpr21
                                        ; implicit-def: $vgpr22
	s_delay_alu instid0(VALU_DEP_1) | instskip(NEXT) | instid1(SALU_CYCLE_1)
	s_and_saveexec_b32 s7, s6
	s_xor_b32 s7, exec_lo, s7
	s_cbranch_execz .LBB74_57
; %bb.52:                               ;   in Loop: Header=BB74_4 Depth=1
	v_cmp_neq_f32_e32 vcc_lo, 0, v19
	v_cmp_neq_f32_e64 s6, 0, v20
                                        ; implicit-def: $vgpr21
                                        ; implicit-def: $vgpr22
	s_delay_alu instid0(VALU_DEP_1) | instskip(NEXT) | instid1(SALU_CYCLE_1)
	s_or_b32 s6, s6, vcc_lo
	s_and_saveexec_b32 s27, s6
	s_delay_alu instid0(SALU_CYCLE_1)
	s_xor_b32 s6, exec_lo, s27
	s_cbranch_execz .LBB74_54
; %bb.53:                               ;   in Loop: Header=BB74_4 Depth=1
	v_div_scale_f32 v21, null, v19, v19, v20
	v_div_scale_f32 v24, vcc_lo, v20, v19, v20
	s_delay_alu instid0(VALU_DEP_2) | instskip(SKIP_2) | instid1(VALU_DEP_1)
	v_rcp_f32_e32 v22, v21
	s_waitcnt_depctr 0xfff
	v_fma_f32 v23, -v21, v22, 1.0
	v_fmac_f32_e32 v22, v23, v22
	s_delay_alu instid0(VALU_DEP_1) | instskip(NEXT) | instid1(VALU_DEP_1)
	v_mul_f32_e32 v23, v24, v22
	v_fma_f32 v57, -v21, v23, v24
	s_delay_alu instid0(VALU_DEP_1) | instskip(NEXT) | instid1(VALU_DEP_1)
	v_fmac_f32_e32 v23, v57, v22
	v_fma_f32 v21, -v21, v23, v24
	s_delay_alu instid0(VALU_DEP_1) | instskip(NEXT) | instid1(VALU_DEP_1)
	v_div_fmas_f32 v21, v21, v22, v23
	v_div_fixup_f32 v21, v21, v19, v20
	s_delay_alu instid0(VALU_DEP_1) | instskip(NEXT) | instid1(VALU_DEP_1)
	v_fmac_f32_e32 v19, v20, v21
	v_div_scale_f32 v20, null, v19, v19, 1.0
	v_div_scale_f32 v24, vcc_lo, 1.0, v19, 1.0
	s_delay_alu instid0(VALU_DEP_2) | instskip(SKIP_2) | instid1(VALU_DEP_1)
	v_rcp_f32_e32 v22, v20
	s_waitcnt_depctr 0xfff
	v_fma_f32 v23, -v20, v22, 1.0
	v_fmac_f32_e32 v22, v23, v22
	s_delay_alu instid0(VALU_DEP_1) | instskip(NEXT) | instid1(VALU_DEP_1)
	v_mul_f32_e32 v23, v24, v22
	v_fma_f32 v57, -v20, v23, v24
	s_delay_alu instid0(VALU_DEP_1) | instskip(NEXT) | instid1(VALU_DEP_1)
	v_fmac_f32_e32 v23, v57, v22
	v_fma_f32 v20, -v20, v23, v24
                                        ; implicit-def: $vgpr24
	s_delay_alu instid0(VALU_DEP_1) | instskip(SKIP_2) | instid1(VALU_DEP_3)
	v_div_fmas_f32 v20, v20, v22, v23
	v_fma_f32 v22, v18, v21, v17
	v_fma_f32 v17, -v17, v21, v18
                                        ; implicit-def: $vgpr23
	v_div_fixup_f32 v19, v20, v19, 1.0
	s_delay_alu instid0(VALU_DEP_1) | instskip(NEXT) | instid1(VALU_DEP_4)
	v_mul_f32_e32 v21, v17, v19
	v_mul_f32_e32 v22, v22, v19
                                        ; implicit-def: $vgpr17
.LBB74_54:                              ;   in Loop: Header=BB74_4 Depth=1
	s_and_not1_saveexec_b32 s27, s6
	s_cbranch_execz .LBB74_56
; %bb.55:                               ;   in Loop: Header=BB74_4 Depth=1
	v_div_scale_f32 v19, null, v23, v23, v17
	v_div_scale_f32 v20, null, v24, v24, v18
	v_div_scale_f32 v59, vcc_lo, v17, v23, v17
	s_delay_alu instid0(VALU_DEP_3) | instskip(NEXT) | instid1(VALU_DEP_2)
	v_rcp_f32_e32 v21, v19
	v_rcp_f32_e32 v22, v20
	s_waitcnt_depctr 0xfff
	v_fma_f32 v57, -v19, v21, 1.0
	v_fma_f32 v58, -v20, v22, 1.0
	s_delay_alu instid0(VALU_DEP_1) | instskip(SKIP_1) | instid1(VALU_DEP_2)
	v_dual_fmac_f32 v21, v57, v21 :: v_dual_fmac_f32 v22, v58, v22
	v_div_scale_f32 v57, s6, v18, v24, v18
	v_mul_f32_e32 v58, v59, v21
	s_delay_alu instid0(VALU_DEP_2) | instskip(NEXT) | instid1(VALU_DEP_2)
	v_mul_f32_e32 v60, v57, v22
	v_fma_f32 v61, -v19, v58, v59
	s_delay_alu instid0(VALU_DEP_2) | instskip(NEXT) | instid1(VALU_DEP_2)
	v_fma_f32 v62, -v20, v60, v57
	v_fmac_f32_e32 v58, v61, v21
	s_delay_alu instid0(VALU_DEP_2) | instskip(NEXT) | instid1(VALU_DEP_2)
	v_fmac_f32_e32 v60, v62, v22
	v_fma_f32 v19, -v19, v58, v59
	s_delay_alu instid0(VALU_DEP_2) | instskip(NEXT) | instid1(VALU_DEP_2)
	v_fma_f32 v20, -v20, v60, v57
	v_div_fmas_f32 v19, v19, v21, v58
	s_mov_b32 vcc_lo, s6
	s_delay_alu instid0(VALU_DEP_2) | instskip(NEXT) | instid1(VALU_DEP_2)
	v_div_fmas_f32 v20, v20, v22, v60
	v_div_fixup_f32 v22, v19, v23, v17
	s_delay_alu instid0(VALU_DEP_2)
	v_div_fixup_f32 v21, v20, v24, v18
.LBB74_56:                              ;   in Loop: Header=BB74_4 Depth=1
	s_or_b32 exec_lo, exec_lo, s27
                                        ; implicit-def: $vgpr20
                                        ; implicit-def: $vgpr17
.LBB74_57:                              ;   in Loop: Header=BB74_4 Depth=1
	s_and_not1_saveexec_b32 s6, s7
	s_cbranch_execz .LBB74_59
; %bb.58:                               ;   in Loop: Header=BB74_4 Depth=1
	v_div_scale_f32 v21, null, v20, v20, v19
	v_div_scale_f32 v24, vcc_lo, v19, v20, v19
	s_delay_alu instid0(VALU_DEP_2) | instskip(SKIP_2) | instid1(VALU_DEP_1)
	v_rcp_f32_e32 v22, v21
	s_waitcnt_depctr 0xfff
	v_fma_f32 v23, -v21, v22, 1.0
	v_fmac_f32_e32 v22, v23, v22
	s_delay_alu instid0(VALU_DEP_1) | instskip(NEXT) | instid1(VALU_DEP_1)
	v_mul_f32_e32 v23, v24, v22
	v_fma_f32 v57, -v21, v23, v24
	s_delay_alu instid0(VALU_DEP_1) | instskip(NEXT) | instid1(VALU_DEP_1)
	v_fmac_f32_e32 v23, v57, v22
	v_fma_f32 v21, -v21, v23, v24
	s_delay_alu instid0(VALU_DEP_1) | instskip(NEXT) | instid1(VALU_DEP_1)
	v_div_fmas_f32 v21, v21, v22, v23
	v_div_fixup_f32 v21, v21, v20, v19
	s_delay_alu instid0(VALU_DEP_1) | instskip(NEXT) | instid1(VALU_DEP_1)
	v_fmac_f32_e32 v20, v19, v21
	v_div_scale_f32 v19, null, v20, v20, 1.0
	v_div_scale_f32 v24, vcc_lo, 1.0, v20, 1.0
	s_delay_alu instid0(VALU_DEP_2) | instskip(SKIP_2) | instid1(VALU_DEP_1)
	v_rcp_f32_e32 v22, v19
	s_waitcnt_depctr 0xfff
	v_fma_f32 v23, -v19, v22, 1.0
	v_fmac_f32_e32 v22, v23, v22
	s_delay_alu instid0(VALU_DEP_1) | instskip(NEXT) | instid1(VALU_DEP_1)
	v_mul_f32_e32 v23, v24, v22
	v_fma_f32 v57, -v19, v23, v24
	s_delay_alu instid0(VALU_DEP_1) | instskip(NEXT) | instid1(VALU_DEP_1)
	v_fmac_f32_e32 v23, v57, v22
	v_fma_f32 v19, -v19, v23, v24
	s_delay_alu instid0(VALU_DEP_1) | instskip(SKIP_2) | instid1(VALU_DEP_3)
	v_div_fmas_f32 v19, v19, v22, v23
	v_fma_f32 v22, v17, v21, v18
	v_fma_f32 v17, v18, v21, -v17
	v_div_fixup_f32 v19, v19, v20, 1.0
	s_delay_alu instid0(VALU_DEP_1) | instskip(NEXT) | instid1(VALU_DEP_3)
	v_mul_f32_e32 v22, v22, v19
	v_mul_f32_e32 v21, v17, v19
.LBB74_59:                              ;   in Loop: Header=BB74_4 Depth=1
	s_or_b32 exec_lo, exec_lo, s6
.LBB74_60:                              ;   in Loop: Header=BB74_4 Depth=1
	v_cmp_gt_f32_e32 vcc_lo, 0, v15
	v_cndmask_b32_e64 v19, v15, -v15, vcc_lo
	v_cmp_gt_f32_e32 vcc_lo, 0, v16
	v_cndmask_b32_e64 v20, v16, -v16, vcc_lo
	s_and_not1_b32 vcc_lo, exec_lo, s24
	s_delay_alu instid0(VALU_DEP_1)
	v_cmp_ge_f32_e64 s6, v19, v20
	s_cbranch_vccnz .LBB74_70
; %bb.61:                               ;   in Loop: Header=BB74_4 Depth=1
                                        ; implicit-def: $vgpr17
                                        ; implicit-def: $vgpr23
	s_delay_alu instid0(VALU_DEP_1) | instskip(NEXT) | instid1(SALU_CYCLE_1)
	s_and_saveexec_b32 s7, s6
	s_xor_b32 s27, exec_lo, s7
	s_cbranch_execz .LBB74_67
; %bb.62:                               ;   in Loop: Header=BB74_4 Depth=1
	v_cmp_neq_f32_e32 vcc_lo, 0, v15
	v_cmp_neq_f32_e64 s7, 0, v16
                                        ; implicit-def: $vgpr17
                                        ; implicit-def: $vgpr23
	s_delay_alu instid0(VALU_DEP_1) | instskip(NEXT) | instid1(SALU_CYCLE_1)
	s_or_b32 s7, s7, vcc_lo
	s_and_saveexec_b32 s28, s7
	s_delay_alu instid0(SALU_CYCLE_1)
	s_xor_b32 s7, exec_lo, s28
	s_cbranch_execz .LBB74_64
; %bb.63:                               ;   in Loop: Header=BB74_4 Depth=1
	v_div_scale_f32 v17, null, v15, v15, v16
	v_div_scale_f32 v24, vcc_lo, v16, v15, v16
	s_delay_alu instid0(VALU_DEP_2) | instskip(SKIP_2) | instid1(VALU_DEP_1)
	v_rcp_f32_e32 v18, v17
	s_waitcnt_depctr 0xfff
	v_fma_f32 v23, -v17, v18, 1.0
	v_fmac_f32_e32 v18, v23, v18
	s_delay_alu instid0(VALU_DEP_1) | instskip(NEXT) | instid1(VALU_DEP_1)
	v_mul_f32_e32 v23, v24, v18
	v_fma_f32 v57, -v17, v23, v24
	s_delay_alu instid0(VALU_DEP_1) | instskip(NEXT) | instid1(VALU_DEP_1)
	v_fmac_f32_e32 v23, v57, v18
	v_fma_f32 v17, -v17, v23, v24
	s_delay_alu instid0(VALU_DEP_1) | instskip(NEXT) | instid1(VALU_DEP_1)
	v_div_fmas_f32 v17, v17, v18, v23
	v_div_fixup_f32 v17, v17, v15, v16
	s_delay_alu instid0(VALU_DEP_1) | instskip(NEXT) | instid1(VALU_DEP_1)
	v_fma_f32 v18, v16, v17, v15
	v_div_scale_f32 v23, null, v18, v18, 1.0
	v_div_scale_f32 v58, vcc_lo, 1.0, v18, 1.0
	s_delay_alu instid0(VALU_DEP_2) | instskip(SKIP_2) | instid1(VALU_DEP_1)
	v_rcp_f32_e32 v24, v23
	s_waitcnt_depctr 0xfff
	v_fma_f32 v57, -v23, v24, 1.0
	v_fmac_f32_e32 v24, v57, v24
	s_delay_alu instid0(VALU_DEP_1) | instskip(NEXT) | instid1(VALU_DEP_1)
	v_mul_f32_e32 v57, v58, v24
	v_fma_f32 v59, -v23, v57, v58
	s_delay_alu instid0(VALU_DEP_1) | instskip(NEXT) | instid1(VALU_DEP_1)
	v_fmac_f32_e32 v57, v59, v24
	v_fma_f32 v23, -v23, v57, v58
	s_delay_alu instid0(VALU_DEP_1) | instskip(SKIP_2) | instid1(VALU_DEP_3)
	v_div_fmas_f32 v23, v23, v24, v57
	v_fma_f32 v24, v14, v17, v13
	v_fma_f32 v17, -v13, v17, v14
	v_div_fixup_f32 v18, v23, v18, 1.0
	s_delay_alu instid0(VALU_DEP_1) | instskip(NEXT) | instid1(VALU_DEP_3)
	v_mul_f32_e32 v23, v24, v18
	v_mul_f32_e32 v17, v17, v18
.LBB74_64:                              ;   in Loop: Header=BB74_4 Depth=1
	s_and_not1_saveexec_b32 s28, s7
	s_cbranch_execz .LBB74_66
; %bb.65:                               ;   in Loop: Header=BB74_4 Depth=1
	v_div_scale_f32 v17, null, v19, v19, v13
	v_div_scale_f32 v18, null, v20, v20, v14
	v_div_scale_f32 v59, vcc_lo, v13, v19, v13
	s_delay_alu instid0(VALU_DEP_3) | instskip(NEXT) | instid1(VALU_DEP_2)
	v_rcp_f32_e32 v23, v17
	v_rcp_f32_e32 v24, v18
	s_waitcnt_depctr 0xfff
	v_fma_f32 v57, -v17, v23, 1.0
	v_fma_f32 v58, -v18, v24, 1.0
	s_delay_alu instid0(VALU_DEP_1) | instskip(SKIP_1) | instid1(VALU_DEP_2)
	v_dual_fmac_f32 v23, v57, v23 :: v_dual_fmac_f32 v24, v58, v24
	v_div_scale_f32 v57, s7, v14, v20, v14
	v_mul_f32_e32 v58, v59, v23
	s_delay_alu instid0(VALU_DEP_2) | instskip(NEXT) | instid1(VALU_DEP_2)
	v_mul_f32_e32 v60, v57, v24
	v_fma_f32 v61, -v17, v58, v59
	s_delay_alu instid0(VALU_DEP_2) | instskip(NEXT) | instid1(VALU_DEP_2)
	v_fma_f32 v62, -v18, v60, v57
	v_fmac_f32_e32 v58, v61, v23
	s_delay_alu instid0(VALU_DEP_2) | instskip(NEXT) | instid1(VALU_DEP_2)
	v_fmac_f32_e32 v60, v62, v24
	v_fma_f32 v17, -v17, v58, v59
	s_delay_alu instid0(VALU_DEP_2) | instskip(NEXT) | instid1(VALU_DEP_2)
	v_fma_f32 v18, -v18, v60, v57
	v_div_fmas_f32 v17, v17, v23, v58
	s_mov_b32 vcc_lo, s7
	s_delay_alu instid0(VALU_DEP_2) | instskip(NEXT) | instid1(VALU_DEP_2)
	v_div_fmas_f32 v18, v18, v24, v60
	v_div_fixup_f32 v23, v17, v19, v13
	s_delay_alu instid0(VALU_DEP_2)
	v_div_fixup_f32 v17, v18, v20, v14
.LBB74_66:                              ;   in Loop: Header=BB74_4 Depth=1
	s_or_b32 exec_lo, exec_lo, s28
.LBB74_67:                              ;   in Loop: Header=BB74_4 Depth=1
	s_and_not1_saveexec_b32 s7, s27
	s_cbranch_execz .LBB74_69
; %bb.68:                               ;   in Loop: Header=BB74_4 Depth=1
	v_div_scale_f32 v17, null, v16, v16, v15
	v_div_scale_f32 v24, vcc_lo, v15, v16, v15
	s_delay_alu instid0(VALU_DEP_2) | instskip(SKIP_2) | instid1(VALU_DEP_1)
	v_rcp_f32_e32 v18, v17
	s_waitcnt_depctr 0xfff
	v_fma_f32 v23, -v17, v18, 1.0
	v_fmac_f32_e32 v18, v23, v18
	s_delay_alu instid0(VALU_DEP_1) | instskip(NEXT) | instid1(VALU_DEP_1)
	v_mul_f32_e32 v23, v24, v18
	v_fma_f32 v57, -v17, v23, v24
	s_delay_alu instid0(VALU_DEP_1) | instskip(NEXT) | instid1(VALU_DEP_1)
	v_fmac_f32_e32 v23, v57, v18
	v_fma_f32 v17, -v17, v23, v24
	s_delay_alu instid0(VALU_DEP_1) | instskip(NEXT) | instid1(VALU_DEP_1)
	v_div_fmas_f32 v17, v17, v18, v23
	v_div_fixup_f32 v17, v17, v16, v15
	s_delay_alu instid0(VALU_DEP_1) | instskip(NEXT) | instid1(VALU_DEP_1)
	v_fma_f32 v18, v15, v17, v16
	v_div_scale_f32 v23, null, v18, v18, 1.0
	v_div_scale_f32 v58, vcc_lo, 1.0, v18, 1.0
	s_delay_alu instid0(VALU_DEP_2) | instskip(SKIP_2) | instid1(VALU_DEP_1)
	v_rcp_f32_e32 v24, v23
	s_waitcnt_depctr 0xfff
	v_fma_f32 v57, -v23, v24, 1.0
	v_fmac_f32_e32 v24, v57, v24
	s_delay_alu instid0(VALU_DEP_1) | instskip(NEXT) | instid1(VALU_DEP_1)
	v_mul_f32_e32 v57, v58, v24
	v_fma_f32 v59, -v23, v57, v58
	s_delay_alu instid0(VALU_DEP_1) | instskip(NEXT) | instid1(VALU_DEP_1)
	v_fmac_f32_e32 v57, v59, v24
	v_fma_f32 v23, -v23, v57, v58
	s_delay_alu instid0(VALU_DEP_1) | instskip(SKIP_2) | instid1(VALU_DEP_3)
	v_div_fmas_f32 v23, v23, v24, v57
	v_fma_f32 v24, v13, v17, v14
	v_fma_f32 v17, v14, v17, -v13
	v_div_fixup_f32 v18, v23, v18, 1.0
	s_delay_alu instid0(VALU_DEP_1) | instskip(NEXT) | instid1(VALU_DEP_3)
	v_mul_f32_e32 v23, v24, v18
	v_mul_f32_e32 v17, v17, v18
.LBB74_69:                              ;   in Loop: Header=BB74_4 Depth=1
	s_or_b32 exec_lo, exec_lo, s7
	s_delay_alu instid0(VALU_DEP_1) | instskip(SKIP_1) | instid1(VALU_DEP_1)
	v_mul_f32_e32 v18, s9, v17
	v_mul_f32_e32 v17, s8, v17
	v_fmac_f32_e32 v17, s9, v23
	s_delay_alu instid0(VALU_DEP_3)
	v_fma_f32 v18, v23, s8, -v18
	s_branch .LBB74_80
.LBB74_70:                              ;   in Loop: Header=BB74_4 Depth=1
                                        ; implicit-def: $vgpr17
                                        ; implicit-def: $vgpr18
	s_cbranch_execz .LBB74_80
; %bb.71:                               ;   in Loop: Header=BB74_4 Depth=1
                                        ; implicit-def: $vgpr17
                                        ; implicit-def: $vgpr18
	s_delay_alu instid0(VALU_DEP_1) | instskip(NEXT) | instid1(SALU_CYCLE_1)
	s_and_saveexec_b32 s7, s6
	s_xor_b32 s7, exec_lo, s7
	s_cbranch_execz .LBB74_77
; %bb.72:                               ;   in Loop: Header=BB74_4 Depth=1
	v_cmp_neq_f32_e32 vcc_lo, 0, v15
	v_cmp_neq_f32_e64 s6, 0, v16
                                        ; implicit-def: $vgpr17
                                        ; implicit-def: $vgpr18
	s_delay_alu instid0(VALU_DEP_1) | instskip(NEXT) | instid1(SALU_CYCLE_1)
	s_or_b32 s6, s6, vcc_lo
	s_and_saveexec_b32 s27, s6
	s_delay_alu instid0(SALU_CYCLE_1)
	s_xor_b32 s6, exec_lo, s27
	s_cbranch_execz .LBB74_74
; %bb.73:                               ;   in Loop: Header=BB74_4 Depth=1
	v_div_scale_f32 v17, null, v15, v15, v16
	v_div_scale_f32 v20, vcc_lo, v16, v15, v16
	s_delay_alu instid0(VALU_DEP_2) | instskip(SKIP_2) | instid1(VALU_DEP_1)
	v_rcp_f32_e32 v18, v17
	s_waitcnt_depctr 0xfff
	v_fma_f32 v19, -v17, v18, 1.0
	v_fmac_f32_e32 v18, v19, v18
	s_delay_alu instid0(VALU_DEP_1) | instskip(NEXT) | instid1(VALU_DEP_1)
	v_mul_f32_e32 v19, v20, v18
	v_fma_f32 v23, -v17, v19, v20
	s_delay_alu instid0(VALU_DEP_1) | instskip(NEXT) | instid1(VALU_DEP_1)
	v_fmac_f32_e32 v19, v23, v18
	v_fma_f32 v17, -v17, v19, v20
	s_delay_alu instid0(VALU_DEP_1) | instskip(NEXT) | instid1(VALU_DEP_1)
	v_div_fmas_f32 v17, v17, v18, v19
	v_div_fixup_f32 v17, v17, v15, v16
	s_delay_alu instid0(VALU_DEP_1) | instskip(NEXT) | instid1(VALU_DEP_1)
	v_fmac_f32_e32 v15, v16, v17
	v_div_scale_f32 v16, null, v15, v15, 1.0
	v_div_scale_f32 v20, vcc_lo, 1.0, v15, 1.0
	s_delay_alu instid0(VALU_DEP_2) | instskip(SKIP_2) | instid1(VALU_DEP_1)
	v_rcp_f32_e32 v18, v16
	s_waitcnt_depctr 0xfff
	v_fma_f32 v19, -v16, v18, 1.0
	v_fmac_f32_e32 v18, v19, v18
	s_delay_alu instid0(VALU_DEP_1) | instskip(NEXT) | instid1(VALU_DEP_1)
	v_mul_f32_e32 v19, v20, v18
	v_fma_f32 v23, -v16, v19, v20
	s_delay_alu instid0(VALU_DEP_1) | instskip(NEXT) | instid1(VALU_DEP_1)
	v_fmac_f32_e32 v19, v23, v18
	v_fma_f32 v16, -v16, v19, v20
                                        ; implicit-def: $vgpr20
	s_delay_alu instid0(VALU_DEP_1) | instskip(SKIP_2) | instid1(VALU_DEP_3)
	v_div_fmas_f32 v16, v16, v18, v19
	v_fma_f32 v18, v14, v17, v13
	v_fma_f32 v13, -v13, v17, v14
                                        ; implicit-def: $vgpr19
	v_div_fixup_f32 v15, v16, v15, 1.0
	s_delay_alu instid0(VALU_DEP_1) | instskip(NEXT) | instid1(VALU_DEP_4)
	v_mul_f32_e32 v17, v13, v15
	v_mul_f32_e32 v18, v18, v15
                                        ; implicit-def: $vgpr13
.LBB74_74:                              ;   in Loop: Header=BB74_4 Depth=1
	s_and_not1_saveexec_b32 s27, s6
	s_cbranch_execz .LBB74_76
; %bb.75:                               ;   in Loop: Header=BB74_4 Depth=1
	v_div_scale_f32 v15, null, v19, v19, v13
	v_div_scale_f32 v16, null, v20, v20, v14
	v_div_scale_f32 v57, vcc_lo, v13, v19, v13
	s_delay_alu instid0(VALU_DEP_3) | instskip(NEXT) | instid1(VALU_DEP_2)
	v_rcp_f32_e32 v17, v15
	v_rcp_f32_e32 v18, v16
	s_waitcnt_depctr 0xfff
	v_fma_f32 v23, -v15, v17, 1.0
	v_fma_f32 v24, -v16, v18, 1.0
	s_delay_alu instid0(VALU_DEP_1) | instskip(SKIP_1) | instid1(VALU_DEP_2)
	v_dual_fmac_f32 v17, v23, v17 :: v_dual_fmac_f32 v18, v24, v18
	v_div_scale_f32 v23, s6, v14, v20, v14
	v_mul_f32_e32 v24, v57, v17
	s_delay_alu instid0(VALU_DEP_2) | instskip(NEXT) | instid1(VALU_DEP_2)
	v_mul_f32_e32 v58, v23, v18
	v_fma_f32 v59, -v15, v24, v57
	s_delay_alu instid0(VALU_DEP_2) | instskip(NEXT) | instid1(VALU_DEP_2)
	v_fma_f32 v60, -v16, v58, v23
	v_fmac_f32_e32 v24, v59, v17
	s_delay_alu instid0(VALU_DEP_2) | instskip(NEXT) | instid1(VALU_DEP_2)
	v_fmac_f32_e32 v58, v60, v18
	v_fma_f32 v15, -v15, v24, v57
	s_delay_alu instid0(VALU_DEP_2) | instskip(NEXT) | instid1(VALU_DEP_2)
	v_fma_f32 v16, -v16, v58, v23
	v_div_fmas_f32 v15, v15, v17, v24
	s_mov_b32 vcc_lo, s6
	s_delay_alu instid0(VALU_DEP_2) | instskip(NEXT) | instid1(VALU_DEP_2)
	v_div_fmas_f32 v16, v16, v18, v58
	v_div_fixup_f32 v18, v15, v19, v13
	s_delay_alu instid0(VALU_DEP_2)
	v_div_fixup_f32 v17, v16, v20, v14
.LBB74_76:                              ;   in Loop: Header=BB74_4 Depth=1
	s_or_b32 exec_lo, exec_lo, s27
                                        ; implicit-def: $vgpr16
                                        ; implicit-def: $vgpr13
.LBB74_77:                              ;   in Loop: Header=BB74_4 Depth=1
	s_and_not1_saveexec_b32 s6, s7
	s_cbranch_execz .LBB74_79
; %bb.78:                               ;   in Loop: Header=BB74_4 Depth=1
	v_div_scale_f32 v17, null, v16, v16, v15
	v_div_scale_f32 v20, vcc_lo, v15, v16, v15
	s_delay_alu instid0(VALU_DEP_2) | instskip(SKIP_2) | instid1(VALU_DEP_1)
	v_rcp_f32_e32 v18, v17
	s_waitcnt_depctr 0xfff
	v_fma_f32 v19, -v17, v18, 1.0
	v_fmac_f32_e32 v18, v19, v18
	s_delay_alu instid0(VALU_DEP_1) | instskip(NEXT) | instid1(VALU_DEP_1)
	v_mul_f32_e32 v19, v20, v18
	v_fma_f32 v23, -v17, v19, v20
	s_delay_alu instid0(VALU_DEP_1) | instskip(NEXT) | instid1(VALU_DEP_1)
	v_fmac_f32_e32 v19, v23, v18
	v_fma_f32 v17, -v17, v19, v20
	s_delay_alu instid0(VALU_DEP_1) | instskip(NEXT) | instid1(VALU_DEP_1)
	v_div_fmas_f32 v17, v17, v18, v19
	v_div_fixup_f32 v17, v17, v16, v15
	s_delay_alu instid0(VALU_DEP_1) | instskip(NEXT) | instid1(VALU_DEP_1)
	v_fmac_f32_e32 v16, v15, v17
	v_div_scale_f32 v15, null, v16, v16, 1.0
	v_div_scale_f32 v20, vcc_lo, 1.0, v16, 1.0
	s_delay_alu instid0(VALU_DEP_2) | instskip(SKIP_2) | instid1(VALU_DEP_1)
	v_rcp_f32_e32 v18, v15
	s_waitcnt_depctr 0xfff
	v_fma_f32 v19, -v15, v18, 1.0
	v_fmac_f32_e32 v18, v19, v18
	s_delay_alu instid0(VALU_DEP_1) | instskip(NEXT) | instid1(VALU_DEP_1)
	v_mul_f32_e32 v19, v20, v18
	v_fma_f32 v23, -v15, v19, v20
	s_delay_alu instid0(VALU_DEP_1) | instskip(NEXT) | instid1(VALU_DEP_1)
	v_fmac_f32_e32 v19, v23, v18
	v_fma_f32 v15, -v15, v19, v20
	s_delay_alu instid0(VALU_DEP_1) | instskip(SKIP_2) | instid1(VALU_DEP_3)
	v_div_fmas_f32 v15, v15, v18, v19
	v_fma_f32 v18, v13, v17, v14
	v_fma_f32 v13, v14, v17, -v13
	v_div_fixup_f32 v15, v15, v16, 1.0
	s_delay_alu instid0(VALU_DEP_1) | instskip(NEXT) | instid1(VALU_DEP_3)
	v_mul_f32_e32 v18, v18, v15
	v_mul_f32_e32 v17, v13, v15
.LBB74_79:                              ;   in Loop: Header=BB74_4 Depth=1
	s_or_b32 exec_lo, exec_lo, s6
.LBB74_80:                              ;   in Loop: Header=BB74_4 Depth=1
	v_cmp_gt_f32_e32 vcc_lo, 0, v11
	v_cndmask_b32_e64 v13, v11, -v11, vcc_lo
	v_cmp_gt_f32_e32 vcc_lo, 0, v12
	v_cndmask_b32_e64 v14, v12, -v12, vcc_lo
	s_and_not1_b32 vcc_lo, exec_lo, s24
	s_delay_alu instid0(VALU_DEP_1)
	v_cmp_ge_f32_e64 s6, v13, v14
	s_cbranch_vccnz .LBB74_90
; %bb.81:                               ;   in Loop: Header=BB74_4 Depth=1
                                        ; implicit-def: $vgpr15
                                        ; implicit-def: $vgpr19
	s_delay_alu instid0(VALU_DEP_1) | instskip(NEXT) | instid1(SALU_CYCLE_1)
	s_and_saveexec_b32 s7, s6
	s_xor_b32 s27, exec_lo, s7
	s_cbranch_execz .LBB74_87
; %bb.82:                               ;   in Loop: Header=BB74_4 Depth=1
	v_cmp_neq_f32_e32 vcc_lo, 0, v11
	v_cmp_neq_f32_e64 s7, 0, v12
                                        ; implicit-def: $vgpr15
                                        ; implicit-def: $vgpr19
	s_delay_alu instid0(VALU_DEP_1) | instskip(NEXT) | instid1(SALU_CYCLE_1)
	s_or_b32 s7, s7, vcc_lo
	s_and_saveexec_b32 s28, s7
	s_delay_alu instid0(SALU_CYCLE_1)
	s_xor_b32 s7, exec_lo, s28
	s_cbranch_execz .LBB74_84
; %bb.83:                               ;   in Loop: Header=BB74_4 Depth=1
	v_div_scale_f32 v15, null, v11, v11, v12
	v_div_scale_f32 v20, vcc_lo, v12, v11, v12
	s_delay_alu instid0(VALU_DEP_2) | instskip(SKIP_2) | instid1(VALU_DEP_1)
	v_rcp_f32_e32 v16, v15
	s_waitcnt_depctr 0xfff
	v_fma_f32 v19, -v15, v16, 1.0
	v_fmac_f32_e32 v16, v19, v16
	s_delay_alu instid0(VALU_DEP_1) | instskip(NEXT) | instid1(VALU_DEP_1)
	v_mul_f32_e32 v19, v20, v16
	v_fma_f32 v23, -v15, v19, v20
	s_delay_alu instid0(VALU_DEP_1) | instskip(NEXT) | instid1(VALU_DEP_1)
	v_fmac_f32_e32 v19, v23, v16
	v_fma_f32 v15, -v15, v19, v20
	s_delay_alu instid0(VALU_DEP_1) | instskip(NEXT) | instid1(VALU_DEP_1)
	v_div_fmas_f32 v15, v15, v16, v19
	v_div_fixup_f32 v15, v15, v11, v12
	s_delay_alu instid0(VALU_DEP_1) | instskip(NEXT) | instid1(VALU_DEP_1)
	v_fma_f32 v16, v12, v15, v11
	v_div_scale_f32 v19, null, v16, v16, 1.0
	v_div_scale_f32 v24, vcc_lo, 1.0, v16, 1.0
	s_delay_alu instid0(VALU_DEP_2) | instskip(SKIP_2) | instid1(VALU_DEP_1)
	v_rcp_f32_e32 v20, v19
	s_waitcnt_depctr 0xfff
	v_fma_f32 v23, -v19, v20, 1.0
	v_fmac_f32_e32 v20, v23, v20
	s_delay_alu instid0(VALU_DEP_1) | instskip(NEXT) | instid1(VALU_DEP_1)
	v_mul_f32_e32 v23, v24, v20
	v_fma_f32 v57, -v19, v23, v24
	s_delay_alu instid0(VALU_DEP_1) | instskip(NEXT) | instid1(VALU_DEP_1)
	v_fmac_f32_e32 v23, v57, v20
	v_fma_f32 v19, -v19, v23, v24
	s_delay_alu instid0(VALU_DEP_1) | instskip(SKIP_2) | instid1(VALU_DEP_3)
	v_div_fmas_f32 v19, v19, v20, v23
	v_fma_f32 v20, v10, v15, v9
	v_fma_f32 v15, -v9, v15, v10
	v_div_fixup_f32 v16, v19, v16, 1.0
	s_delay_alu instid0(VALU_DEP_1) | instskip(NEXT) | instid1(VALU_DEP_3)
	v_mul_f32_e32 v19, v20, v16
	v_mul_f32_e32 v15, v15, v16
.LBB74_84:                              ;   in Loop: Header=BB74_4 Depth=1
	s_and_not1_saveexec_b32 s28, s7
	s_cbranch_execz .LBB74_86
; %bb.85:                               ;   in Loop: Header=BB74_4 Depth=1
	v_div_scale_f32 v15, null, v13, v13, v9
	v_div_scale_f32 v16, null, v14, v14, v10
	v_div_scale_f32 v57, vcc_lo, v9, v13, v9
	s_delay_alu instid0(VALU_DEP_3) | instskip(NEXT) | instid1(VALU_DEP_2)
	v_rcp_f32_e32 v19, v15
	v_rcp_f32_e32 v20, v16
	s_waitcnt_depctr 0xfff
	v_fma_f32 v23, -v15, v19, 1.0
	v_fma_f32 v24, -v16, v20, 1.0
	s_delay_alu instid0(VALU_DEP_1) | instskip(SKIP_1) | instid1(VALU_DEP_2)
	v_dual_fmac_f32 v19, v23, v19 :: v_dual_fmac_f32 v20, v24, v20
	v_div_scale_f32 v23, s7, v10, v14, v10
	v_mul_f32_e32 v24, v57, v19
	s_delay_alu instid0(VALU_DEP_2) | instskip(NEXT) | instid1(VALU_DEP_2)
	v_mul_f32_e32 v58, v23, v20
	v_fma_f32 v59, -v15, v24, v57
	s_delay_alu instid0(VALU_DEP_2) | instskip(NEXT) | instid1(VALU_DEP_2)
	v_fma_f32 v60, -v16, v58, v23
	v_fmac_f32_e32 v24, v59, v19
	s_delay_alu instid0(VALU_DEP_2) | instskip(NEXT) | instid1(VALU_DEP_2)
	v_fmac_f32_e32 v58, v60, v20
	v_fma_f32 v15, -v15, v24, v57
	s_delay_alu instid0(VALU_DEP_2) | instskip(NEXT) | instid1(VALU_DEP_2)
	v_fma_f32 v16, -v16, v58, v23
	v_div_fmas_f32 v15, v15, v19, v24
	s_mov_b32 vcc_lo, s7
	s_delay_alu instid0(VALU_DEP_2) | instskip(NEXT) | instid1(VALU_DEP_2)
	v_div_fmas_f32 v16, v16, v20, v58
	v_div_fixup_f32 v19, v15, v13, v9
	s_delay_alu instid0(VALU_DEP_2)
	v_div_fixup_f32 v15, v16, v14, v10
.LBB74_86:                              ;   in Loop: Header=BB74_4 Depth=1
	s_or_b32 exec_lo, exec_lo, s28
.LBB74_87:                              ;   in Loop: Header=BB74_4 Depth=1
	s_and_not1_saveexec_b32 s7, s27
	s_cbranch_execz .LBB74_89
; %bb.88:                               ;   in Loop: Header=BB74_4 Depth=1
	v_div_scale_f32 v15, null, v12, v12, v11
	v_div_scale_f32 v20, vcc_lo, v11, v12, v11
	s_delay_alu instid0(VALU_DEP_2) | instskip(SKIP_2) | instid1(VALU_DEP_1)
	v_rcp_f32_e32 v16, v15
	s_waitcnt_depctr 0xfff
	v_fma_f32 v19, -v15, v16, 1.0
	v_fmac_f32_e32 v16, v19, v16
	s_delay_alu instid0(VALU_DEP_1) | instskip(NEXT) | instid1(VALU_DEP_1)
	v_mul_f32_e32 v19, v20, v16
	v_fma_f32 v23, -v15, v19, v20
	s_delay_alu instid0(VALU_DEP_1) | instskip(NEXT) | instid1(VALU_DEP_1)
	v_fmac_f32_e32 v19, v23, v16
	v_fma_f32 v15, -v15, v19, v20
	s_delay_alu instid0(VALU_DEP_1) | instskip(NEXT) | instid1(VALU_DEP_1)
	v_div_fmas_f32 v15, v15, v16, v19
	v_div_fixup_f32 v15, v15, v12, v11
	s_delay_alu instid0(VALU_DEP_1) | instskip(NEXT) | instid1(VALU_DEP_1)
	v_fma_f32 v16, v11, v15, v12
	v_div_scale_f32 v19, null, v16, v16, 1.0
	v_div_scale_f32 v24, vcc_lo, 1.0, v16, 1.0
	s_delay_alu instid0(VALU_DEP_2) | instskip(SKIP_2) | instid1(VALU_DEP_1)
	v_rcp_f32_e32 v20, v19
	s_waitcnt_depctr 0xfff
	v_fma_f32 v23, -v19, v20, 1.0
	v_fmac_f32_e32 v20, v23, v20
	s_delay_alu instid0(VALU_DEP_1) | instskip(NEXT) | instid1(VALU_DEP_1)
	v_mul_f32_e32 v23, v24, v20
	v_fma_f32 v57, -v19, v23, v24
	s_delay_alu instid0(VALU_DEP_1) | instskip(NEXT) | instid1(VALU_DEP_1)
	v_fmac_f32_e32 v23, v57, v20
	v_fma_f32 v19, -v19, v23, v24
	s_delay_alu instid0(VALU_DEP_1) | instskip(SKIP_2) | instid1(VALU_DEP_3)
	v_div_fmas_f32 v19, v19, v20, v23
	v_fma_f32 v20, v9, v15, v10
	v_fma_f32 v15, v10, v15, -v9
	v_div_fixup_f32 v16, v19, v16, 1.0
	s_delay_alu instid0(VALU_DEP_1) | instskip(NEXT) | instid1(VALU_DEP_3)
	v_mul_f32_e32 v19, v20, v16
	v_mul_f32_e32 v15, v15, v16
.LBB74_89:                              ;   in Loop: Header=BB74_4 Depth=1
	s_or_b32 exec_lo, exec_lo, s7
	s_delay_alu instid0(VALU_DEP_1) | instskip(SKIP_1) | instid1(VALU_DEP_2)
	v_mul_f32_e32 v16, s9, v15
	v_mul_f32_e32 v15, s8, v15
	v_fma_f32 v16, v19, s8, -v16
	s_delay_alu instid0(VALU_DEP_2)
	v_fmac_f32_e32 v15, s9, v19
	s_branch .LBB74_100
.LBB74_90:                              ;   in Loop: Header=BB74_4 Depth=1
                                        ; implicit-def: $vgpr15
                                        ; implicit-def: $vgpr16
	s_cbranch_execz .LBB74_100
; %bb.91:                               ;   in Loop: Header=BB74_4 Depth=1
                                        ; implicit-def: $vgpr15
                                        ; implicit-def: $vgpr16
	s_delay_alu instid0(VALU_DEP_1) | instskip(NEXT) | instid1(SALU_CYCLE_1)
	s_and_saveexec_b32 s7, s6
	s_xor_b32 s7, exec_lo, s7
	s_cbranch_execz .LBB74_97
; %bb.92:                               ;   in Loop: Header=BB74_4 Depth=1
	v_cmp_neq_f32_e32 vcc_lo, 0, v11
	v_cmp_neq_f32_e64 s6, 0, v12
                                        ; implicit-def: $vgpr15
                                        ; implicit-def: $vgpr16
	s_delay_alu instid0(VALU_DEP_1) | instskip(NEXT) | instid1(SALU_CYCLE_1)
	s_or_b32 s6, s6, vcc_lo
	s_and_saveexec_b32 s27, s6
	s_delay_alu instid0(SALU_CYCLE_1)
	s_xor_b32 s6, exec_lo, s27
	s_cbranch_execz .LBB74_94
; %bb.93:                               ;   in Loop: Header=BB74_4 Depth=1
	v_div_scale_f32 v13, null, v11, v11, v12
	v_div_scale_f32 v16, vcc_lo, v12, v11, v12
	s_delay_alu instid0(VALU_DEP_2) | instskip(SKIP_2) | instid1(VALU_DEP_1)
	v_rcp_f32_e32 v14, v13
	s_waitcnt_depctr 0xfff
	v_fma_f32 v15, -v13, v14, 1.0
	v_fmac_f32_e32 v14, v15, v14
	s_delay_alu instid0(VALU_DEP_1) | instskip(NEXT) | instid1(VALU_DEP_1)
	v_mul_f32_e32 v15, v16, v14
	v_fma_f32 v19, -v13, v15, v16
	s_delay_alu instid0(VALU_DEP_1) | instskip(NEXT) | instid1(VALU_DEP_1)
	v_fmac_f32_e32 v15, v19, v14
	v_fma_f32 v13, -v13, v15, v16
	s_delay_alu instid0(VALU_DEP_1) | instskip(NEXT) | instid1(VALU_DEP_1)
	v_div_fmas_f32 v13, v13, v14, v15
	v_div_fixup_f32 v13, v13, v11, v12
	s_delay_alu instid0(VALU_DEP_1) | instskip(NEXT) | instid1(VALU_DEP_1)
	v_fmac_f32_e32 v11, v12, v13
	v_div_scale_f32 v12, null, v11, v11, 1.0
	v_div_scale_f32 v16, vcc_lo, 1.0, v11, 1.0
	s_delay_alu instid0(VALU_DEP_2) | instskip(SKIP_2) | instid1(VALU_DEP_1)
	v_rcp_f32_e32 v14, v12
	s_waitcnt_depctr 0xfff
	v_fma_f32 v15, -v12, v14, 1.0
	v_fmac_f32_e32 v14, v15, v14
	s_delay_alu instid0(VALU_DEP_1) | instskip(NEXT) | instid1(VALU_DEP_1)
	v_mul_f32_e32 v15, v16, v14
	v_fma_f32 v19, -v12, v15, v16
	s_delay_alu instid0(VALU_DEP_1) | instskip(NEXT) | instid1(VALU_DEP_1)
	v_fmac_f32_e32 v15, v19, v14
	v_fma_f32 v12, -v12, v15, v16
	s_delay_alu instid0(VALU_DEP_1) | instskip(SKIP_2) | instid1(VALU_DEP_3)
	v_div_fmas_f32 v12, v12, v14, v15
	v_fma_f32 v14, v10, v13, v9
	v_fma_f32 v9, -v9, v13, v10
                                        ; implicit-def: $vgpr13
	v_div_fixup_f32 v11, v12, v11, 1.0
	s_delay_alu instid0(VALU_DEP_1) | instskip(NEXT) | instid1(VALU_DEP_4)
	v_mul_f32_e32 v15, v9, v11
	v_mul_f32_e32 v16, v14, v11
                                        ; implicit-def: $vgpr9
                                        ; implicit-def: $vgpr14
.LBB74_94:                              ;   in Loop: Header=BB74_4 Depth=1
	s_and_not1_saveexec_b32 s27, s6
	s_cbranch_execz .LBB74_96
; %bb.95:                               ;   in Loop: Header=BB74_4 Depth=1
	v_div_scale_f32 v11, null, v13, v13, v9
	v_div_scale_f32 v12, null, v14, v14, v10
	v_div_scale_f32 v23, vcc_lo, v9, v13, v9
	s_delay_alu instid0(VALU_DEP_3) | instskip(NEXT) | instid1(VALU_DEP_2)
	v_rcp_f32_e32 v15, v11
	v_rcp_f32_e32 v16, v12
	s_waitcnt_depctr 0xfff
	v_fma_f32 v19, -v11, v15, 1.0
	v_fma_f32 v20, -v12, v16, 1.0
	s_delay_alu instid0(VALU_DEP_1) | instskip(SKIP_1) | instid1(VALU_DEP_2)
	v_dual_fmac_f32 v15, v19, v15 :: v_dual_fmac_f32 v16, v20, v16
	v_div_scale_f32 v19, s6, v10, v14, v10
	v_mul_f32_e32 v20, v23, v15
	s_delay_alu instid0(VALU_DEP_2) | instskip(NEXT) | instid1(VALU_DEP_2)
	v_mul_f32_e32 v24, v19, v16
	v_fma_f32 v57, -v11, v20, v23
	s_delay_alu instid0(VALU_DEP_2) | instskip(NEXT) | instid1(VALU_DEP_2)
	v_fma_f32 v58, -v12, v24, v19
	v_fmac_f32_e32 v20, v57, v15
	s_delay_alu instid0(VALU_DEP_2) | instskip(NEXT) | instid1(VALU_DEP_2)
	v_fmac_f32_e32 v24, v58, v16
	v_fma_f32 v11, -v11, v20, v23
	s_delay_alu instid0(VALU_DEP_2) | instskip(NEXT) | instid1(VALU_DEP_2)
	v_fma_f32 v12, -v12, v24, v19
	v_div_fmas_f32 v11, v11, v15, v20
	s_mov_b32 vcc_lo, s6
	s_delay_alu instid0(VALU_DEP_2) | instskip(NEXT) | instid1(VALU_DEP_2)
	v_div_fmas_f32 v12, v12, v16, v24
	v_div_fixup_f32 v16, v11, v13, v9
	s_delay_alu instid0(VALU_DEP_2)
	v_div_fixup_f32 v15, v12, v14, v10
.LBB74_96:                              ;   in Loop: Header=BB74_4 Depth=1
	s_or_b32 exec_lo, exec_lo, s27
                                        ; implicit-def: $vgpr12
                                        ; implicit-def: $vgpr9
.LBB74_97:                              ;   in Loop: Header=BB74_4 Depth=1
	s_and_not1_saveexec_b32 s6, s7
	s_cbranch_execz .LBB74_99
; %bb.98:                               ;   in Loop: Header=BB74_4 Depth=1
	v_div_scale_f32 v13, null, v12, v12, v11
	v_div_scale_f32 v16, vcc_lo, v11, v12, v11
	s_delay_alu instid0(VALU_DEP_2) | instskip(SKIP_2) | instid1(VALU_DEP_1)
	v_rcp_f32_e32 v14, v13
	s_waitcnt_depctr 0xfff
	v_fma_f32 v15, -v13, v14, 1.0
	v_fmac_f32_e32 v14, v15, v14
	s_delay_alu instid0(VALU_DEP_1) | instskip(NEXT) | instid1(VALU_DEP_1)
	v_mul_f32_e32 v15, v16, v14
	v_fma_f32 v19, -v13, v15, v16
	s_delay_alu instid0(VALU_DEP_1) | instskip(NEXT) | instid1(VALU_DEP_1)
	v_fmac_f32_e32 v15, v19, v14
	v_fma_f32 v13, -v13, v15, v16
	s_delay_alu instid0(VALU_DEP_1) | instskip(NEXT) | instid1(VALU_DEP_1)
	v_div_fmas_f32 v13, v13, v14, v15
	v_div_fixup_f32 v13, v13, v12, v11
	s_delay_alu instid0(VALU_DEP_1) | instskip(NEXT) | instid1(VALU_DEP_1)
	v_fmac_f32_e32 v12, v11, v13
	v_div_scale_f32 v11, null, v12, v12, 1.0
	v_div_scale_f32 v16, vcc_lo, 1.0, v12, 1.0
	s_delay_alu instid0(VALU_DEP_2) | instskip(SKIP_2) | instid1(VALU_DEP_1)
	v_rcp_f32_e32 v14, v11
	s_waitcnt_depctr 0xfff
	v_fma_f32 v15, -v11, v14, 1.0
	v_fmac_f32_e32 v14, v15, v14
	s_delay_alu instid0(VALU_DEP_1) | instskip(NEXT) | instid1(VALU_DEP_1)
	v_mul_f32_e32 v15, v16, v14
	v_fma_f32 v19, -v11, v15, v16
	s_delay_alu instid0(VALU_DEP_1) | instskip(NEXT) | instid1(VALU_DEP_1)
	v_fmac_f32_e32 v15, v19, v14
	v_fma_f32 v11, -v11, v15, v16
	s_delay_alu instid0(VALU_DEP_1) | instskip(SKIP_2) | instid1(VALU_DEP_3)
	v_div_fmas_f32 v11, v11, v14, v15
	v_fma_f32 v14, v9, v13, v10
	v_fma_f32 v9, v10, v13, -v9
	v_div_fixup_f32 v11, v11, v12, 1.0
	s_delay_alu instid0(VALU_DEP_1) | instskip(NEXT) | instid1(VALU_DEP_3)
	v_mul_f32_e32 v16, v14, v11
	v_mul_f32_e32 v15, v9, v11
.LBB74_99:                              ;   in Loop: Header=BB74_4 Depth=1
	s_or_b32 exec_lo, exec_lo, s6
.LBB74_100:                             ;   in Loop: Header=BB74_4 Depth=1
	s_and_saveexec_b32 s6, s2
	s_delay_alu instid0(SALU_CYCLE_1)
	s_xor_b32 s2, exec_lo, s6
	s_cbranch_execnz .LBB74_104
; %bb.101:                              ;   in Loop: Header=BB74_4 Depth=1
	s_or_b32 exec_lo, exec_lo, s2
	s_and_saveexec_b32 s2, s3
	s_cbranch_execnz .LBB74_105
.LBB74_102:                             ;   in Loop: Header=BB74_4 Depth=1
	s_or_b32 exec_lo, exec_lo, s2
	s_and_saveexec_b32 s2, s4
	s_cbranch_execnz .LBB74_106
.LBB74_103:                             ;   in Loop: Header=BB74_4 Depth=1
	s_or_b32 exec_lo, exec_lo, s2
	s_and_saveexec_b32 s2, s5
	s_cbranch_execz .LBB74_3
	s_branch .LBB74_107
.LBB74_104:                             ;   in Loop: Header=BB74_4 Depth=1
	v_add_co_u32 v9, vcc_lo, v25, s12
	v_dual_add_f32 v1, v1, v56 :: v_dual_add_f32 v2, v2, v55
	v_add_co_ci_u32_e32 v10, vcc_lo, s13, v26, vcc_lo
	global_store_b64 v[9:10], v[1:2], off
	s_or_b32 exec_lo, exec_lo, s2
	s_and_saveexec_b32 s2, s3
	s_cbranch_execz .LBB74_102
.LBB74_105:                             ;   in Loop: Header=BB74_4 Depth=1
	v_dual_add_f32 v1, v3, v22 :: v_dual_add_f32 v2, v4, v21
	v_add_co_u32 v3, vcc_lo, v49, s12
	v_add_co_ci_u32_e32 v4, vcc_lo, s13, v50, vcc_lo
	global_store_b64 v[3:4], v[1:2], off
	s_or_b32 exec_lo, exec_lo, s2
	s_and_saveexec_b32 s2, s4
	s_cbranch_execz .LBB74_103
.LBB74_106:                             ;   in Loop: Header=BB74_4 Depth=1
	v_add_co_u32 v3, vcc_lo, v39, s12
	v_dual_add_f32 v1, v5, v18 :: v_dual_add_f32 v2, v6, v17
	v_add_co_ci_u32_e32 v4, vcc_lo, s13, v40, vcc_lo
	global_store_b64 v[3:4], v[1:2], off
	s_or_b32 exec_lo, exec_lo, s2
	s_and_saveexec_b32 s2, s5
	s_cbranch_execz .LBB74_3
.LBB74_107:                             ;   in Loop: Header=BB74_4 Depth=1
	v_add_co_u32 v3, vcc_lo, v31, s12
	v_dual_add_f32 v1, v7, v16 :: v_dual_add_f32 v2, v8, v15
	v_add_co_ci_u32_e32 v4, vcc_lo, s13, v32, vcc_lo
	global_store_b64 v[3:4], v[1:2], off
	s_branch .LBB74_3
.LBB74_108:
	s_mov_b32 s14, 0
.LBB74_109:
	s_delay_alu instid0(SALU_CYCLE_1)
	s_and_not1_b32 vcc_lo, exec_lo, s14
	s_cbranch_vccnz .LBB74_193
; %bb.110:
	v_dual_mov_b32 v25, 0 :: v_dual_lshlrev_b32 v24, 2, v0
	s_mov_b32 s2, 0
	s_mov_b32 s3, exec_lo
	s_delay_alu instid0(VALU_DEP_1)
	v_cmpx_gt_i64_e64 s[10:11], v[24:25]
	s_cbranch_execz .LBB74_193
; %bb.111:
	s_load_b32 s0, s[0:1], 0xc64
	s_waitcnt lgkmcnt(0)
	s_and_b32 s1, s9, 0x7fffffff
	v_lshlrev_b32_e32 v28, 5, v0
	s_cmp_lg_u32 s1, 0
	v_cmp_neq_f32_e64 s1, s8, 1.0
	s_cselect_b32 s3, -1, 0
	s_delay_alu instid0(VALU_DEP_1) | instid1(SALU_CYCLE_1)
	s_or_b32 s3, s1, s3
	s_and_b32 s0, s0, 0xffff
	s_delay_alu instid0(SALU_CYCLE_1)
	v_add_lshl_u32 v24, v0, s0, 2
	s_lshl_b32 s4, s0, 2
	s_lshl_b32 s5, s0, 5
	s_branch .LBB74_114
.LBB74_112:                             ;   in Loop: Header=BB74_114 Depth=1
	s_or_b32 exec_lo, exec_lo, s0
.LBB74_113:                             ;   in Loop: Header=BB74_114 Depth=1
	v_cmp_le_i64_e32 vcc_lo, s[10:11], v[24:25]
	v_cmp_lt_u64_e64 s0, 0xffff, v[24:25]
	v_dual_add_f32 v6, v6, v32 :: v_dual_add_f32 v7, v7, v31
	v_dual_add_f32 v4, v4, v30 :: v_dual_add_f32 v5, v5, v29
	;; [unrolled: 1-line block ×3, first 2 shown]
	s_delay_alu instid0(VALU_DEP_4)
	s_or_b32 s0, vcc_lo, s0
	s_add_u32 s18, s18, s5
	s_addc_u32 s19, s19, 0
	s_add_u32 s22, s22, s5
	v_add_co_u32 v24, vcc_lo, v24, s4
	s_addc_u32 s23, s23, 0
	s_add_u32 s20, s20, s5
	v_add_co_ci_u32_e32 v25, vcc_lo, 0, v25, vcc_lo
	s_addc_u32 s21, s21, 0
	v_dual_add_f32 v2, v2, v19 :: v_dual_add_f32 v3, v3, v18
	s_and_b32 s0, exec_lo, s0
	s_clause 0x1
	global_store_b128 v[26:27], v[4:7], off
	global_store_b128 v[26:27], v[0:3], off offset:16
	s_or_b32 s2, s0, s2
	s_delay_alu instid0(SALU_CYCLE_1)
	s_and_not1_b32 exec_lo, exec_lo, s2
	s_cbranch_execz .LBB74_193
.LBB74_114:                             ; =>This Inner Loop Header: Depth=1
	v_add_co_u32 v0, s0, s22, v28
	s_delay_alu instid0(VALU_DEP_1) | instskip(SKIP_1) | instid1(VALU_DEP_1)
	v_add_co_ci_u32_e64 v1, null, s23, 0, s0
	v_add_co_u32 v26, s0, s18, v28
	v_add_co_ci_u32_e64 v27, null, s19, 0, s0
	global_load_b128 v[20:23], v[0:1], off
	v_add_co_u32 v16, s0, s20, v28
	s_delay_alu instid0(VALU_DEP_1)
	v_add_co_ci_u32_e64 v17, null, s21, 0, s0
	global_load_b128 v[12:15], v[0:1], off offset:16
	s_clause 0x1
	global_load_b128 v[0:3], v[26:27], off offset:16
	global_load_b128 v[4:7], v[26:27], off
	s_clause 0x1
	global_load_b128 v[8:11], v[16:17], off offset:16
	global_load_b128 v[16:19], v[16:17], off
	s_waitcnt vmcnt(5)
	v_cmp_gt_f32_e32 vcc_lo, 0, v20
	v_cndmask_b32_e64 v31, v20, -v20, vcc_lo
	v_cmp_gt_f32_e32 vcc_lo, 0, v21
	v_cndmask_b32_e64 v32, v21, -v21, vcc_lo
	s_and_b32 vcc_lo, exec_lo, s3
	s_delay_alu instid0(VALU_DEP_1)
	v_cmp_ge_f32_e64 s0, v31, v32
	s_cbranch_vccz .LBB74_124
; %bb.115:                              ;   in Loop: Header=BB74_114 Depth=1
                                        ; implicit-def: $vgpr29
                                        ; implicit-def: $vgpr33
	s_delay_alu instid0(VALU_DEP_1) | instskip(NEXT) | instid1(SALU_CYCLE_1)
	s_and_saveexec_b32 s1, s0
	s_xor_b32 s6, exec_lo, s1
	s_cbranch_execz .LBB74_121
; %bb.116:                              ;   in Loop: Header=BB74_114 Depth=1
	v_cmp_neq_f32_e32 vcc_lo, 0, v20
	v_cmp_neq_f32_e64 s1, 0, v21
                                        ; implicit-def: $vgpr29
                                        ; implicit-def: $vgpr33
	s_delay_alu instid0(VALU_DEP_1) | instskip(NEXT) | instid1(SALU_CYCLE_1)
	s_or_b32 s1, vcc_lo, s1
	s_and_saveexec_b32 s7, s1
	s_delay_alu instid0(SALU_CYCLE_1)
	s_xor_b32 s1, exec_lo, s7
	s_cbranch_execz .LBB74_118
; %bb.117:                              ;   in Loop: Header=BB74_114 Depth=1
	v_div_scale_f32 v29, null, v20, v20, v21
	v_div_scale_f32 v34, vcc_lo, v21, v20, v21
	s_delay_alu instid0(VALU_DEP_2) | instskip(SKIP_2) | instid1(VALU_DEP_1)
	v_rcp_f32_e32 v30, v29
	s_waitcnt_depctr 0xfff
	v_fma_f32 v33, -v29, v30, 1.0
	v_fmac_f32_e32 v30, v33, v30
	s_delay_alu instid0(VALU_DEP_1) | instskip(NEXT) | instid1(VALU_DEP_1)
	v_mul_f32_e32 v33, v34, v30
	v_fma_f32 v35, -v29, v33, v34
	s_delay_alu instid0(VALU_DEP_1) | instskip(NEXT) | instid1(VALU_DEP_1)
	v_fmac_f32_e32 v33, v35, v30
	v_fma_f32 v29, -v29, v33, v34
	s_delay_alu instid0(VALU_DEP_1) | instskip(NEXT) | instid1(VALU_DEP_1)
	v_div_fmas_f32 v29, v29, v30, v33
	v_div_fixup_f32 v29, v29, v20, v21
	s_delay_alu instid0(VALU_DEP_1) | instskip(NEXT) | instid1(VALU_DEP_1)
	v_fma_f32 v30, v21, v29, v20
	v_div_scale_f32 v33, null, v30, v30, 1.0
	v_div_scale_f32 v36, vcc_lo, 1.0, v30, 1.0
	s_delay_alu instid0(VALU_DEP_2) | instskip(SKIP_2) | instid1(VALU_DEP_1)
	v_rcp_f32_e32 v34, v33
	s_waitcnt_depctr 0xfff
	v_fma_f32 v35, -v33, v34, 1.0
	v_fmac_f32_e32 v34, v35, v34
	s_delay_alu instid0(VALU_DEP_1) | instskip(NEXT) | instid1(VALU_DEP_1)
	v_mul_f32_e32 v35, v36, v34
	v_fma_f32 v37, -v33, v35, v36
	s_delay_alu instid0(VALU_DEP_1) | instskip(NEXT) | instid1(VALU_DEP_1)
	v_fmac_f32_e32 v35, v37, v34
	v_fma_f32 v33, -v33, v35, v36
	s_delay_alu instid0(VALU_DEP_1) | instskip(SKIP_3) | instid1(VALU_DEP_3)
	v_div_fmas_f32 v33, v33, v34, v35
	s_waitcnt vmcnt(0)
	v_fma_f32 v34, v17, v29, v16
	v_fma_f32 v29, -v16, v29, v17
	v_div_fixup_f32 v30, v33, v30, 1.0
	s_delay_alu instid0(VALU_DEP_1) | instskip(NEXT) | instid1(VALU_DEP_3)
	v_mul_f32_e32 v33, v34, v30
	v_mul_f32_e32 v29, v29, v30
.LBB74_118:                             ;   in Loop: Header=BB74_114 Depth=1
	s_and_not1_saveexec_b32 s7, s1
	s_cbranch_execz .LBB74_120
; %bb.119:                              ;   in Loop: Header=BB74_114 Depth=1
	s_waitcnt vmcnt(0)
	v_div_scale_f32 v29, null, v31, v31, v16
	v_div_scale_f32 v30, null, v32, v32, v17
	v_div_scale_f32 v37, vcc_lo, v16, v31, v16
	s_delay_alu instid0(VALU_DEP_3) | instskip(NEXT) | instid1(VALU_DEP_2)
	v_rcp_f32_e32 v33, v29
	v_rcp_f32_e32 v34, v30
	s_waitcnt_depctr 0xfff
	v_fma_f32 v35, -v29, v33, 1.0
	v_fma_f32 v36, -v30, v34, 1.0
	s_delay_alu instid0(VALU_DEP_1) | instskip(SKIP_1) | instid1(VALU_DEP_2)
	v_dual_fmac_f32 v33, v35, v33 :: v_dual_fmac_f32 v34, v36, v34
	v_div_scale_f32 v35, s1, v17, v32, v17
	v_mul_f32_e32 v36, v37, v33
	s_delay_alu instid0(VALU_DEP_2) | instskip(NEXT) | instid1(VALU_DEP_2)
	v_mul_f32_e32 v38, v35, v34
	v_fma_f32 v39, -v29, v36, v37
	s_delay_alu instid0(VALU_DEP_2) | instskip(NEXT) | instid1(VALU_DEP_2)
	v_fma_f32 v40, -v30, v38, v35
	v_fmac_f32_e32 v36, v39, v33
	s_delay_alu instid0(VALU_DEP_2) | instskip(NEXT) | instid1(VALU_DEP_2)
	v_fmac_f32_e32 v38, v40, v34
	v_fma_f32 v29, -v29, v36, v37
	s_delay_alu instid0(VALU_DEP_2) | instskip(NEXT) | instid1(VALU_DEP_2)
	v_fma_f32 v30, -v30, v38, v35
	v_div_fmas_f32 v29, v29, v33, v36
	s_mov_b32 vcc_lo, s1
	s_delay_alu instid0(VALU_DEP_2) | instskip(NEXT) | instid1(VALU_DEP_2)
	v_div_fmas_f32 v30, v30, v34, v38
	v_div_fixup_f32 v33, v29, v31, v16
	s_delay_alu instid0(VALU_DEP_2)
	v_div_fixup_f32 v29, v30, v32, v17
.LBB74_120:                             ;   in Loop: Header=BB74_114 Depth=1
	s_or_b32 exec_lo, exec_lo, s7
.LBB74_121:                             ;   in Loop: Header=BB74_114 Depth=1
	s_and_not1_saveexec_b32 s1, s6
	s_cbranch_execz .LBB74_123
; %bb.122:                              ;   in Loop: Header=BB74_114 Depth=1
	v_div_scale_f32 v29, null, v21, v21, v20
	v_div_scale_f32 v34, vcc_lo, v20, v21, v20
	s_delay_alu instid0(VALU_DEP_2) | instskip(SKIP_2) | instid1(VALU_DEP_1)
	v_rcp_f32_e32 v30, v29
	s_waitcnt_depctr 0xfff
	v_fma_f32 v33, -v29, v30, 1.0
	v_fmac_f32_e32 v30, v33, v30
	s_delay_alu instid0(VALU_DEP_1) | instskip(NEXT) | instid1(VALU_DEP_1)
	v_mul_f32_e32 v33, v34, v30
	v_fma_f32 v35, -v29, v33, v34
	s_delay_alu instid0(VALU_DEP_1) | instskip(NEXT) | instid1(VALU_DEP_1)
	v_fmac_f32_e32 v33, v35, v30
	v_fma_f32 v29, -v29, v33, v34
	s_delay_alu instid0(VALU_DEP_1) | instskip(NEXT) | instid1(VALU_DEP_1)
	v_div_fmas_f32 v29, v29, v30, v33
	v_div_fixup_f32 v29, v29, v21, v20
	s_delay_alu instid0(VALU_DEP_1) | instskip(NEXT) | instid1(VALU_DEP_1)
	v_fma_f32 v30, v20, v29, v21
	v_div_scale_f32 v33, null, v30, v30, 1.0
	v_div_scale_f32 v36, vcc_lo, 1.0, v30, 1.0
	s_delay_alu instid0(VALU_DEP_2) | instskip(SKIP_2) | instid1(VALU_DEP_1)
	v_rcp_f32_e32 v34, v33
	s_waitcnt_depctr 0xfff
	v_fma_f32 v35, -v33, v34, 1.0
	v_fmac_f32_e32 v34, v35, v34
	s_delay_alu instid0(VALU_DEP_1) | instskip(NEXT) | instid1(VALU_DEP_1)
	v_mul_f32_e32 v35, v36, v34
	v_fma_f32 v37, -v33, v35, v36
	s_delay_alu instid0(VALU_DEP_1) | instskip(NEXT) | instid1(VALU_DEP_1)
	v_fmac_f32_e32 v35, v37, v34
	v_fma_f32 v33, -v33, v35, v36
	s_delay_alu instid0(VALU_DEP_1) | instskip(SKIP_3) | instid1(VALU_DEP_3)
	v_div_fmas_f32 v33, v33, v34, v35
	s_waitcnt vmcnt(0)
	v_fma_f32 v34, v16, v29, v17
	v_fma_f32 v29, v17, v29, -v16
	v_div_fixup_f32 v30, v33, v30, 1.0
	s_delay_alu instid0(VALU_DEP_1) | instskip(NEXT) | instid1(VALU_DEP_3)
	v_mul_f32_e32 v33, v34, v30
	v_mul_f32_e32 v29, v29, v30
.LBB74_123:                             ;   in Loop: Header=BB74_114 Depth=1
	s_or_b32 exec_lo, exec_lo, s1
	s_delay_alu instid0(VALU_DEP_1) | instskip(SKIP_1) | instid1(VALU_DEP_2)
	v_mul_f32_e32 v30, s9, v29
	v_mul_f32_e32 v29, s8, v29
	v_fma_f32 v30, v33, s8, -v30
	s_delay_alu instid0(VALU_DEP_2)
	v_fmac_f32_e32 v29, s9, v33
	s_branch .LBB74_134
.LBB74_124:                             ;   in Loop: Header=BB74_114 Depth=1
                                        ; implicit-def: $vgpr29
                                        ; implicit-def: $vgpr30
	s_cbranch_execz .LBB74_134
; %bb.125:                              ;   in Loop: Header=BB74_114 Depth=1
                                        ; implicit-def: $vgpr29
                                        ; implicit-def: $vgpr30
	s_delay_alu instid0(VALU_DEP_1) | instskip(NEXT) | instid1(SALU_CYCLE_1)
	s_and_saveexec_b32 s1, s0
	s_xor_b32 s1, exec_lo, s1
	s_cbranch_execz .LBB74_131
; %bb.126:                              ;   in Loop: Header=BB74_114 Depth=1
	v_cmp_neq_f32_e32 vcc_lo, 0, v20
	v_cmp_neq_f32_e64 s0, 0, v21
                                        ; implicit-def: $vgpr29
                                        ; implicit-def: $vgpr30
	s_delay_alu instid0(VALU_DEP_1) | instskip(NEXT) | instid1(SALU_CYCLE_1)
	s_or_b32 s0, vcc_lo, s0
	s_and_saveexec_b32 s6, s0
	s_delay_alu instid0(SALU_CYCLE_1)
	s_xor_b32 s0, exec_lo, s6
	s_cbranch_execz .LBB74_128
; %bb.127:                              ;   in Loop: Header=BB74_114 Depth=1
	v_div_scale_f32 v29, null, v20, v20, v21
	v_div_scale_f32 v32, vcc_lo, v21, v20, v21
	s_delay_alu instid0(VALU_DEP_2) | instskip(SKIP_2) | instid1(VALU_DEP_1)
	v_rcp_f32_e32 v30, v29
	s_waitcnt_depctr 0xfff
	v_fma_f32 v31, -v29, v30, 1.0
	v_fmac_f32_e32 v30, v31, v30
	s_delay_alu instid0(VALU_DEP_1) | instskip(NEXT) | instid1(VALU_DEP_1)
	v_mul_f32_e32 v31, v32, v30
	v_fma_f32 v33, -v29, v31, v32
	s_delay_alu instid0(VALU_DEP_1) | instskip(NEXT) | instid1(VALU_DEP_1)
	v_fmac_f32_e32 v31, v33, v30
	v_fma_f32 v29, -v29, v31, v32
	s_delay_alu instid0(VALU_DEP_1) | instskip(NEXT) | instid1(VALU_DEP_1)
	v_div_fmas_f32 v29, v29, v30, v31
	v_div_fixup_f32 v29, v29, v20, v21
	s_delay_alu instid0(VALU_DEP_1) | instskip(NEXT) | instid1(VALU_DEP_1)
	v_fma_f32 v30, v21, v29, v20
	v_div_scale_f32 v31, null, v30, v30, 1.0
	v_div_scale_f32 v34, vcc_lo, 1.0, v30, 1.0
	s_delay_alu instid0(VALU_DEP_2) | instskip(SKIP_2) | instid1(VALU_DEP_1)
	v_rcp_f32_e32 v32, v31
	s_waitcnt_depctr 0xfff
	v_fma_f32 v33, -v31, v32, 1.0
	v_fmac_f32_e32 v32, v33, v32
	s_delay_alu instid0(VALU_DEP_1) | instskip(NEXT) | instid1(VALU_DEP_1)
	v_mul_f32_e32 v33, v34, v32
	v_fma_f32 v35, -v31, v33, v34
	s_delay_alu instid0(VALU_DEP_1) | instskip(NEXT) | instid1(VALU_DEP_1)
	v_fmac_f32_e32 v33, v35, v32
	v_fma_f32 v31, -v31, v33, v34
	s_delay_alu instid0(VALU_DEP_1) | instskip(SKIP_3) | instid1(VALU_DEP_3)
	v_div_fmas_f32 v31, v31, v32, v33
	s_waitcnt vmcnt(0)
	v_fma_f32 v32, v17, v29, v16
	v_fma_f32 v29, -v16, v29, v17
	v_div_fixup_f32 v31, v31, v30, 1.0
	s_delay_alu instid0(VALU_DEP_1) | instskip(NEXT) | instid1(VALU_DEP_3)
	v_mul_f32_e32 v30, v32, v31
	v_mul_f32_e32 v29, v29, v31
                                        ; implicit-def: $vgpr31
                                        ; implicit-def: $vgpr32
.LBB74_128:                             ;   in Loop: Header=BB74_114 Depth=1
	s_and_not1_saveexec_b32 s6, s0
	s_cbranch_execz .LBB74_130
; %bb.129:                              ;   in Loop: Header=BB74_114 Depth=1
	s_waitcnt vmcnt(0)
	v_div_scale_f32 v29, null, v31, v31, v16
	v_div_scale_f32 v30, null, v32, v32, v17
	v_div_scale_f32 v37, vcc_lo, v16, v31, v16
	s_delay_alu instid0(VALU_DEP_3) | instskip(NEXT) | instid1(VALU_DEP_2)
	v_rcp_f32_e32 v33, v29
	v_rcp_f32_e32 v34, v30
	s_waitcnt_depctr 0xfff
	v_fma_f32 v35, -v29, v33, 1.0
	v_fma_f32 v36, -v30, v34, 1.0
	s_delay_alu instid0(VALU_DEP_1) | instskip(SKIP_1) | instid1(VALU_DEP_2)
	v_dual_fmac_f32 v33, v35, v33 :: v_dual_fmac_f32 v34, v36, v34
	v_div_scale_f32 v35, s0, v17, v32, v17
	v_mul_f32_e32 v36, v37, v33
	s_delay_alu instid0(VALU_DEP_2) | instskip(NEXT) | instid1(VALU_DEP_2)
	v_mul_f32_e32 v38, v35, v34
	v_fma_f32 v39, -v29, v36, v37
	s_delay_alu instid0(VALU_DEP_2) | instskip(NEXT) | instid1(VALU_DEP_2)
	v_fma_f32 v40, -v30, v38, v35
	v_fmac_f32_e32 v36, v39, v33
	s_delay_alu instid0(VALU_DEP_2) | instskip(NEXT) | instid1(VALU_DEP_2)
	v_fmac_f32_e32 v38, v40, v34
	v_fma_f32 v29, -v29, v36, v37
	s_delay_alu instid0(VALU_DEP_2) | instskip(NEXT) | instid1(VALU_DEP_2)
	v_fma_f32 v30, -v30, v38, v35
	v_div_fmas_f32 v29, v29, v33, v36
	s_mov_b32 vcc_lo, s0
	s_delay_alu instid0(VALU_DEP_2) | instskip(NEXT) | instid1(VALU_DEP_2)
	v_div_fmas_f32 v33, v30, v34, v38
	v_div_fixup_f32 v30, v29, v31, v16
	s_delay_alu instid0(VALU_DEP_2)
	v_div_fixup_f32 v29, v33, v32, v17
.LBB74_130:                             ;   in Loop: Header=BB74_114 Depth=1
	s_or_b32 exec_lo, exec_lo, s6
.LBB74_131:                             ;   in Loop: Header=BB74_114 Depth=1
	s_and_not1_saveexec_b32 s0, s1
	s_cbranch_execz .LBB74_133
; %bb.132:                              ;   in Loop: Header=BB74_114 Depth=1
	v_div_scale_f32 v29, null, v21, v21, v20
	v_div_scale_f32 v32, vcc_lo, v20, v21, v20
	s_delay_alu instid0(VALU_DEP_2) | instskip(SKIP_2) | instid1(VALU_DEP_1)
	v_rcp_f32_e32 v30, v29
	s_waitcnt_depctr 0xfff
	v_fma_f32 v31, -v29, v30, 1.0
	v_fmac_f32_e32 v30, v31, v30
	s_delay_alu instid0(VALU_DEP_1) | instskip(NEXT) | instid1(VALU_DEP_1)
	v_mul_f32_e32 v31, v32, v30
	v_fma_f32 v33, -v29, v31, v32
	s_delay_alu instid0(VALU_DEP_1) | instskip(NEXT) | instid1(VALU_DEP_1)
	v_fmac_f32_e32 v31, v33, v30
	v_fma_f32 v29, -v29, v31, v32
	s_delay_alu instid0(VALU_DEP_1) | instskip(NEXT) | instid1(VALU_DEP_1)
	v_div_fmas_f32 v29, v29, v30, v31
	v_div_fixup_f32 v29, v29, v21, v20
	s_delay_alu instid0(VALU_DEP_1) | instskip(NEXT) | instid1(VALU_DEP_1)
	v_fma_f32 v20, v20, v29, v21
	v_div_scale_f32 v21, null, v20, v20, 1.0
	v_div_scale_f32 v32, vcc_lo, 1.0, v20, 1.0
	s_delay_alu instid0(VALU_DEP_2) | instskip(SKIP_2) | instid1(VALU_DEP_1)
	v_rcp_f32_e32 v30, v21
	s_waitcnt_depctr 0xfff
	v_fma_f32 v31, -v21, v30, 1.0
	v_fmac_f32_e32 v30, v31, v30
	s_delay_alu instid0(VALU_DEP_1) | instskip(NEXT) | instid1(VALU_DEP_1)
	v_mul_f32_e32 v31, v32, v30
	v_fma_f32 v33, -v21, v31, v32
	s_delay_alu instid0(VALU_DEP_1) | instskip(NEXT) | instid1(VALU_DEP_1)
	v_fmac_f32_e32 v31, v33, v30
	v_fma_f32 v21, -v21, v31, v32
	s_delay_alu instid0(VALU_DEP_1) | instskip(SKIP_3) | instid1(VALU_DEP_3)
	v_div_fmas_f32 v21, v21, v30, v31
	s_waitcnt vmcnt(0)
	v_fma_f32 v30, v16, v29, v17
	v_fma_f32 v16, v17, v29, -v16
	v_div_fixup_f32 v20, v21, v20, 1.0
	s_delay_alu instid0(VALU_DEP_1) | instskip(NEXT) | instid1(VALU_DEP_3)
	v_mul_f32_e32 v30, v30, v20
	v_mul_f32_e32 v29, v16, v20
.LBB74_133:                             ;   in Loop: Header=BB74_114 Depth=1
	s_or_b32 exec_lo, exec_lo, s0
.LBB74_134:                             ;   in Loop: Header=BB74_114 Depth=1
	v_cmp_gt_f32_e32 vcc_lo, 0, v22
	v_cndmask_b32_e64 v20, v22, -v22, vcc_lo
	v_cmp_gt_f32_e32 vcc_lo, 0, v23
	s_waitcnt vmcnt(0)
	v_cndmask_b32_e64 v16, v23, -v23, vcc_lo
	s_and_not1_b32 vcc_lo, exec_lo, s3
	s_delay_alu instid0(VALU_DEP_1)
	v_cmp_ge_f32_e64 s0, v20, v16
	s_cbranch_vccnz .LBB74_144
; %bb.135:                              ;   in Loop: Header=BB74_114 Depth=1
                                        ; implicit-def: $vgpr21
                                        ; implicit-def: $vgpr17
	s_delay_alu instid0(VALU_DEP_1) | instskip(NEXT) | instid1(SALU_CYCLE_1)
	s_and_saveexec_b32 s1, s0
	s_xor_b32 s6, exec_lo, s1
	s_cbranch_execz .LBB74_141
; %bb.136:                              ;   in Loop: Header=BB74_114 Depth=1
	v_cmp_neq_f32_e32 vcc_lo, 0, v22
	v_cmp_neq_f32_e64 s1, 0, v23
                                        ; implicit-def: $vgpr21
                                        ; implicit-def: $vgpr17
	s_delay_alu instid0(VALU_DEP_1) | instskip(NEXT) | instid1(SALU_CYCLE_1)
	s_or_b32 s1, vcc_lo, s1
	s_and_saveexec_b32 s7, s1
	s_delay_alu instid0(SALU_CYCLE_1)
	s_xor_b32 s1, exec_lo, s7
	s_cbranch_execz .LBB74_138
; %bb.137:                              ;   in Loop: Header=BB74_114 Depth=1
	v_div_scale_f32 v17, null, v22, v22, v23
	v_div_scale_f32 v32, vcc_lo, v23, v22, v23
	s_delay_alu instid0(VALU_DEP_2) | instskip(SKIP_2) | instid1(VALU_DEP_1)
	v_rcp_f32_e32 v21, v17
	s_waitcnt_depctr 0xfff
	v_fma_f32 v31, -v17, v21, 1.0
	v_fmac_f32_e32 v21, v31, v21
	s_delay_alu instid0(VALU_DEP_1) | instskip(NEXT) | instid1(VALU_DEP_1)
	v_mul_f32_e32 v31, v32, v21
	v_fma_f32 v33, -v17, v31, v32
	s_delay_alu instid0(VALU_DEP_1) | instskip(NEXT) | instid1(VALU_DEP_1)
	v_fmac_f32_e32 v31, v33, v21
	v_fma_f32 v17, -v17, v31, v32
	s_delay_alu instid0(VALU_DEP_1) | instskip(NEXT) | instid1(VALU_DEP_1)
	v_div_fmas_f32 v17, v17, v21, v31
	v_div_fixup_f32 v17, v17, v22, v23
	s_delay_alu instid0(VALU_DEP_1) | instskip(NEXT) | instid1(VALU_DEP_1)
	v_fma_f32 v21, v23, v17, v22
	v_div_scale_f32 v31, null, v21, v21, 1.0
	v_div_scale_f32 v34, vcc_lo, 1.0, v21, 1.0
	s_delay_alu instid0(VALU_DEP_2) | instskip(SKIP_2) | instid1(VALU_DEP_1)
	v_rcp_f32_e32 v32, v31
	s_waitcnt_depctr 0xfff
	v_fma_f32 v33, -v31, v32, 1.0
	v_fmac_f32_e32 v32, v33, v32
	s_delay_alu instid0(VALU_DEP_1) | instskip(NEXT) | instid1(VALU_DEP_1)
	v_mul_f32_e32 v33, v34, v32
	v_fma_f32 v35, -v31, v33, v34
	s_delay_alu instid0(VALU_DEP_1) | instskip(NEXT) | instid1(VALU_DEP_1)
	v_fmac_f32_e32 v33, v35, v32
	v_fma_f32 v31, -v31, v33, v34
	s_delay_alu instid0(VALU_DEP_1) | instskip(SKIP_1) | instid1(VALU_DEP_2)
	v_div_fmas_f32 v31, v31, v32, v33
	v_fma_f32 v32, v19, v17, v18
	v_div_fixup_f32 v21, v31, v21, 1.0
	v_fma_f32 v31, -v18, v17, v19
	s_delay_alu instid0(VALU_DEP_2) | instskip(NEXT) | instid1(VALU_DEP_2)
	v_mul_f32_e32 v17, v32, v21
	v_mul_f32_e32 v21, v31, v21
.LBB74_138:                             ;   in Loop: Header=BB74_114 Depth=1
	s_and_not1_saveexec_b32 s7, s1
	s_cbranch_execz .LBB74_140
; %bb.139:                              ;   in Loop: Header=BB74_114 Depth=1
	v_div_scale_f32 v17, null, v20, v20, v18
	v_div_scale_f32 v21, null, v16, v16, v19
	v_div_scale_f32 v35, vcc_lo, v18, v20, v18
	s_delay_alu instid0(VALU_DEP_3) | instskip(NEXT) | instid1(VALU_DEP_2)
	v_rcp_f32_e32 v31, v17
	v_rcp_f32_e32 v32, v21
	s_waitcnt_depctr 0xfff
	v_fma_f32 v33, -v17, v31, 1.0
	v_fma_f32 v34, -v21, v32, 1.0
	s_delay_alu instid0(VALU_DEP_1) | instskip(SKIP_1) | instid1(VALU_DEP_2)
	v_dual_fmac_f32 v31, v33, v31 :: v_dual_fmac_f32 v32, v34, v32
	v_div_scale_f32 v33, s1, v19, v16, v19
	v_mul_f32_e32 v34, v35, v31
	s_delay_alu instid0(VALU_DEP_2) | instskip(NEXT) | instid1(VALU_DEP_2)
	v_mul_f32_e32 v36, v33, v32
	v_fma_f32 v37, -v17, v34, v35
	s_delay_alu instid0(VALU_DEP_2) | instskip(NEXT) | instid1(VALU_DEP_2)
	v_fma_f32 v38, -v21, v36, v33
	v_fmac_f32_e32 v34, v37, v31
	s_delay_alu instid0(VALU_DEP_2) | instskip(NEXT) | instid1(VALU_DEP_2)
	v_fmac_f32_e32 v36, v38, v32
	v_fma_f32 v17, -v17, v34, v35
	s_delay_alu instid0(VALU_DEP_2) | instskip(NEXT) | instid1(VALU_DEP_2)
	v_fma_f32 v21, -v21, v36, v33
	v_div_fmas_f32 v17, v17, v31, v34
	s_mov_b32 vcc_lo, s1
	s_delay_alu instid0(VALU_DEP_2) | instskip(NEXT) | instid1(VALU_DEP_2)
	v_div_fmas_f32 v21, v21, v32, v36
	v_div_fixup_f32 v17, v17, v20, v18
	s_delay_alu instid0(VALU_DEP_2)
	v_div_fixup_f32 v21, v21, v16, v19
.LBB74_140:                             ;   in Loop: Header=BB74_114 Depth=1
	s_or_b32 exec_lo, exec_lo, s7
.LBB74_141:                             ;   in Loop: Header=BB74_114 Depth=1
	s_and_not1_saveexec_b32 s1, s6
	s_cbranch_execz .LBB74_143
; %bb.142:                              ;   in Loop: Header=BB74_114 Depth=1
	v_div_scale_f32 v17, null, v23, v23, v22
	v_div_scale_f32 v32, vcc_lo, v22, v23, v22
	s_delay_alu instid0(VALU_DEP_2) | instskip(SKIP_2) | instid1(VALU_DEP_1)
	v_rcp_f32_e32 v21, v17
	s_waitcnt_depctr 0xfff
	v_fma_f32 v31, -v17, v21, 1.0
	v_fmac_f32_e32 v21, v31, v21
	s_delay_alu instid0(VALU_DEP_1) | instskip(NEXT) | instid1(VALU_DEP_1)
	v_mul_f32_e32 v31, v32, v21
	v_fma_f32 v33, -v17, v31, v32
	s_delay_alu instid0(VALU_DEP_1) | instskip(NEXT) | instid1(VALU_DEP_1)
	v_fmac_f32_e32 v31, v33, v21
	v_fma_f32 v17, -v17, v31, v32
	s_delay_alu instid0(VALU_DEP_1) | instskip(NEXT) | instid1(VALU_DEP_1)
	v_div_fmas_f32 v17, v17, v21, v31
	v_div_fixup_f32 v17, v17, v23, v22
	s_delay_alu instid0(VALU_DEP_1) | instskip(NEXT) | instid1(VALU_DEP_1)
	v_fma_f32 v21, v22, v17, v23
	v_div_scale_f32 v31, null, v21, v21, 1.0
	v_div_scale_f32 v34, vcc_lo, 1.0, v21, 1.0
	s_delay_alu instid0(VALU_DEP_2) | instskip(SKIP_2) | instid1(VALU_DEP_1)
	v_rcp_f32_e32 v32, v31
	s_waitcnt_depctr 0xfff
	v_fma_f32 v33, -v31, v32, 1.0
	v_fmac_f32_e32 v32, v33, v32
	s_delay_alu instid0(VALU_DEP_1) | instskip(NEXT) | instid1(VALU_DEP_1)
	v_mul_f32_e32 v33, v34, v32
	v_fma_f32 v35, -v31, v33, v34
	s_delay_alu instid0(VALU_DEP_1) | instskip(NEXT) | instid1(VALU_DEP_1)
	v_fmac_f32_e32 v33, v35, v32
	v_fma_f32 v31, -v31, v33, v34
	s_delay_alu instid0(VALU_DEP_1) | instskip(SKIP_1) | instid1(VALU_DEP_2)
	v_div_fmas_f32 v31, v31, v32, v33
	v_fma_f32 v32, v18, v17, v19
	v_div_fixup_f32 v21, v31, v21, 1.0
	v_fma_f32 v31, v19, v17, -v18
	s_delay_alu instid0(VALU_DEP_2) | instskip(NEXT) | instid1(VALU_DEP_2)
	v_mul_f32_e32 v17, v32, v21
	v_mul_f32_e32 v21, v31, v21
.LBB74_143:                             ;   in Loop: Header=BB74_114 Depth=1
	s_or_b32 exec_lo, exec_lo, s1
	s_delay_alu instid0(VALU_DEP_1) | instskip(SKIP_1) | instid1(VALU_DEP_2)
	v_mul_f32_e32 v32, s9, v21
	v_mul_f32_e32 v31, s8, v21
	v_fma_f32 v32, v17, s8, -v32
	s_delay_alu instid0(VALU_DEP_2)
	v_fmac_f32_e32 v31, s9, v17
	s_branch .LBB74_154
.LBB74_144:                             ;   in Loop: Header=BB74_114 Depth=1
                                        ; implicit-def: $vgpr31
                                        ; implicit-def: $vgpr32
	s_cbranch_execz .LBB74_154
; %bb.145:                              ;   in Loop: Header=BB74_114 Depth=1
                                        ; implicit-def: $vgpr31
                                        ; implicit-def: $vgpr32
	s_delay_alu instid0(VALU_DEP_1) | instskip(NEXT) | instid1(SALU_CYCLE_1)
	s_and_saveexec_b32 s1, s0
	s_xor_b32 s1, exec_lo, s1
	s_cbranch_execz .LBB74_151
; %bb.146:                              ;   in Loop: Header=BB74_114 Depth=1
	v_cmp_neq_f32_e32 vcc_lo, 0, v22
	v_cmp_neq_f32_e64 s0, 0, v23
                                        ; implicit-def: $vgpr31
                                        ; implicit-def: $vgpr32
	s_delay_alu instid0(VALU_DEP_1) | instskip(NEXT) | instid1(SALU_CYCLE_1)
	s_or_b32 s0, vcc_lo, s0
	s_and_saveexec_b32 s6, s0
	s_delay_alu instid0(SALU_CYCLE_1)
	s_xor_b32 s0, exec_lo, s6
	s_cbranch_execz .LBB74_148
; %bb.147:                              ;   in Loop: Header=BB74_114 Depth=1
	v_div_scale_f32 v16, null, v22, v22, v23
	v_div_scale_f32 v21, vcc_lo, v23, v22, v23
	s_delay_alu instid0(VALU_DEP_2) | instskip(SKIP_2) | instid1(VALU_DEP_1)
	v_rcp_f32_e32 v17, v16
	s_waitcnt_depctr 0xfff
	v_fma_f32 v20, -v16, v17, 1.0
	v_fmac_f32_e32 v17, v20, v17
	s_delay_alu instid0(VALU_DEP_1) | instskip(NEXT) | instid1(VALU_DEP_1)
	v_mul_f32_e32 v20, v21, v17
	v_fma_f32 v31, -v16, v20, v21
	s_delay_alu instid0(VALU_DEP_1) | instskip(NEXT) | instid1(VALU_DEP_1)
	v_fmac_f32_e32 v20, v31, v17
	v_fma_f32 v16, -v16, v20, v21
	s_delay_alu instid0(VALU_DEP_1) | instskip(NEXT) | instid1(VALU_DEP_1)
	v_div_fmas_f32 v16, v16, v17, v20
	v_div_fixup_f32 v16, v16, v22, v23
	s_delay_alu instid0(VALU_DEP_1) | instskip(NEXT) | instid1(VALU_DEP_1)
	v_fmac_f32_e32 v22, v23, v16
	v_div_scale_f32 v17, null, v22, v22, 1.0
	v_div_scale_f32 v23, vcc_lo, 1.0, v22, 1.0
	s_delay_alu instid0(VALU_DEP_2) | instskip(SKIP_2) | instid1(VALU_DEP_1)
	v_rcp_f32_e32 v20, v17
	s_waitcnt_depctr 0xfff
	v_fma_f32 v21, -v17, v20, 1.0
	v_fmac_f32_e32 v20, v21, v20
	s_delay_alu instid0(VALU_DEP_1) | instskip(NEXT) | instid1(VALU_DEP_1)
	v_mul_f32_e32 v21, v23, v20
	v_fma_f32 v31, -v17, v21, v23
	s_delay_alu instid0(VALU_DEP_1) | instskip(NEXT) | instid1(VALU_DEP_1)
	v_fmac_f32_e32 v21, v31, v20
	v_fma_f32 v17, -v17, v21, v23
	s_delay_alu instid0(VALU_DEP_1) | instskip(SKIP_2) | instid1(VALU_DEP_3)
	v_div_fmas_f32 v17, v17, v20, v21
	v_fma_f32 v20, v19, v16, v18
	v_fma_f32 v16, -v18, v16, v19
	v_div_fixup_f32 v17, v17, v22, 1.0
	s_delay_alu instid0(VALU_DEP_1) | instskip(NEXT) | instid1(VALU_DEP_3)
	v_mul_f32_e32 v32, v20, v17
	v_mul_f32_e32 v31, v16, v17
                                        ; implicit-def: $vgpr16_vgpr17_vgpr18_vgpr19
                                        ; implicit-def: $vgpr20
                                        ; implicit-def: $vgpr16
.LBB74_148:                             ;   in Loop: Header=BB74_114 Depth=1
	s_and_not1_saveexec_b32 s6, s0
	s_cbranch_execz .LBB74_150
; %bb.149:                              ;   in Loop: Header=BB74_114 Depth=1
	v_div_scale_f32 v17, null, v20, v20, v18
	v_div_scale_f32 v21, null, v16, v16, v19
	v_div_scale_f32 v33, vcc_lo, v18, v20, v18
	s_delay_alu instid0(VALU_DEP_3) | instskip(NEXT) | instid1(VALU_DEP_2)
	v_rcp_f32_e32 v22, v17
	v_rcp_f32_e32 v23, v21
	s_waitcnt_depctr 0xfff
	v_fma_f32 v31, -v17, v22, 1.0
	v_fma_f32 v32, -v21, v23, 1.0
	s_delay_alu instid0(VALU_DEP_1) | instskip(SKIP_1) | instid1(VALU_DEP_2)
	v_dual_fmac_f32 v22, v31, v22 :: v_dual_fmac_f32 v23, v32, v23
	v_div_scale_f32 v31, s0, v19, v16, v19
	v_mul_f32_e32 v32, v33, v22
	s_delay_alu instid0(VALU_DEP_2) | instskip(NEXT) | instid1(VALU_DEP_2)
	v_mul_f32_e32 v34, v31, v23
	v_fma_f32 v35, -v17, v32, v33
	s_delay_alu instid0(VALU_DEP_2) | instskip(NEXT) | instid1(VALU_DEP_2)
	v_fma_f32 v36, -v21, v34, v31
	v_fmac_f32_e32 v32, v35, v22
	s_delay_alu instid0(VALU_DEP_2) | instskip(NEXT) | instid1(VALU_DEP_2)
	v_fmac_f32_e32 v34, v36, v23
	v_fma_f32 v17, -v17, v32, v33
	s_delay_alu instid0(VALU_DEP_2) | instskip(NEXT) | instid1(VALU_DEP_2)
	v_fma_f32 v21, -v21, v34, v31
	v_div_fmas_f32 v17, v17, v22, v32
	s_mov_b32 vcc_lo, s0
	s_delay_alu instid0(VALU_DEP_2) | instskip(NEXT) | instid1(VALU_DEP_2)
	v_div_fmas_f32 v21, v21, v23, v34
	v_div_fixup_f32 v32, v17, v20, v18
	s_delay_alu instid0(VALU_DEP_2)
	v_div_fixup_f32 v31, v21, v16, v19
.LBB74_150:                             ;   in Loop: Header=BB74_114 Depth=1
	s_or_b32 exec_lo, exec_lo, s6
                                        ; implicit-def: $vgpr20_vgpr21_vgpr22_vgpr23
                                        ; implicit-def: $vgpr16_vgpr17_vgpr18_vgpr19
.LBB74_151:                             ;   in Loop: Header=BB74_114 Depth=1
	s_and_not1_saveexec_b32 s0, s1
	s_cbranch_execz .LBB74_153
; %bb.152:                              ;   in Loop: Header=BB74_114 Depth=1
	v_div_scale_f32 v16, null, v23, v23, v22
	v_div_scale_f32 v21, vcc_lo, v22, v23, v22
	s_delay_alu instid0(VALU_DEP_2) | instskip(SKIP_2) | instid1(VALU_DEP_1)
	v_rcp_f32_e32 v17, v16
	s_waitcnt_depctr 0xfff
	v_fma_f32 v20, -v16, v17, 1.0
	v_fmac_f32_e32 v17, v20, v17
	s_delay_alu instid0(VALU_DEP_1) | instskip(NEXT) | instid1(VALU_DEP_1)
	v_mul_f32_e32 v20, v21, v17
	v_fma_f32 v31, -v16, v20, v21
	s_delay_alu instid0(VALU_DEP_1) | instskip(NEXT) | instid1(VALU_DEP_1)
	v_fmac_f32_e32 v20, v31, v17
	v_fma_f32 v16, -v16, v20, v21
	s_delay_alu instid0(VALU_DEP_1) | instskip(NEXT) | instid1(VALU_DEP_1)
	v_div_fmas_f32 v16, v16, v17, v20
	v_div_fixup_f32 v16, v16, v23, v22
	s_delay_alu instid0(VALU_DEP_1) | instskip(NEXT) | instid1(VALU_DEP_1)
	v_fmac_f32_e32 v23, v22, v16
	v_div_scale_f32 v17, null, v23, v23, 1.0
	v_div_scale_f32 v22, vcc_lo, 1.0, v23, 1.0
	s_delay_alu instid0(VALU_DEP_2) | instskip(SKIP_2) | instid1(VALU_DEP_1)
	v_rcp_f32_e32 v20, v17
	s_waitcnt_depctr 0xfff
	v_fma_f32 v21, -v17, v20, 1.0
	v_fmac_f32_e32 v20, v21, v20
	s_delay_alu instid0(VALU_DEP_1) | instskip(NEXT) | instid1(VALU_DEP_1)
	v_mul_f32_e32 v21, v22, v20
	v_fma_f32 v31, -v17, v21, v22
	s_delay_alu instid0(VALU_DEP_1) | instskip(NEXT) | instid1(VALU_DEP_1)
	v_fmac_f32_e32 v21, v31, v20
	v_fma_f32 v17, -v17, v21, v22
	s_delay_alu instid0(VALU_DEP_1) | instskip(SKIP_2) | instid1(VALU_DEP_3)
	v_div_fmas_f32 v17, v17, v20, v21
	v_fma_f32 v20, v18, v16, v19
	v_fma_f32 v16, v19, v16, -v18
	v_div_fixup_f32 v17, v17, v23, 1.0
	s_delay_alu instid0(VALU_DEP_1) | instskip(NEXT) | instid1(VALU_DEP_3)
	v_mul_f32_e32 v32, v20, v17
	v_mul_f32_e32 v31, v16, v17
.LBB74_153:                             ;   in Loop: Header=BB74_114 Depth=1
	s_or_b32 exec_lo, exec_lo, s0
.LBB74_154:                             ;   in Loop: Header=BB74_114 Depth=1
	v_cmp_gt_f32_e32 vcc_lo, 0, v12
	v_cndmask_b32_e64 v18, v12, -v12, vcc_lo
	v_cmp_gt_f32_e32 vcc_lo, 0, v13
	v_cndmask_b32_e64 v19, v13, -v13, vcc_lo
	s_and_not1_b32 vcc_lo, exec_lo, s3
	s_delay_alu instid0(VALU_DEP_1)
	v_cmp_ge_f32_e64 s0, v18, v19
	s_cbranch_vccnz .LBB74_164
; %bb.155:                              ;   in Loop: Header=BB74_114 Depth=1
                                        ; implicit-def: $vgpr16
                                        ; implicit-def: $vgpr20
	s_delay_alu instid0(VALU_DEP_1) | instskip(NEXT) | instid1(SALU_CYCLE_1)
	s_and_saveexec_b32 s1, s0
	s_xor_b32 s6, exec_lo, s1
	s_cbranch_execz .LBB74_161
; %bb.156:                              ;   in Loop: Header=BB74_114 Depth=1
	v_cmp_neq_f32_e32 vcc_lo, 0, v12
	v_cmp_neq_f32_e64 s1, 0, v13
                                        ; implicit-def: $vgpr16
                                        ; implicit-def: $vgpr20
	s_delay_alu instid0(VALU_DEP_1) | instskip(NEXT) | instid1(SALU_CYCLE_1)
	s_or_b32 s1, vcc_lo, s1
	s_and_saveexec_b32 s7, s1
	s_delay_alu instid0(SALU_CYCLE_1)
	s_xor_b32 s1, exec_lo, s7
	s_cbranch_execz .LBB74_158
; %bb.157:                              ;   in Loop: Header=BB74_114 Depth=1
	v_div_scale_f32 v16, null, v12, v12, v13
	v_div_scale_f32 v21, vcc_lo, v13, v12, v13
	s_delay_alu instid0(VALU_DEP_2) | instskip(SKIP_2) | instid1(VALU_DEP_1)
	v_rcp_f32_e32 v17, v16
	s_waitcnt_depctr 0xfff
	v_fma_f32 v20, -v16, v17, 1.0
	v_fmac_f32_e32 v17, v20, v17
	s_delay_alu instid0(VALU_DEP_1) | instskip(NEXT) | instid1(VALU_DEP_1)
	v_mul_f32_e32 v20, v21, v17
	v_fma_f32 v22, -v16, v20, v21
	s_delay_alu instid0(VALU_DEP_1) | instskip(NEXT) | instid1(VALU_DEP_1)
	v_fmac_f32_e32 v20, v22, v17
	v_fma_f32 v16, -v16, v20, v21
	s_delay_alu instid0(VALU_DEP_1) | instskip(NEXT) | instid1(VALU_DEP_1)
	v_div_fmas_f32 v16, v16, v17, v20
	v_div_fixup_f32 v16, v16, v12, v13
	s_delay_alu instid0(VALU_DEP_1) | instskip(NEXT) | instid1(VALU_DEP_1)
	v_fma_f32 v17, v13, v16, v12
	v_div_scale_f32 v20, null, v17, v17, 1.0
	v_div_scale_f32 v23, vcc_lo, 1.0, v17, 1.0
	s_delay_alu instid0(VALU_DEP_2) | instskip(SKIP_2) | instid1(VALU_DEP_1)
	v_rcp_f32_e32 v21, v20
	s_waitcnt_depctr 0xfff
	v_fma_f32 v22, -v20, v21, 1.0
	v_fmac_f32_e32 v21, v22, v21
	s_delay_alu instid0(VALU_DEP_1) | instskip(NEXT) | instid1(VALU_DEP_1)
	v_mul_f32_e32 v22, v23, v21
	v_fma_f32 v33, -v20, v22, v23
	s_delay_alu instid0(VALU_DEP_1) | instskip(NEXT) | instid1(VALU_DEP_1)
	v_fmac_f32_e32 v22, v33, v21
	v_fma_f32 v20, -v20, v22, v23
	s_delay_alu instid0(VALU_DEP_1) | instskip(SKIP_2) | instid1(VALU_DEP_3)
	v_div_fmas_f32 v20, v20, v21, v22
	v_fma_f32 v21, v9, v16, v8
	v_fma_f32 v16, -v8, v16, v9
	v_div_fixup_f32 v17, v20, v17, 1.0
	s_delay_alu instid0(VALU_DEP_1) | instskip(NEXT) | instid1(VALU_DEP_3)
	v_mul_f32_e32 v20, v21, v17
	v_mul_f32_e32 v16, v16, v17
.LBB74_158:                             ;   in Loop: Header=BB74_114 Depth=1
	s_and_not1_saveexec_b32 s7, s1
	s_cbranch_execz .LBB74_160
; %bb.159:                              ;   in Loop: Header=BB74_114 Depth=1
	v_div_scale_f32 v16, null, v18, v18, v8
	v_div_scale_f32 v17, null, v19, v19, v9
	v_div_scale_f32 v33, vcc_lo, v8, v18, v8
	s_delay_alu instid0(VALU_DEP_3) | instskip(NEXT) | instid1(VALU_DEP_2)
	v_rcp_f32_e32 v20, v16
	v_rcp_f32_e32 v21, v17
	s_waitcnt_depctr 0xfff
	v_fma_f32 v22, -v16, v20, 1.0
	v_fma_f32 v23, -v17, v21, 1.0
	s_delay_alu instid0(VALU_DEP_1) | instskip(SKIP_1) | instid1(VALU_DEP_1)
	v_dual_fmac_f32 v20, v22, v20 :: v_dual_fmac_f32 v21, v23, v21
	v_div_scale_f32 v22, s1, v9, v19, v9
	v_dual_mul_f32 v23, v33, v20 :: v_dual_mul_f32 v34, v22, v21
	s_delay_alu instid0(VALU_DEP_1) | instskip(NEXT) | instid1(VALU_DEP_2)
	v_fma_f32 v35, -v16, v23, v33
	v_fma_f32 v36, -v17, v34, v22
	s_delay_alu instid0(VALU_DEP_1) | instskip(NEXT) | instid1(VALU_DEP_1)
	v_dual_fmac_f32 v23, v35, v20 :: v_dual_fmac_f32 v34, v36, v21
	v_fma_f32 v16, -v16, v23, v33
	s_delay_alu instid0(VALU_DEP_2) | instskip(NEXT) | instid1(VALU_DEP_2)
	v_fma_f32 v17, -v17, v34, v22
	v_div_fmas_f32 v16, v16, v20, v23
	s_mov_b32 vcc_lo, s1
	s_delay_alu instid0(VALU_DEP_2) | instskip(NEXT) | instid1(VALU_DEP_2)
	v_div_fmas_f32 v17, v17, v21, v34
	v_div_fixup_f32 v20, v16, v18, v8
	s_delay_alu instid0(VALU_DEP_2)
	v_div_fixup_f32 v16, v17, v19, v9
.LBB74_160:                             ;   in Loop: Header=BB74_114 Depth=1
	s_or_b32 exec_lo, exec_lo, s7
.LBB74_161:                             ;   in Loop: Header=BB74_114 Depth=1
	s_and_not1_saveexec_b32 s1, s6
	s_cbranch_execz .LBB74_163
; %bb.162:                              ;   in Loop: Header=BB74_114 Depth=1
	v_div_scale_f32 v16, null, v13, v13, v12
	v_div_scale_f32 v21, vcc_lo, v12, v13, v12
	s_delay_alu instid0(VALU_DEP_2) | instskip(SKIP_2) | instid1(VALU_DEP_1)
	v_rcp_f32_e32 v17, v16
	s_waitcnt_depctr 0xfff
	v_fma_f32 v20, -v16, v17, 1.0
	v_fmac_f32_e32 v17, v20, v17
	s_delay_alu instid0(VALU_DEP_1) | instskip(NEXT) | instid1(VALU_DEP_1)
	v_mul_f32_e32 v20, v21, v17
	v_fma_f32 v22, -v16, v20, v21
	s_delay_alu instid0(VALU_DEP_1) | instskip(NEXT) | instid1(VALU_DEP_1)
	v_fmac_f32_e32 v20, v22, v17
	v_fma_f32 v16, -v16, v20, v21
	s_delay_alu instid0(VALU_DEP_1) | instskip(NEXT) | instid1(VALU_DEP_1)
	v_div_fmas_f32 v16, v16, v17, v20
	v_div_fixup_f32 v16, v16, v13, v12
	s_delay_alu instid0(VALU_DEP_1) | instskip(NEXT) | instid1(VALU_DEP_1)
	v_fma_f32 v17, v12, v16, v13
	v_div_scale_f32 v20, null, v17, v17, 1.0
	v_div_scale_f32 v23, vcc_lo, 1.0, v17, 1.0
	s_delay_alu instid0(VALU_DEP_2) | instskip(SKIP_2) | instid1(VALU_DEP_1)
	v_rcp_f32_e32 v21, v20
	s_waitcnt_depctr 0xfff
	v_fma_f32 v22, -v20, v21, 1.0
	v_fmac_f32_e32 v21, v22, v21
	s_delay_alu instid0(VALU_DEP_1) | instskip(NEXT) | instid1(VALU_DEP_1)
	v_mul_f32_e32 v22, v23, v21
	v_fma_f32 v33, -v20, v22, v23
	s_delay_alu instid0(VALU_DEP_1) | instskip(NEXT) | instid1(VALU_DEP_1)
	v_fmac_f32_e32 v22, v33, v21
	v_fma_f32 v20, -v20, v22, v23
	s_delay_alu instid0(VALU_DEP_1) | instskip(SKIP_2) | instid1(VALU_DEP_3)
	v_div_fmas_f32 v20, v20, v21, v22
	v_fma_f32 v21, v8, v16, v9
	v_fma_f32 v16, v9, v16, -v8
	v_div_fixup_f32 v17, v20, v17, 1.0
	s_delay_alu instid0(VALU_DEP_1) | instskip(NEXT) | instid1(VALU_DEP_3)
	v_mul_f32_e32 v20, v21, v17
	v_mul_f32_e32 v16, v16, v17
.LBB74_163:                             ;   in Loop: Header=BB74_114 Depth=1
	s_or_b32 exec_lo, exec_lo, s1
	s_delay_alu instid0(VALU_DEP_1) | instskip(SKIP_1) | instid1(VALU_DEP_2)
	v_mul_f32_e32 v17, s9, v16
	v_mul_f32_e32 v16, s8, v16
	v_fma_f32 v17, v20, s8, -v17
	s_delay_alu instid0(VALU_DEP_2)
	v_fmac_f32_e32 v16, s9, v20
	s_branch .LBB74_174
.LBB74_164:                             ;   in Loop: Header=BB74_114 Depth=1
                                        ; implicit-def: $vgpr16
                                        ; implicit-def: $vgpr17
	s_cbranch_execz .LBB74_174
; %bb.165:                              ;   in Loop: Header=BB74_114 Depth=1
                                        ; implicit-def: $vgpr16
                                        ; implicit-def: $vgpr17
	s_delay_alu instid0(VALU_DEP_1) | instskip(NEXT) | instid1(SALU_CYCLE_1)
	s_and_saveexec_b32 s1, s0
	s_xor_b32 s1, exec_lo, s1
	s_cbranch_execz .LBB74_171
; %bb.166:                              ;   in Loop: Header=BB74_114 Depth=1
	v_cmp_neq_f32_e32 vcc_lo, 0, v12
	v_cmp_neq_f32_e64 s0, 0, v13
                                        ; implicit-def: $vgpr16
                                        ; implicit-def: $vgpr17
	s_delay_alu instid0(VALU_DEP_1) | instskip(NEXT) | instid1(SALU_CYCLE_1)
	s_or_b32 s0, vcc_lo, s0
	s_and_saveexec_b32 s6, s0
	s_delay_alu instid0(SALU_CYCLE_1)
	s_xor_b32 s0, exec_lo, s6
	s_cbranch_execz .LBB74_168
; %bb.167:                              ;   in Loop: Header=BB74_114 Depth=1
	v_div_scale_f32 v16, null, v12, v12, v13
	v_div_scale_f32 v19, vcc_lo, v13, v12, v13
	s_delay_alu instid0(VALU_DEP_2) | instskip(SKIP_2) | instid1(VALU_DEP_1)
	v_rcp_f32_e32 v17, v16
	s_waitcnt_depctr 0xfff
	v_fma_f32 v18, -v16, v17, 1.0
	v_fmac_f32_e32 v17, v18, v17
	s_delay_alu instid0(VALU_DEP_1) | instskip(NEXT) | instid1(VALU_DEP_1)
	v_mul_f32_e32 v18, v19, v17
	v_fma_f32 v20, -v16, v18, v19
	s_delay_alu instid0(VALU_DEP_1) | instskip(NEXT) | instid1(VALU_DEP_1)
	v_fmac_f32_e32 v18, v20, v17
	v_fma_f32 v16, -v16, v18, v19
	s_delay_alu instid0(VALU_DEP_1) | instskip(NEXT) | instid1(VALU_DEP_1)
	v_div_fmas_f32 v16, v16, v17, v18
	v_div_fixup_f32 v16, v16, v12, v13
	s_delay_alu instid0(VALU_DEP_1) | instskip(NEXT) | instid1(VALU_DEP_1)
	v_fma_f32 v17, v13, v16, v12
	v_div_scale_f32 v18, null, v17, v17, 1.0
	v_div_scale_f32 v21, vcc_lo, 1.0, v17, 1.0
	s_delay_alu instid0(VALU_DEP_2) | instskip(SKIP_2) | instid1(VALU_DEP_1)
	v_rcp_f32_e32 v19, v18
	s_waitcnt_depctr 0xfff
	v_fma_f32 v20, -v18, v19, 1.0
	v_fmac_f32_e32 v19, v20, v19
	s_delay_alu instid0(VALU_DEP_1) | instskip(NEXT) | instid1(VALU_DEP_1)
	v_mul_f32_e32 v20, v21, v19
	v_fma_f32 v22, -v18, v20, v21
	s_delay_alu instid0(VALU_DEP_1) | instskip(NEXT) | instid1(VALU_DEP_1)
	v_fmac_f32_e32 v20, v22, v19
	v_fma_f32 v18, -v18, v20, v21
	s_delay_alu instid0(VALU_DEP_1) | instskip(SKIP_2) | instid1(VALU_DEP_3)
	v_div_fmas_f32 v18, v18, v19, v20
	v_fma_f32 v19, v9, v16, v8
	v_fma_f32 v16, -v8, v16, v9
	v_div_fixup_f32 v18, v18, v17, 1.0
	s_delay_alu instid0(VALU_DEP_1) | instskip(NEXT) | instid1(VALU_DEP_3)
	v_mul_f32_e32 v17, v19, v18
	v_mul_f32_e32 v16, v16, v18
                                        ; implicit-def: $vgpr18
                                        ; implicit-def: $vgpr19
.LBB74_168:                             ;   in Loop: Header=BB74_114 Depth=1
	s_and_not1_saveexec_b32 s6, s0
	s_cbranch_execz .LBB74_170
; %bb.169:                              ;   in Loop: Header=BB74_114 Depth=1
	v_div_scale_f32 v16, null, v18, v18, v8
	v_div_scale_f32 v17, null, v19, v19, v9
	v_div_scale_f32 v33, vcc_lo, v8, v18, v8
	s_delay_alu instid0(VALU_DEP_3) | instskip(NEXT) | instid1(VALU_DEP_2)
	v_rcp_f32_e32 v20, v16
	v_rcp_f32_e32 v21, v17
	s_waitcnt_depctr 0xfff
	v_fma_f32 v22, -v16, v20, 1.0
	v_fma_f32 v23, -v17, v21, 1.0
	s_delay_alu instid0(VALU_DEP_1) | instskip(SKIP_1) | instid1(VALU_DEP_1)
	v_dual_fmac_f32 v20, v22, v20 :: v_dual_fmac_f32 v21, v23, v21
	v_div_scale_f32 v22, s0, v9, v19, v9
	v_dual_mul_f32 v23, v33, v20 :: v_dual_mul_f32 v34, v22, v21
	s_delay_alu instid0(VALU_DEP_1) | instskip(NEXT) | instid1(VALU_DEP_2)
	v_fma_f32 v35, -v16, v23, v33
	v_fma_f32 v36, -v17, v34, v22
	s_delay_alu instid0(VALU_DEP_1) | instskip(NEXT) | instid1(VALU_DEP_1)
	v_dual_fmac_f32 v23, v35, v20 :: v_dual_fmac_f32 v34, v36, v21
	v_fma_f32 v16, -v16, v23, v33
	s_delay_alu instid0(VALU_DEP_2) | instskip(NEXT) | instid1(VALU_DEP_2)
	v_fma_f32 v17, -v17, v34, v22
	v_div_fmas_f32 v16, v16, v20, v23
	s_mov_b32 vcc_lo, s0
	s_delay_alu instid0(VALU_DEP_2) | instskip(NEXT) | instid1(VALU_DEP_2)
	v_div_fmas_f32 v20, v17, v21, v34
	v_div_fixup_f32 v17, v16, v18, v8
	s_delay_alu instid0(VALU_DEP_2)
	v_div_fixup_f32 v16, v20, v19, v9
.LBB74_170:                             ;   in Loop: Header=BB74_114 Depth=1
	s_or_b32 exec_lo, exec_lo, s6
.LBB74_171:                             ;   in Loop: Header=BB74_114 Depth=1
	s_and_not1_saveexec_b32 s0, s1
	s_cbranch_execz .LBB74_173
; %bb.172:                              ;   in Loop: Header=BB74_114 Depth=1
	v_div_scale_f32 v16, null, v13, v13, v12
	v_div_scale_f32 v19, vcc_lo, v12, v13, v12
	s_delay_alu instid0(VALU_DEP_2) | instskip(SKIP_2) | instid1(VALU_DEP_1)
	v_rcp_f32_e32 v17, v16
	s_waitcnt_depctr 0xfff
	v_fma_f32 v18, -v16, v17, 1.0
	v_fmac_f32_e32 v17, v18, v17
	s_delay_alu instid0(VALU_DEP_1) | instskip(NEXT) | instid1(VALU_DEP_1)
	v_mul_f32_e32 v18, v19, v17
	v_fma_f32 v20, -v16, v18, v19
	s_delay_alu instid0(VALU_DEP_1) | instskip(NEXT) | instid1(VALU_DEP_1)
	v_fmac_f32_e32 v18, v20, v17
	v_fma_f32 v16, -v16, v18, v19
	s_delay_alu instid0(VALU_DEP_1) | instskip(NEXT) | instid1(VALU_DEP_1)
	v_div_fmas_f32 v16, v16, v17, v18
	v_div_fixup_f32 v16, v16, v13, v12
	s_delay_alu instid0(VALU_DEP_1) | instskip(NEXT) | instid1(VALU_DEP_1)
	v_fma_f32 v12, v12, v16, v13
	v_div_scale_f32 v13, null, v12, v12, 1.0
	v_div_scale_f32 v19, vcc_lo, 1.0, v12, 1.0
	s_delay_alu instid0(VALU_DEP_2) | instskip(SKIP_2) | instid1(VALU_DEP_1)
	v_rcp_f32_e32 v17, v13
	s_waitcnt_depctr 0xfff
	v_fma_f32 v18, -v13, v17, 1.0
	v_fmac_f32_e32 v17, v18, v17
	s_delay_alu instid0(VALU_DEP_1) | instskip(NEXT) | instid1(VALU_DEP_1)
	v_mul_f32_e32 v18, v19, v17
	v_fma_f32 v20, -v13, v18, v19
	s_delay_alu instid0(VALU_DEP_1) | instskip(NEXT) | instid1(VALU_DEP_1)
	v_fmac_f32_e32 v18, v20, v17
	v_fma_f32 v13, -v13, v18, v19
	s_delay_alu instid0(VALU_DEP_1) | instskip(SKIP_2) | instid1(VALU_DEP_3)
	v_div_fmas_f32 v13, v13, v17, v18
	v_fma_f32 v17, v8, v16, v9
	v_fma_f32 v8, v9, v16, -v8
	v_div_fixup_f32 v12, v13, v12, 1.0
	s_delay_alu instid0(VALU_DEP_1) | instskip(NEXT) | instid1(VALU_DEP_3)
	v_mul_f32_e32 v17, v17, v12
	v_mul_f32_e32 v16, v8, v12
.LBB74_173:                             ;   in Loop: Header=BB74_114 Depth=1
	s_or_b32 exec_lo, exec_lo, s0
.LBB74_174:                             ;   in Loop: Header=BB74_114 Depth=1
	v_cmp_gt_f32_e32 vcc_lo, 0, v14
	v_cndmask_b32_e64 v12, v14, -v14, vcc_lo
	v_cmp_gt_f32_e32 vcc_lo, 0, v15
	v_cndmask_b32_e64 v8, v15, -v15, vcc_lo
	s_and_not1_b32 vcc_lo, exec_lo, s3
	s_delay_alu instid0(VALU_DEP_1)
	v_cmp_ge_f32_e64 s0, v12, v8
	s_cbranch_vccnz .LBB74_184
; %bb.175:                              ;   in Loop: Header=BB74_114 Depth=1
                                        ; implicit-def: $vgpr13
                                        ; implicit-def: $vgpr9
	s_delay_alu instid0(VALU_DEP_1) | instskip(NEXT) | instid1(SALU_CYCLE_1)
	s_and_saveexec_b32 s1, s0
	s_xor_b32 s6, exec_lo, s1
	s_cbranch_execz .LBB74_181
; %bb.176:                              ;   in Loop: Header=BB74_114 Depth=1
	v_cmp_neq_f32_e32 vcc_lo, 0, v14
	v_cmp_neq_f32_e64 s1, 0, v15
                                        ; implicit-def: $vgpr13
                                        ; implicit-def: $vgpr9
	s_delay_alu instid0(VALU_DEP_1) | instskip(NEXT) | instid1(SALU_CYCLE_1)
	s_or_b32 s1, vcc_lo, s1
	s_and_saveexec_b32 s7, s1
	s_delay_alu instid0(SALU_CYCLE_1)
	s_xor_b32 s1, exec_lo, s7
	s_cbranch_execz .LBB74_178
; %bb.177:                              ;   in Loop: Header=BB74_114 Depth=1
	v_div_scale_f32 v9, null, v14, v14, v15
	v_div_scale_f32 v19, vcc_lo, v15, v14, v15
	s_delay_alu instid0(VALU_DEP_2) | instskip(SKIP_2) | instid1(VALU_DEP_1)
	v_rcp_f32_e32 v13, v9
	s_waitcnt_depctr 0xfff
	v_fma_f32 v18, -v9, v13, 1.0
	v_fmac_f32_e32 v13, v18, v13
	s_delay_alu instid0(VALU_DEP_1) | instskip(NEXT) | instid1(VALU_DEP_1)
	v_mul_f32_e32 v18, v19, v13
	v_fma_f32 v20, -v9, v18, v19
	s_delay_alu instid0(VALU_DEP_1) | instskip(NEXT) | instid1(VALU_DEP_1)
	v_fmac_f32_e32 v18, v20, v13
	v_fma_f32 v9, -v9, v18, v19
	s_delay_alu instid0(VALU_DEP_1) | instskip(NEXT) | instid1(VALU_DEP_1)
	v_div_fmas_f32 v9, v9, v13, v18
	v_div_fixup_f32 v9, v9, v14, v15
	s_delay_alu instid0(VALU_DEP_1) | instskip(NEXT) | instid1(VALU_DEP_1)
	v_fma_f32 v13, v15, v9, v14
	v_div_scale_f32 v18, null, v13, v13, 1.0
	v_div_scale_f32 v21, vcc_lo, 1.0, v13, 1.0
	s_delay_alu instid0(VALU_DEP_2) | instskip(SKIP_2) | instid1(VALU_DEP_1)
	v_rcp_f32_e32 v19, v18
	s_waitcnt_depctr 0xfff
	v_fma_f32 v20, -v18, v19, 1.0
	v_fmac_f32_e32 v19, v20, v19
	s_delay_alu instid0(VALU_DEP_1) | instskip(NEXT) | instid1(VALU_DEP_1)
	v_mul_f32_e32 v20, v21, v19
	v_fma_f32 v22, -v18, v20, v21
	s_delay_alu instid0(VALU_DEP_1) | instskip(NEXT) | instid1(VALU_DEP_1)
	v_fmac_f32_e32 v20, v22, v19
	v_fma_f32 v18, -v18, v20, v21
	s_delay_alu instid0(VALU_DEP_1) | instskip(SKIP_1) | instid1(VALU_DEP_2)
	v_div_fmas_f32 v18, v18, v19, v20
	v_fma_f32 v19, v11, v9, v10
	v_div_fixup_f32 v13, v18, v13, 1.0
	v_fma_f32 v18, -v10, v9, v11
	s_delay_alu instid0(VALU_DEP_2) | instskip(NEXT) | instid1(VALU_DEP_2)
	v_mul_f32_e32 v9, v19, v13
	v_mul_f32_e32 v13, v18, v13
.LBB74_178:                             ;   in Loop: Header=BB74_114 Depth=1
	s_and_not1_saveexec_b32 s7, s1
	s_cbranch_execz .LBB74_180
; %bb.179:                              ;   in Loop: Header=BB74_114 Depth=1
	v_div_scale_f32 v9, null, v12, v12, v10
	v_div_scale_f32 v13, null, v8, v8, v11
	v_div_scale_f32 v22, vcc_lo, v10, v12, v10
	s_delay_alu instid0(VALU_DEP_3) | instskip(NEXT) | instid1(VALU_DEP_2)
	v_rcp_f32_e32 v18, v9
	v_rcp_f32_e32 v19, v13
	s_waitcnt_depctr 0xfff
	v_fma_f32 v20, -v9, v18, 1.0
	v_fma_f32 v21, -v13, v19, 1.0
	s_delay_alu instid0(VALU_DEP_1) | instskip(SKIP_1) | instid1(VALU_DEP_2)
	v_dual_fmac_f32 v18, v20, v18 :: v_dual_fmac_f32 v19, v21, v19
	v_div_scale_f32 v20, s1, v11, v8, v11
	v_mul_f32_e32 v21, v22, v18
	s_delay_alu instid0(VALU_DEP_2) | instskip(NEXT) | instid1(VALU_DEP_2)
	v_mul_f32_e32 v23, v20, v19
	v_fma_f32 v33, -v9, v21, v22
	s_delay_alu instid0(VALU_DEP_2) | instskip(NEXT) | instid1(VALU_DEP_2)
	v_fma_f32 v34, -v13, v23, v20
	v_fmac_f32_e32 v21, v33, v18
	s_delay_alu instid0(VALU_DEP_2) | instskip(NEXT) | instid1(VALU_DEP_2)
	v_fmac_f32_e32 v23, v34, v19
	v_fma_f32 v9, -v9, v21, v22
	s_delay_alu instid0(VALU_DEP_2) | instskip(NEXT) | instid1(VALU_DEP_2)
	v_fma_f32 v13, -v13, v23, v20
	v_div_fmas_f32 v9, v9, v18, v21
	s_mov_b32 vcc_lo, s1
	s_delay_alu instid0(VALU_DEP_2) | instskip(NEXT) | instid1(VALU_DEP_2)
	v_div_fmas_f32 v13, v13, v19, v23
	v_div_fixup_f32 v9, v9, v12, v10
	s_delay_alu instid0(VALU_DEP_2)
	v_div_fixup_f32 v13, v13, v8, v11
.LBB74_180:                             ;   in Loop: Header=BB74_114 Depth=1
	s_or_b32 exec_lo, exec_lo, s7
.LBB74_181:                             ;   in Loop: Header=BB74_114 Depth=1
	s_and_not1_saveexec_b32 s1, s6
	s_cbranch_execz .LBB74_183
; %bb.182:                              ;   in Loop: Header=BB74_114 Depth=1
	v_div_scale_f32 v9, null, v15, v15, v14
	v_div_scale_f32 v19, vcc_lo, v14, v15, v14
	s_delay_alu instid0(VALU_DEP_2) | instskip(SKIP_2) | instid1(VALU_DEP_1)
	v_rcp_f32_e32 v13, v9
	s_waitcnt_depctr 0xfff
	v_fma_f32 v18, -v9, v13, 1.0
	v_fmac_f32_e32 v13, v18, v13
	s_delay_alu instid0(VALU_DEP_1) | instskip(NEXT) | instid1(VALU_DEP_1)
	v_mul_f32_e32 v18, v19, v13
	v_fma_f32 v20, -v9, v18, v19
	s_delay_alu instid0(VALU_DEP_1) | instskip(NEXT) | instid1(VALU_DEP_1)
	v_fmac_f32_e32 v18, v20, v13
	v_fma_f32 v9, -v9, v18, v19
	s_delay_alu instid0(VALU_DEP_1) | instskip(NEXT) | instid1(VALU_DEP_1)
	v_div_fmas_f32 v9, v9, v13, v18
	v_div_fixup_f32 v9, v9, v15, v14
	s_delay_alu instid0(VALU_DEP_1) | instskip(NEXT) | instid1(VALU_DEP_1)
	v_fma_f32 v13, v14, v9, v15
	v_div_scale_f32 v18, null, v13, v13, 1.0
	v_div_scale_f32 v21, vcc_lo, 1.0, v13, 1.0
	s_delay_alu instid0(VALU_DEP_2) | instskip(SKIP_2) | instid1(VALU_DEP_1)
	v_rcp_f32_e32 v19, v18
	s_waitcnt_depctr 0xfff
	v_fma_f32 v20, -v18, v19, 1.0
	v_fmac_f32_e32 v19, v20, v19
	s_delay_alu instid0(VALU_DEP_1) | instskip(NEXT) | instid1(VALU_DEP_1)
	v_mul_f32_e32 v20, v21, v19
	v_fma_f32 v22, -v18, v20, v21
	s_delay_alu instid0(VALU_DEP_1) | instskip(NEXT) | instid1(VALU_DEP_1)
	v_fmac_f32_e32 v20, v22, v19
	v_fma_f32 v18, -v18, v20, v21
	s_delay_alu instid0(VALU_DEP_1) | instskip(SKIP_1) | instid1(VALU_DEP_2)
	v_div_fmas_f32 v18, v18, v19, v20
	v_fma_f32 v19, v10, v9, v11
	v_div_fixup_f32 v13, v18, v13, 1.0
	v_fma_f32 v18, v11, v9, -v10
	s_delay_alu instid0(VALU_DEP_2) | instskip(NEXT) | instid1(VALU_DEP_2)
	v_mul_f32_e32 v9, v19, v13
	v_mul_f32_e32 v13, v18, v13
.LBB74_183:                             ;   in Loop: Header=BB74_114 Depth=1
	s_or_b32 exec_lo, exec_lo, s1
	s_delay_alu instid0(VALU_DEP_1) | instskip(SKIP_1) | instid1(VALU_DEP_2)
	v_mul_f32_e32 v19, s9, v13
	v_mul_f32_e32 v18, s8, v13
	v_fma_f32 v19, v9, s8, -v19
	s_delay_alu instid0(VALU_DEP_2)
	v_fmac_f32_e32 v18, s9, v9
	s_branch .LBB74_113
.LBB74_184:                             ;   in Loop: Header=BB74_114 Depth=1
                                        ; implicit-def: $vgpr18
                                        ; implicit-def: $vgpr19
	s_cbranch_execz .LBB74_113
; %bb.185:                              ;   in Loop: Header=BB74_114 Depth=1
                                        ; implicit-def: $vgpr18
                                        ; implicit-def: $vgpr19
	s_delay_alu instid0(VALU_DEP_1) | instskip(NEXT) | instid1(SALU_CYCLE_1)
	s_and_saveexec_b32 s1, s0
	s_xor_b32 s1, exec_lo, s1
	s_cbranch_execz .LBB74_191
; %bb.186:                              ;   in Loop: Header=BB74_114 Depth=1
	v_cmp_neq_f32_e32 vcc_lo, 0, v14
	v_cmp_neq_f32_e64 s0, 0, v15
                                        ; implicit-def: $vgpr18
                                        ; implicit-def: $vgpr19
	s_delay_alu instid0(VALU_DEP_1) | instskip(NEXT) | instid1(SALU_CYCLE_1)
	s_or_b32 s0, vcc_lo, s0
	s_and_saveexec_b32 s6, s0
	s_delay_alu instid0(SALU_CYCLE_1)
	s_xor_b32 s0, exec_lo, s6
	s_cbranch_execz .LBB74_188
; %bb.187:                              ;   in Loop: Header=BB74_114 Depth=1
	v_div_scale_f32 v8, null, v14, v14, v15
	v_div_scale_f32 v13, vcc_lo, v15, v14, v15
	s_delay_alu instid0(VALU_DEP_2) | instskip(SKIP_2) | instid1(VALU_DEP_1)
	v_rcp_f32_e32 v9, v8
	s_waitcnt_depctr 0xfff
	v_fma_f32 v12, -v8, v9, 1.0
	v_fmac_f32_e32 v9, v12, v9
	s_delay_alu instid0(VALU_DEP_1) | instskip(NEXT) | instid1(VALU_DEP_1)
	v_mul_f32_e32 v12, v13, v9
	v_fma_f32 v18, -v8, v12, v13
	s_delay_alu instid0(VALU_DEP_1) | instskip(NEXT) | instid1(VALU_DEP_1)
	v_fmac_f32_e32 v12, v18, v9
	v_fma_f32 v8, -v8, v12, v13
	s_delay_alu instid0(VALU_DEP_1) | instskip(NEXT) | instid1(VALU_DEP_1)
	v_div_fmas_f32 v8, v8, v9, v12
	v_div_fixup_f32 v8, v8, v14, v15
	s_delay_alu instid0(VALU_DEP_1) | instskip(NEXT) | instid1(VALU_DEP_1)
	v_fmac_f32_e32 v14, v15, v8
	v_div_scale_f32 v9, null, v14, v14, 1.0
	v_div_scale_f32 v15, vcc_lo, 1.0, v14, 1.0
	s_delay_alu instid0(VALU_DEP_2) | instskip(SKIP_2) | instid1(VALU_DEP_1)
	v_rcp_f32_e32 v12, v9
	s_waitcnt_depctr 0xfff
	v_fma_f32 v13, -v9, v12, 1.0
	v_fmac_f32_e32 v12, v13, v12
	s_delay_alu instid0(VALU_DEP_1) | instskip(NEXT) | instid1(VALU_DEP_1)
	v_mul_f32_e32 v13, v15, v12
	v_fma_f32 v18, -v9, v13, v15
	s_delay_alu instid0(VALU_DEP_1) | instskip(NEXT) | instid1(VALU_DEP_1)
	v_fmac_f32_e32 v13, v18, v12
	v_fma_f32 v9, -v9, v13, v15
	s_delay_alu instid0(VALU_DEP_1) | instskip(SKIP_2) | instid1(VALU_DEP_3)
	v_div_fmas_f32 v9, v9, v12, v13
	v_fma_f32 v12, v11, v8, v10
	v_fma_f32 v8, -v10, v8, v11
	v_div_fixup_f32 v9, v9, v14, 1.0
	s_delay_alu instid0(VALU_DEP_1) | instskip(NEXT) | instid1(VALU_DEP_4)
	v_mul_f32_e32 v18, v8, v9
	v_mul_f32_e32 v19, v12, v9
                                        ; implicit-def: $vgpr8_vgpr9_vgpr10_vgpr11
                                        ; implicit-def: $vgpr12
                                        ; implicit-def: $vgpr8
.LBB74_188:                             ;   in Loop: Header=BB74_114 Depth=1
	s_and_not1_saveexec_b32 s6, s0
	s_cbranch_execz .LBB74_190
; %bb.189:                              ;   in Loop: Header=BB74_114 Depth=1
	v_div_scale_f32 v9, null, v12, v12, v10
	v_div_scale_f32 v13, null, v8, v8, v11
	v_div_scale_f32 v20, vcc_lo, v10, v12, v10
	s_delay_alu instid0(VALU_DEP_3) | instskip(NEXT) | instid1(VALU_DEP_2)
	v_rcp_f32_e32 v14, v9
	v_rcp_f32_e32 v15, v13
	s_waitcnt_depctr 0xfff
	v_fma_f32 v18, -v9, v14, 1.0
	v_fma_f32 v19, -v13, v15, 1.0
	s_delay_alu instid0(VALU_DEP_1) | instskip(SKIP_1) | instid1(VALU_DEP_2)
	v_dual_fmac_f32 v14, v18, v14 :: v_dual_fmac_f32 v15, v19, v15
	v_div_scale_f32 v18, s0, v11, v8, v11
	v_mul_f32_e32 v19, v20, v14
	s_delay_alu instid0(VALU_DEP_2) | instskip(NEXT) | instid1(VALU_DEP_2)
	v_mul_f32_e32 v21, v18, v15
	v_fma_f32 v22, -v9, v19, v20
	s_delay_alu instid0(VALU_DEP_2) | instskip(NEXT) | instid1(VALU_DEP_2)
	v_fma_f32 v23, -v13, v21, v18
	v_fmac_f32_e32 v19, v22, v14
	s_delay_alu instid0(VALU_DEP_2) | instskip(NEXT) | instid1(VALU_DEP_2)
	v_fmac_f32_e32 v21, v23, v15
	v_fma_f32 v9, -v9, v19, v20
	s_delay_alu instid0(VALU_DEP_2) | instskip(NEXT) | instid1(VALU_DEP_2)
	v_fma_f32 v13, -v13, v21, v18
	v_div_fmas_f32 v9, v9, v14, v19
	s_mov_b32 vcc_lo, s0
	s_delay_alu instid0(VALU_DEP_2) | instskip(NEXT) | instid1(VALU_DEP_2)
	v_div_fmas_f32 v13, v13, v15, v21
	v_div_fixup_f32 v19, v9, v12, v10
	s_delay_alu instid0(VALU_DEP_2)
	v_div_fixup_f32 v18, v13, v8, v11
.LBB74_190:                             ;   in Loop: Header=BB74_114 Depth=1
	s_or_b32 exec_lo, exec_lo, s6
                                        ; implicit-def: $vgpr12_vgpr13_vgpr14_vgpr15
                                        ; implicit-def: $vgpr8_vgpr9_vgpr10_vgpr11
.LBB74_191:                             ;   in Loop: Header=BB74_114 Depth=1
	s_and_not1_saveexec_b32 s0, s1
	s_cbranch_execz .LBB74_112
; %bb.192:                              ;   in Loop: Header=BB74_114 Depth=1
	v_div_scale_f32 v8, null, v15, v15, v14
	v_div_scale_f32 v13, vcc_lo, v14, v15, v14
	s_delay_alu instid0(VALU_DEP_2) | instskip(SKIP_2) | instid1(VALU_DEP_1)
	v_rcp_f32_e32 v9, v8
	s_waitcnt_depctr 0xfff
	v_fma_f32 v12, -v8, v9, 1.0
	v_fmac_f32_e32 v9, v12, v9
	s_delay_alu instid0(VALU_DEP_1) | instskip(NEXT) | instid1(VALU_DEP_1)
	v_mul_f32_e32 v12, v13, v9
	v_fma_f32 v18, -v8, v12, v13
	s_delay_alu instid0(VALU_DEP_1) | instskip(NEXT) | instid1(VALU_DEP_1)
	v_fmac_f32_e32 v12, v18, v9
	v_fma_f32 v8, -v8, v12, v13
	s_delay_alu instid0(VALU_DEP_1) | instskip(NEXT) | instid1(VALU_DEP_1)
	v_div_fmas_f32 v8, v8, v9, v12
	v_div_fixup_f32 v8, v8, v15, v14
	s_delay_alu instid0(VALU_DEP_1) | instskip(NEXT) | instid1(VALU_DEP_1)
	v_fmac_f32_e32 v15, v14, v8
	v_div_scale_f32 v9, null, v15, v15, 1.0
	v_div_scale_f32 v14, vcc_lo, 1.0, v15, 1.0
	s_delay_alu instid0(VALU_DEP_2) | instskip(SKIP_2) | instid1(VALU_DEP_1)
	v_rcp_f32_e32 v12, v9
	s_waitcnt_depctr 0xfff
	v_fma_f32 v13, -v9, v12, 1.0
	v_fmac_f32_e32 v12, v13, v12
	s_delay_alu instid0(VALU_DEP_1) | instskip(NEXT) | instid1(VALU_DEP_1)
	v_mul_f32_e32 v13, v14, v12
	v_fma_f32 v18, -v9, v13, v14
	s_delay_alu instid0(VALU_DEP_1) | instskip(NEXT) | instid1(VALU_DEP_1)
	v_fmac_f32_e32 v13, v18, v12
	v_fma_f32 v9, -v9, v13, v14
	s_delay_alu instid0(VALU_DEP_1) | instskip(SKIP_2) | instid1(VALU_DEP_3)
	v_div_fmas_f32 v9, v9, v12, v13
	v_fma_f32 v12, v10, v8, v11
	v_fma_f32 v8, v11, v8, -v10
	v_div_fixup_f32 v9, v9, v15, 1.0
	s_delay_alu instid0(VALU_DEP_1) | instskip(NEXT) | instid1(VALU_DEP_4)
	v_mul_f32_e32 v18, v8, v9
	v_mul_f32_e32 v19, v12, v9
	s_branch .LBB74_112
.LBB74_193:
	s_nop 0
	s_sendmsg sendmsg(MSG_DEALLOC_VGPRS)
	s_endpgm
	.section	.rodata,"a",@progbits
	.p2align	6, 0x0
	.amdhsa_kernel _ZN2at6native12_GLOBAL__N_125multi_tensor_apply_kernelINS1_18TensorListMetadataILi3EEENS1_24PointwiseOpScalarFunctorIN3c107complexIfEELi3ELi3ELi0EEEJSt7dividesIS8_ES8_EEEvT_T0_DpT1_
		.amdhsa_group_segment_fixed_size 0
		.amdhsa_private_segment_fixed_size 0
		.amdhsa_kernarg_size 3416
		.amdhsa_user_sgpr_count 15
		.amdhsa_user_sgpr_dispatch_ptr 0
		.amdhsa_user_sgpr_queue_ptr 0
		.amdhsa_user_sgpr_kernarg_segment_ptr 1
		.amdhsa_user_sgpr_dispatch_id 0
		.amdhsa_user_sgpr_private_segment_size 0
		.amdhsa_wavefront_size32 1
		.amdhsa_uses_dynamic_stack 0
		.amdhsa_enable_private_segment 0
		.amdhsa_system_sgpr_workgroup_id_x 1
		.amdhsa_system_sgpr_workgroup_id_y 0
		.amdhsa_system_sgpr_workgroup_id_z 0
		.amdhsa_system_sgpr_workgroup_info 0
		.amdhsa_system_vgpr_workitem_id 0
		.amdhsa_next_free_vgpr 67
		.amdhsa_next_free_sgpr 29
		.amdhsa_reserve_vcc 1
		.amdhsa_float_round_mode_32 0
		.amdhsa_float_round_mode_16_64 0
		.amdhsa_float_denorm_mode_32 3
		.amdhsa_float_denorm_mode_16_64 3
		.amdhsa_dx10_clamp 1
		.amdhsa_ieee_mode 1
		.amdhsa_fp16_overflow 0
		.amdhsa_workgroup_processor_mode 1
		.amdhsa_memory_ordered 1
		.amdhsa_forward_progress 0
		.amdhsa_shared_vgpr_count 0
		.amdhsa_exception_fp_ieee_invalid_op 0
		.amdhsa_exception_fp_denorm_src 0
		.amdhsa_exception_fp_ieee_div_zero 0
		.amdhsa_exception_fp_ieee_overflow 0
		.amdhsa_exception_fp_ieee_underflow 0
		.amdhsa_exception_fp_ieee_inexact 0
		.amdhsa_exception_int_div_zero 0
	.end_amdhsa_kernel
	.section	.text._ZN2at6native12_GLOBAL__N_125multi_tensor_apply_kernelINS1_18TensorListMetadataILi3EEENS1_24PointwiseOpScalarFunctorIN3c107complexIfEELi3ELi3ELi0EEEJSt7dividesIS8_ES8_EEEvT_T0_DpT1_,"axG",@progbits,_ZN2at6native12_GLOBAL__N_125multi_tensor_apply_kernelINS1_18TensorListMetadataILi3EEENS1_24PointwiseOpScalarFunctorIN3c107complexIfEELi3ELi3ELi0EEEJSt7dividesIS8_ES8_EEEvT_T0_DpT1_,comdat
.Lfunc_end74:
	.size	_ZN2at6native12_GLOBAL__N_125multi_tensor_apply_kernelINS1_18TensorListMetadataILi3EEENS1_24PointwiseOpScalarFunctorIN3c107complexIfEELi3ELi3ELi0EEEJSt7dividesIS8_ES8_EEEvT_T0_DpT1_, .Lfunc_end74-_ZN2at6native12_GLOBAL__N_125multi_tensor_apply_kernelINS1_18TensorListMetadataILi3EEENS1_24PointwiseOpScalarFunctorIN3c107complexIfEELi3ELi3ELi0EEEJSt7dividesIS8_ES8_EEEvT_T0_DpT1_
                                        ; -- End function
	.section	.AMDGPU.csdata,"",@progbits
; Kernel info:
; codeLenInByte = 13896
; NumSgprs: 31
; NumVgprs: 67
; ScratchSize: 0
; MemoryBound: 1
; FloatMode: 240
; IeeeMode: 1
; LDSByteSize: 0 bytes/workgroup (compile time only)
; SGPRBlocks: 3
; VGPRBlocks: 8
; NumSGPRsForWavesPerEU: 31
; NumVGPRsForWavesPerEU: 67
; Occupancy: 16
; WaveLimiterHint : 0
; COMPUTE_PGM_RSRC2:SCRATCH_EN: 0
; COMPUTE_PGM_RSRC2:USER_SGPR: 15
; COMPUTE_PGM_RSRC2:TRAP_HANDLER: 0
; COMPUTE_PGM_RSRC2:TGID_X_EN: 1
; COMPUTE_PGM_RSRC2:TGID_Y_EN: 0
; COMPUTE_PGM_RSRC2:TGID_Z_EN: 0
; COMPUTE_PGM_RSRC2:TIDIG_COMP_CNT: 0
	.section	.text._ZN2at6native12_GLOBAL__N_125multi_tensor_apply_kernelINS1_18TensorListMetadataILi3EEENS1_24PointwiseOpScalarFunctorIN3c104HalfELi3ELi3ELi0EEEJSt7dividesIfEfEEEvT_T0_DpT1_,"axG",@progbits,_ZN2at6native12_GLOBAL__N_125multi_tensor_apply_kernelINS1_18TensorListMetadataILi3EEENS1_24PointwiseOpScalarFunctorIN3c104HalfELi3ELi3ELi0EEEJSt7dividesIfEfEEEvT_T0_DpT1_,comdat
	.globl	_ZN2at6native12_GLOBAL__N_125multi_tensor_apply_kernelINS1_18TensorListMetadataILi3EEENS1_24PointwiseOpScalarFunctorIN3c104HalfELi3ELi3ELi0EEEJSt7dividesIfEfEEEvT_T0_DpT1_ ; -- Begin function _ZN2at6native12_GLOBAL__N_125multi_tensor_apply_kernelINS1_18TensorListMetadataILi3EEENS1_24PointwiseOpScalarFunctorIN3c104HalfELi3ELi3ELi0EEEJSt7dividesIfEfEEEvT_T0_DpT1_
	.p2align	8
	.type	_ZN2at6native12_GLOBAL__N_125multi_tensor_apply_kernelINS1_18TensorListMetadataILi3EEENS1_24PointwiseOpScalarFunctorIN3c104HalfELi3ELi3ELi0EEEJSt7dividesIfEfEEEvT_T0_DpT1_,@function
_ZN2at6native12_GLOBAL__N_125multi_tensor_apply_kernelINS1_18TensorListMetadataILi3EEENS1_24PointwiseOpScalarFunctorIN3c104HalfELi3ELi3ELi0EEEJSt7dividesIfEfEEEvT_T0_DpT1_: ; @_ZN2at6native12_GLOBAL__N_125multi_tensor_apply_kernelINS1_18TensorListMetadataILi3EEENS1_24PointwiseOpScalarFunctorIN3c104HalfELi3ELi3ELi0EEEJSt7dividesIfEfEEEvT_T0_DpT1_
; %bb.0:
	v_mov_b32_e32 v1, s15
	s_add_u32 s2, s0, s15
	s_mul_hi_u32 s3, s15, 3
	s_mul_i32 s15, s15, 3
	s_addc_u32 s4, s1, 0
	global_load_u8 v1, v1, s[0:1] offset:1536
	s_load_b32 s7, s[0:1], 0xc4c
	s_add_u32 s2, s2, s15
	s_addc_u32 s3, s4, s3
	s_mov_b32 s19, 0
	s_load_b32 s2, s[2:3], 0x740
	s_waitcnt vmcnt(0)
	v_readfirstlane_b32 s3, v1
	s_delay_alu instid0(VALU_DEP_1)
	s_lshl_b32 s3, s3, 3
	s_clause 0x3
	s_load_b64 s[8:9], s[0:1], s3 offset:0x180
	s_load_b64 s[10:11], s[0:1], s3 offset:0x300
	;; [unrolled: 1-line block ×4, first 2 shown]
	s_waitcnt lgkmcnt(0)
	s_ashr_i32 s3, s2, 31
	s_delay_alu instid0(SALU_CYCLE_1) | instskip(NEXT) | instid1(SALU_CYCLE_1)
	s_lshl_b64 s[16:17], s[2:3], 17
	s_add_u32 s6, s8, s16
	s_delay_alu instid0(SALU_CYCLE_1) | instskip(SKIP_2) | instid1(SALU_CYCLE_1)
	s_or_b32 s6, s10, s6
	s_and_b32 s18, s12, 7
	s_and_b32 s6, s6, 7
	s_cmp_eq_u32 s6, 0
	s_cselect_b32 s6, -1, 0
	s_lshl_b64 s[2:3], s[2:3], 16
	s_delay_alu instid0(SALU_CYCLE_1) | instskip(SKIP_3) | instid1(SALU_CYCLE_1)
	s_sub_u32 s14, s4, s2
	s_subb_u32 s15, s5, s3
	s_and_b32 s2, s4, 3
	s_mov_b32 s3, s19
	s_or_b64 s[2:3], s[18:19], s[2:3]
	s_delay_alu instid0(SALU_CYCLE_1) | instskip(SKIP_1) | instid1(SALU_CYCLE_1)
	s_cmp_eq_u64 s[2:3], 0
	s_cselect_b32 s2, -1, 0
	s_and_b32 s2, s6, s2
	s_delay_alu instid0(SALU_CYCLE_1)
	s_and_b32 vcc_lo, exec_lo, s2
	s_mov_b32 s2, -1
	s_cbranch_vccnz .LBB75_29
; %bb.1:
	v_cmp_lt_i64_e64 s2, s[14:15], 1
	s_delay_alu instid0(VALU_DEP_1)
	s_and_b32 vcc_lo, exec_lo, s2
	s_cbranch_vccnz .LBB75_28
; %bb.2:
	s_load_b32 s3, s[0:1], 0xc5c
	v_dual_mov_b32 v14, 0 :: v_dual_lshlrev_b32 v13, 1, v0
	v_cmp_gt_u64_e64 s4, 0x10000, s[14:15]
	v_cmp_eq_f32_e64 s2, s7, 1.0
	s_mov_b64 s[20:21], 0
	s_delay_alu instid0(VALU_DEP_3) | instskip(NEXT) | instid1(VALU_DEP_1)
	v_add_co_u32 v1, s5, s12, v13
	v_add_co_ci_u32_e64 v2, null, s13, 0, s5
	v_add_co_u32 v3, s5, s8, v13
	s_delay_alu instid0(VALU_DEP_1) | instskip(SKIP_1) | instid1(VALU_DEP_1)
	v_add_co_ci_u32_e64 v4, null, s9, 0, s5
	v_add_co_u32 v5, s5, s10, v13
	v_add_co_ci_u32_e64 v6, null, s11, 0, s5
	s_waitcnt lgkmcnt(0)
	s_and_b32 s3, s3, 0xffff
	s_and_b32 s4, s4, exec_lo
	v_mad_u64_u32 v[11:12], null, s3, 6, v[13:14]
	s_cselect_b32 s19, s15, 0
	s_cselect_b32 s18, s14, 0x10000
	s_mul_i32 s5, s3, 3
	s_lshl_b32 s22, s3, 2
	s_lshl_b32 s4, s3, 1
	v_add_co_u32 v20, s6, s22, v13
	v_add_co_u32 v13, s5, s5, v0
	v_add_co_u32 v7, vcc_lo, s12, v11
	v_add_co_ci_u32_e64 v14, null, 0, 0, s5
	v_add_co_u32 v19, s5, v0, s3
	v_add_co_ci_u32_e32 v8, vcc_lo, s13, v12, vcc_lo
	v_add_co_u32 v9, vcc_lo, s8, v11
	v_add_co_ci_u32_e32 v10, vcc_lo, s9, v12, vcc_lo
	v_add_co_u32 v11, vcc_lo, s10, v11
	v_add_co_ci_u32_e64 v21, null, 0, 0, s6
	v_lshlrev_b32_e32 v29, 1, v19
	v_add_co_ci_u32_e32 v12, vcc_lo, s11, v12, vcc_lo
	v_add_co_u32 v15, vcc_lo, s12, v20
	v_add_co_u32 v23, s4, s4, v0
	v_add_co_ci_u32_e32 v16, vcc_lo, s13, v21, vcc_lo
	v_add_co_ci_u32_e64 v24, null, 0, 0, s4
	v_add_co_u32 v25, s4, s12, v29
	v_add_co_u32 v17, vcc_lo, s8, v20
	v_add_co_ci_u32_e64 v26, null, s13, 0, s4
	v_add_co_u32 v27, s4, s8, v29
	v_add_co_ci_u32_e32 v18, vcc_lo, s9, v21, vcc_lo
	v_add_co_u32 v20, vcc_lo, s10, v20
	v_add_co_ci_u32_e64 v28, null, s9, 0, s4
	v_add_co_u32 v29, s4, s10, v29
	v_add_co_ci_u32_e32 v21, vcc_lo, s11, v21, vcc_lo
	v_add_co_ci_u32_e64 v22, null, 0, 0, s5
	v_add_co_ci_u32_e64 v30, null, s11, 0, s4
	s_lshl_b32 s23, s3, 3
	s_branch .LBB75_4
.LBB75_3:                               ;   in Loop: Header=BB75_4 Depth=1
	s_or_b32 exec_lo, exec_lo, s3
	v_add_co_u32 v1, vcc_lo, v1, s23
	v_add_co_ci_u32_e32 v2, vcc_lo, 0, v2, vcc_lo
	v_add_co_u32 v3, vcc_lo, v3, s23
	v_add_co_ci_u32_e32 v4, vcc_lo, 0, v4, vcc_lo
	;; [unrolled: 2-line block ×9, first 2 shown]
	s_add_u32 s20, s20, s22
	v_add_co_u32 v25, vcc_lo, v25, s23
	s_addc_u32 s21, s21, 0
	v_add_co_ci_u32_e32 v26, vcc_lo, 0, v26, vcc_lo
	v_cmp_lt_i64_e64 s3, s[20:21], s[14:15]
	v_cmp_gt_u64_e64 s4, 0x10000, s[20:21]
	v_add_co_u32 v27, vcc_lo, v27, s23
	v_add_co_ci_u32_e32 v28, vcc_lo, 0, v28, vcc_lo
	v_add_co_u32 v29, vcc_lo, v29, s23
	v_add_co_ci_u32_e32 v30, vcc_lo, 0, v30, vcc_lo
	s_and_b32 s3, s3, s4
	s_delay_alu instid0(SALU_CYCLE_1)
	s_and_b32 vcc_lo, exec_lo, s3
	s_cbranch_vccz .LBB75_28
.LBB75_4:                               ; =>This Inner Loop Header: Depth=1
	s_waitcnt vmcnt(1)
	v_add_co_u32 v31, s3, v0, s20
	s_delay_alu instid0(VALU_DEP_1) | instskip(SKIP_2) | instid1(VALU_DEP_2)
	v_add_co_ci_u32_e64 v32, null, 0, s21, s3
	s_waitcnt vmcnt(0)
	v_mov_b32_e32 v35, 0
	v_cmp_gt_u64_e32 vcc_lo, s[18:19], v[31:32]
	v_mov_b32_e32 v32, 0
	s_and_saveexec_b32 s4, vcc_lo
	s_cbranch_execz .LBB75_6
; %bb.5:                                ;   in Loop: Header=BB75_4 Depth=1
	v_add_co_u32 v31, s3, v1, s16
	s_delay_alu instid0(VALU_DEP_1) | instskip(SKIP_1) | instid1(VALU_DEP_1)
	v_add_co_ci_u32_e64 v32, s3, s17, v2, s3
	v_add_co_u32 v33, s3, v3, s16
	v_add_co_ci_u32_e64 v34, s3, s17, v4, s3
	global_load_u16 v32, v[31:32], off
	global_load_u16 v35, v[33:34], off
.LBB75_6:                               ;   in Loop: Header=BB75_4 Depth=1
	s_or_b32 exec_lo, exec_lo, s4
	v_mov_b32_e32 v31, 0
	v_mov_b32_e32 v37, 0
	s_and_saveexec_b32 s4, vcc_lo
	s_cbranch_execz .LBB75_8
; %bb.7:                                ;   in Loop: Header=BB75_4 Depth=1
	v_add_co_u32 v33, s3, v5, s16
	s_delay_alu instid0(VALU_DEP_1)
	v_add_co_ci_u32_e64 v34, s3, s17, v6, s3
	global_load_u16 v37, v[33:34], off
.LBB75_8:                               ;   in Loop: Header=BB75_4 Depth=1
	s_or_b32 exec_lo, exec_lo, s4
	v_add_co_u32 v33, s3, v19, s20
	s_delay_alu instid0(VALU_DEP_1) | instskip(SKIP_1) | instid1(VALU_DEP_2)
	v_add_co_ci_u32_e64 v34, s3, s21, v22, s3
	v_mov_b32_e32 v36, 0
	v_cmp_gt_u64_e64 s3, s[18:19], v[33:34]
	s_delay_alu instid0(VALU_DEP_1)
	s_and_saveexec_b32 s5, s3
	s_cbranch_execz .LBB75_10
; %bb.9:                                ;   in Loop: Header=BB75_4 Depth=1
	v_add_co_u32 v33, s4, v25, s16
	s_delay_alu instid0(VALU_DEP_1) | instskip(SKIP_1) | instid1(VALU_DEP_1)
	v_add_co_ci_u32_e64 v34, s4, s17, v26, s4
	v_add_co_u32 v38, s4, v27, s16
	v_add_co_ci_u32_e64 v39, s4, s17, v28, s4
	global_load_u16 v31, v[33:34], off
	global_load_u16 v36, v[38:39], off
.LBB75_10:                              ;   in Loop: Header=BB75_4 Depth=1
	s_or_b32 exec_lo, exec_lo, s5
	v_mov_b32_e32 v33, 0
	v_mov_b32_e32 v39, 0
	s_and_saveexec_b32 s5, s3
	s_cbranch_execz .LBB75_12
; %bb.11:                               ;   in Loop: Header=BB75_4 Depth=1
	v_add_co_u32 v38, s4, v29, s16
	s_delay_alu instid0(VALU_DEP_1)
	v_add_co_ci_u32_e64 v39, s4, s17, v30, s4
	global_load_u16 v39, v[38:39], off
.LBB75_12:                              ;   in Loop: Header=BB75_4 Depth=1
	s_or_b32 exec_lo, exec_lo, s5
	v_add_co_u32 v40, s4, v23, s20
	s_delay_alu instid0(VALU_DEP_1) | instskip(SKIP_1) | instid1(VALU_DEP_2)
	v_add_co_ci_u32_e64 v41, s4, s21, v24, s4
	v_mov_b32_e32 v38, 0
	v_cmp_gt_u64_e64 s4, s[18:19], v[40:41]
	s_delay_alu instid0(VALU_DEP_1)
	s_and_saveexec_b32 s6, s4
	s_cbranch_execz .LBB75_14
; %bb.13:                               ;   in Loop: Header=BB75_4 Depth=1
	v_add_co_u32 v33, s5, v15, s16
	s_delay_alu instid0(VALU_DEP_1) | instskip(SKIP_1) | instid1(VALU_DEP_1)
	v_add_co_ci_u32_e64 v34, s5, s17, v16, s5
	v_add_co_u32 v40, s5, v17, s16
	v_add_co_ci_u32_e64 v41, s5, s17, v18, s5
	global_load_u16 v33, v[33:34], off
	global_load_u16 v38, v[40:41], off
.LBB75_14:                              ;   in Loop: Header=BB75_4 Depth=1
	s_or_b32 exec_lo, exec_lo, s6
	v_dual_mov_b32 v34, 0 :: v_dual_mov_b32 v41, 0
	s_and_saveexec_b32 s6, s4
	s_cbranch_execz .LBB75_16
; %bb.15:                               ;   in Loop: Header=BB75_4 Depth=1
	v_add_co_u32 v40, s5, v20, s16
	s_delay_alu instid0(VALU_DEP_1)
	v_add_co_ci_u32_e64 v41, s5, s17, v21, s5
	global_load_u16 v41, v[40:41], off
.LBB75_16:                              ;   in Loop: Header=BB75_4 Depth=1
	s_or_b32 exec_lo, exec_lo, s6
	v_add_co_u32 v42, s5, v13, s20
	s_delay_alu instid0(VALU_DEP_1) | instskip(SKIP_1) | instid1(VALU_DEP_2)
	v_add_co_ci_u32_e64 v43, s5, s21, v14, s5
	v_mov_b32_e32 v40, 0
	v_cmp_gt_u64_e64 s5, s[18:19], v[42:43]
	s_delay_alu instid0(VALU_DEP_1)
	s_and_saveexec_b32 s24, s5
	s_cbranch_execnz .LBB75_22
; %bb.17:                               ;   in Loop: Header=BB75_4 Depth=1
	s_or_b32 exec_lo, exec_lo, s24
	v_mov_b32_e32 v42, 0
	s_and_saveexec_b32 s24, s5
	s_cbranch_execnz .LBB75_23
.LBB75_18:                              ;   in Loop: Header=BB75_4 Depth=1
	s_or_b32 exec_lo, exec_lo, s24
	s_and_saveexec_b32 s6, vcc_lo
	s_cbranch_execnz .LBB75_24
.LBB75_19:                              ;   in Loop: Header=BB75_4 Depth=1
	s_or_b32 exec_lo, exec_lo, s6
	s_and_saveexec_b32 s6, s3
	s_cbranch_execnz .LBB75_25
.LBB75_20:                              ;   in Loop: Header=BB75_4 Depth=1
	s_or_b32 exec_lo, exec_lo, s6
	s_and_saveexec_b32 s3, s4
	s_cbranch_execnz .LBB75_26
.LBB75_21:                              ;   in Loop: Header=BB75_4 Depth=1
	s_or_b32 exec_lo, exec_lo, s3
	s_and_saveexec_b32 s3, s5
	s_cbranch_execz .LBB75_3
	s_branch .LBB75_27
.LBB75_22:                              ;   in Loop: Header=BB75_4 Depth=1
	v_add_co_u32 v42, s6, v7, s16
	s_delay_alu instid0(VALU_DEP_1) | instskip(SKIP_1) | instid1(VALU_DEP_1)
	v_add_co_ci_u32_e64 v43, s6, s17, v8, s6
	v_add_co_u32 v44, s6, v9, s16
	v_add_co_ci_u32_e64 v45, s6, s17, v10, s6
	global_load_u16 v34, v[42:43], off
	global_load_u16 v40, v[44:45], off
	s_or_b32 exec_lo, exec_lo, s24
	v_mov_b32_e32 v42, 0
	s_and_saveexec_b32 s24, s5
	s_cbranch_execz .LBB75_18
.LBB75_23:                              ;   in Loop: Header=BB75_4 Depth=1
	v_add_co_u32 v42, s6, v11, s16
	s_delay_alu instid0(VALU_DEP_1)
	v_add_co_ci_u32_e64 v43, s6, s17, v12, s6
	global_load_u16 v42, v[42:43], off
	s_or_b32 exec_lo, exec_lo, s24
	s_and_saveexec_b32 s6, vcc_lo
	s_cbranch_execz .LBB75_19
.LBB75_24:                              ;   in Loop: Header=BB75_4 Depth=1
	s_waitcnt vmcnt(0)
	v_cvt_f32_f16_e32 v35, v35
	v_cvt_f32_f16_e32 v37, v37
	s_delay_alu instid0(VALU_DEP_1) | instskip(SKIP_1) | instid1(VALU_DEP_2)
	v_div_scale_f32 v43, null, v37, v37, v35
	v_div_scale_f32 v46, vcc_lo, v35, v37, v35
	v_rcp_f32_e32 v44, v43
	s_waitcnt_depctr 0xfff
	v_fma_f32 v45, -v43, v44, 1.0
	s_delay_alu instid0(VALU_DEP_1) | instskip(NEXT) | instid1(VALU_DEP_1)
	v_fmac_f32_e32 v44, v45, v44
	v_mul_f32_e32 v45, v46, v44
	s_delay_alu instid0(VALU_DEP_1) | instskip(NEXT) | instid1(VALU_DEP_1)
	v_fma_f32 v47, -v43, v45, v46
	v_fmac_f32_e32 v45, v47, v44
	s_delay_alu instid0(VALU_DEP_1) | instskip(NEXT) | instid1(VALU_DEP_1)
	v_fma_f32 v43, -v43, v45, v46
	v_div_fmas_f32 v43, v43, v44, v45
	v_cvt_f32_f16_e32 v44, v32
	s_delay_alu instid0(VALU_DEP_2) | instskip(SKIP_1) | instid1(VALU_DEP_2)
	v_div_fixup_f32 v35, v43, v37, v35
	v_add_co_u32 v43, vcc_lo, v1, s16
	v_add_f32_e32 v37, v35, v44
	v_fma_mix_f32 v32, s7, v35, v32 op_sel_hi:[0,0,1]
	v_add_co_ci_u32_e32 v44, vcc_lo, s17, v2, vcc_lo
	s_delay_alu instid0(VALU_DEP_2) | instskip(NEXT) | instid1(VALU_DEP_1)
	v_cndmask_b32_e64 v32, v32, v37, s2
	v_cvt_f16_f32_e32 v32, v32
	global_store_b16 v[43:44], v32, off
	s_or_b32 exec_lo, exec_lo, s6
	s_and_saveexec_b32 s6, s3
	s_cbranch_execz .LBB75_20
.LBB75_25:                              ;   in Loop: Header=BB75_4 Depth=1
	s_waitcnt vmcnt(0)
	v_cvt_f32_f16_e32 v32, v36
	v_cvt_f32_f16_e32 v35, v39
	s_delay_alu instid0(VALU_DEP_1) | instskip(SKIP_1) | instid1(VALU_DEP_2)
	v_div_scale_f32 v36, null, v35, v35, v32
	v_div_scale_f32 v43, vcc_lo, v32, v35, v32
	v_rcp_f32_e32 v37, v36
	s_waitcnt_depctr 0xfff
	v_fma_f32 v39, -v36, v37, 1.0
	s_delay_alu instid0(VALU_DEP_1) | instskip(NEXT) | instid1(VALU_DEP_1)
	v_fmac_f32_e32 v37, v39, v37
	v_mul_f32_e32 v39, v43, v37
	s_delay_alu instid0(VALU_DEP_1) | instskip(NEXT) | instid1(VALU_DEP_1)
	v_fma_f32 v44, -v36, v39, v43
	v_fmac_f32_e32 v39, v44, v37
	s_delay_alu instid0(VALU_DEP_1) | instskip(NEXT) | instid1(VALU_DEP_1)
	v_fma_f32 v36, -v36, v39, v43
	v_div_fmas_f32 v36, v36, v37, v39
	v_cvt_f32_f16_e32 v37, v31
	s_delay_alu instid0(VALU_DEP_2) | instskip(NEXT) | instid1(VALU_DEP_1)
	v_div_fixup_f32 v32, v36, v35, v32
	v_add_f32_e32 v35, v32, v37
	v_fma_mix_f32 v31, s7, v32, v31 op_sel_hi:[0,0,1]
	s_delay_alu instid0(VALU_DEP_1) | instskip(NEXT) | instid1(VALU_DEP_1)
	v_cndmask_b32_e64 v31, v31, v35, s2
	v_cvt_f16_f32_e32 v35, v31
	v_add_co_u32 v31, vcc_lo, v25, s16
	v_add_co_ci_u32_e32 v32, vcc_lo, s17, v26, vcc_lo
	global_store_b16 v[31:32], v35, off
	s_or_b32 exec_lo, exec_lo, s6
	s_and_saveexec_b32 s3, s4
	s_cbranch_execz .LBB75_21
.LBB75_26:                              ;   in Loop: Header=BB75_4 Depth=1
	s_waitcnt vmcnt(0)
	v_cvt_f32_f16_e32 v31, v38
	v_cvt_f32_f16_e32 v32, v41
	s_delay_alu instid0(VALU_DEP_1) | instskip(SKIP_1) | instid1(VALU_DEP_2)
	v_div_scale_f32 v35, null, v32, v32, v31
	v_div_scale_f32 v38, vcc_lo, v31, v32, v31
	v_rcp_f32_e32 v36, v35
	s_waitcnt_depctr 0xfff
	v_fma_f32 v37, -v35, v36, 1.0
	s_delay_alu instid0(VALU_DEP_1) | instskip(NEXT) | instid1(VALU_DEP_1)
	v_fmac_f32_e32 v36, v37, v36
	v_mul_f32_e32 v37, v38, v36
	s_delay_alu instid0(VALU_DEP_1) | instskip(NEXT) | instid1(VALU_DEP_1)
	v_fma_f32 v39, -v35, v37, v38
	v_fmac_f32_e32 v37, v39, v36
	s_delay_alu instid0(VALU_DEP_1) | instskip(NEXT) | instid1(VALU_DEP_1)
	v_fma_f32 v35, -v35, v37, v38
	v_div_fmas_f32 v35, v35, v36, v37
	v_cvt_f32_f16_e32 v36, v33
	s_delay_alu instid0(VALU_DEP_2) | instskip(NEXT) | instid1(VALU_DEP_1)
	v_div_fixup_f32 v31, v35, v32, v31
	v_add_f32_e32 v32, v31, v36
	v_fma_mix_f32 v31, s7, v31, v33 op_sel_hi:[0,0,1]
	s_delay_alu instid0(VALU_DEP_1) | instskip(NEXT) | instid1(VALU_DEP_1)
	v_cndmask_b32_e64 v31, v31, v32, s2
	v_cvt_f16_f32_e32 v33, v31
	v_add_co_u32 v31, vcc_lo, v15, s16
	v_add_co_ci_u32_e32 v32, vcc_lo, s17, v16, vcc_lo
	global_store_b16 v[31:32], v33, off
	s_or_b32 exec_lo, exec_lo, s3
	s_and_saveexec_b32 s3, s5
	s_cbranch_execz .LBB75_3
.LBB75_27:                              ;   in Loop: Header=BB75_4 Depth=1
	s_waitcnt vmcnt(0)
	v_cvt_f32_f16_e32 v31, v40
	v_cvt_f32_f16_e32 v32, v42
	s_delay_alu instid0(VALU_DEP_1) | instskip(SKIP_1) | instid1(VALU_DEP_2)
	v_div_scale_f32 v33, null, v32, v32, v31
	v_div_scale_f32 v37, vcc_lo, v31, v32, v31
	v_rcp_f32_e32 v35, v33
	s_waitcnt_depctr 0xfff
	v_fma_f32 v36, -v33, v35, 1.0
	s_delay_alu instid0(VALU_DEP_1) | instskip(NEXT) | instid1(VALU_DEP_1)
	v_fmac_f32_e32 v35, v36, v35
	v_mul_f32_e32 v36, v37, v35
	s_delay_alu instid0(VALU_DEP_1) | instskip(NEXT) | instid1(VALU_DEP_1)
	v_fma_f32 v38, -v33, v36, v37
	v_fmac_f32_e32 v36, v38, v35
	s_delay_alu instid0(VALU_DEP_1) | instskip(NEXT) | instid1(VALU_DEP_1)
	v_fma_f32 v33, -v33, v36, v37
	v_div_fmas_f32 v33, v33, v35, v36
	v_cvt_f32_f16_e32 v35, v34
	s_delay_alu instid0(VALU_DEP_2) | instskip(NEXT) | instid1(VALU_DEP_1)
	v_div_fixup_f32 v31, v33, v32, v31
	v_add_f32_e32 v32, v31, v35
	v_fma_mix_f32 v31, s7, v31, v34 op_sel_hi:[0,0,1]
	s_delay_alu instid0(VALU_DEP_1) | instskip(NEXT) | instid1(VALU_DEP_1)
	v_cndmask_b32_e64 v31, v31, v32, s2
	v_cvt_f16_f32_e32 v33, v31
	v_add_co_u32 v31, vcc_lo, v7, s16
	v_add_co_ci_u32_e32 v32, vcc_lo, s17, v8, vcc_lo
	global_store_b16 v[31:32], v33, off
	s_branch .LBB75_3
.LBB75_28:
	s_mov_b32 s2, 0
.LBB75_29:
	s_delay_alu instid0(SALU_CYCLE_1)
	s_and_not1_b32 vcc_lo, exec_lo, s2
	s_cbranch_vccnz .LBB75_33
; %bb.30:
	v_dual_mov_b32 v2, 0 :: v_dual_lshlrev_b32 v1, 2, v0
	s_mov_b32 s6, 0
	s_mov_b32 s2, exec_lo
	s_delay_alu instid0(VALU_DEP_1)
	v_cmpx_gt_i64_e64 s[14:15], v[1:2]
	s_cbranch_execz .LBB75_33
; %bb.31:
	s_load_b32 s1, s[0:1], 0xc5c
	v_lshlrev_b32_e32 v1, 3, v0
	v_cmp_eq_f32_e64 s0, s7, 1.0
	s_delay_alu instid0(VALU_DEP_2) | instskip(NEXT) | instid1(VALU_DEP_1)
	v_add_co_u32 v3, s2, s16, v1
	v_add_co_ci_u32_e64 v4, null, s17, 0, s2
	s_mov_b32 s16, s7
	s_waitcnt lgkmcnt(0)
	s_and_b32 s1, s1, 0xffff
	s_delay_alu instid0(SALU_CYCLE_1)
	v_add_lshl_u32 v1, v0, s1, 2
	s_lshl_b32 s17, s1, 3
	s_lshl_b32 s18, s1, 2
.LBB75_32:                              ; =>This Inner Loop Header: Depth=1
	v_add_co_u32 v5, vcc_lo, s8, v3
	v_add_co_ci_u32_e32 v6, vcc_lo, s9, v4, vcc_lo
	v_add_co_u32 v7, vcc_lo, s10, v3
	v_add_co_ci_u32_e32 v8, vcc_lo, s11, v4, vcc_lo
	;; [unrolled: 2-line block ×3, first 2 shown]
	global_load_b64 v[5:6], v[5:6], off
	global_load_b64 v[7:8], v[7:8], off
	global_load_b64 v[11:12], v[9:10], off
	v_add_co_u32 v3, vcc_lo, v3, s17
	v_add_co_ci_u32_e32 v4, vcc_lo, 0, v4, vcc_lo
	v_cmp_le_i64_e64 s1, s[14:15], v[1:2]
	v_cmp_lt_u64_e64 s2, 0xffff, v[1:2]
	s_delay_alu instid0(VALU_DEP_1) | instskip(NEXT) | instid1(SALU_CYCLE_1)
	s_or_b32 s1, s1, s2
	s_and_b32 s1, exec_lo, s1
	s_delay_alu instid0(SALU_CYCLE_1)
	s_or_b32 s6, s1, s6
	s_waitcnt vmcnt(2)
	v_lshrrev_b32_e32 v13, 16, v5
	s_waitcnt vmcnt(1)
	v_lshrrev_b32_e32 v14, 16, v7
	v_lshrrev_b32_e32 v18, 16, v6
	;; [unrolled: 1-line block ×3, first 2 shown]
	v_cvt_f32_f16_e32 v5, v5
	v_cvt_f32_f16_e32 v7, v7
	;; [unrolled: 1-line block ×8, first 2 shown]
	v_div_scale_f32 v20, null, v7, v7, v5
	v_div_scale_f32 v22, null, v8, v8, v6
	;; [unrolled: 1-line block ×3, first 2 shown]
	s_delay_alu instid0(VALU_DEP_4) | instskip(NEXT) | instid1(VALU_DEP_4)
	v_div_scale_f32 v27, null, v19, v19, v18
	v_rcp_f32_e32 v26, v20
	s_delay_alu instid0(VALU_DEP_3) | instskip(NEXT) | instid1(VALU_DEP_2)
	v_rcp_f32_e32 v29, v22
	v_rcp_f32_e32 v30, v24
	s_delay_alu instid0(VALU_DEP_1) | instskip(SKIP_4) | instid1(TRANS32_DEP_3)
	v_rcp_f32_e32 v31, v27
	v_div_scale_f32 v21, s3, v5, v7, v5
	v_div_scale_f32 v23, s4, v6, v8, v6
	v_div_scale_f32 v25, vcc_lo, v13, v14, v13
	v_fma_f32 v32, -v20, v26, 1.0
	v_fma_f32 v33, -v22, v29, 1.0
	s_delay_alu instid0(TRANS32_DEP_2) | instskip(NEXT) | instid1(TRANS32_DEP_1)
	v_fma_f32 v34, -v24, v30, 1.0
	v_fma_f32 v35, -v27, v31, 1.0
	v_div_scale_f32 v28, s5, v18, v19, v18
	s_delay_alu instid0(VALU_DEP_4) | instskip(NEXT) | instid1(VALU_DEP_3)
	v_dual_fmac_f32 v26, v32, v26 :: v_dual_fmac_f32 v29, v33, v29
	v_dual_fmac_f32 v30, v34, v30 :: v_dual_fmac_f32 v31, v35, v31
	s_waitcnt vmcnt(0)
	v_lshrrev_b32_e32 v0, 16, v11
	s_delay_alu instid0(VALU_DEP_3) | instskip(NEXT) | instid1(VALU_DEP_3)
	v_dual_mul_f32 v32, v21, v26 :: v_dual_mul_f32 v33, v23, v29
	v_dual_mul_f32 v34, v25, v30 :: v_dual_mul_f32 v35, v28, v31
	v_lshrrev_b32_e32 v16, 16, v12
	s_delay_alu instid0(VALU_DEP_3) | instskip(NEXT) | instid1(VALU_DEP_4)
	v_fma_f32 v36, -v20, v32, v21
	v_fma_f32 v37, -v22, v33, v23
	s_delay_alu instid0(VALU_DEP_4) | instskip(SKIP_2) | instid1(VALU_DEP_4)
	v_fma_f32 v38, -v24, v34, v25
	v_fma_f32 v39, -v27, v35, v28
	v_cvt_f32_f16_e32 v15, v11
	v_dual_fmac_f32 v32, v36, v26 :: v_dual_fmac_f32 v33, v37, v29
	s_delay_alu instid0(VALU_DEP_3) | instskip(SKIP_1) | instid1(VALU_DEP_3)
	v_dual_fmac_f32 v34, v38, v30 :: v_dual_fmac_f32 v35, v39, v31
	v_cvt_f32_f16_e32 v17, v12
	v_fma_f32 v20, -v20, v32, v21
	s_delay_alu instid0(VALU_DEP_4) | instskip(NEXT) | instid1(VALU_DEP_4)
	v_fma_f32 v21, -v22, v33, v23
	v_fma_f32 v22, -v24, v34, v25
	;; [unrolled: 1-line block ×3, first 2 shown]
	v_cvt_f32_f16_e32 v0, v0
	v_cvt_f32_f16_e32 v16, v16
	s_delay_alu instid0(VALU_DEP_4) | instskip(SKIP_3) | instid1(VALU_DEP_2)
	v_div_fmas_f32 v22, v22, v30, v34
	s_mov_b32 vcc_lo, s3
	v_div_fmas_f32 v20, v20, v26, v32
	s_mov_b32 vcc_lo, s5
	v_div_fixup_f32 v13, v22, v14, v13
	v_div_fmas_f32 v23, v23, v31, v35
	s_mov_b32 vcc_lo, s4
	v_div_fixup_f32 v5, v20, v7, v5
	v_div_fmas_f32 v14, v21, v29, v33
	v_add_f32_e32 v0, v13, v0
	v_div_fixup_f32 v7, v23, v19, v18
	v_fma_mix_f32 v13, s16, v13, v11 op_sel:[0,0,1] op_sel_hi:[0,0,1]
	v_add_co_u32 v1, vcc_lo, v1, s18
	v_div_fixup_f32 v6, v14, v8, v6
	v_add_f32_e32 v8, v5, v15
	v_fma_mix_f32 v5, s7, v5, v11 op_sel_hi:[0,0,1]
	v_add_f32_e32 v11, v7, v16
	v_fma_mix_f32 v7, s16, v7, v12 op_sel:[0,0,1] op_sel_hi:[0,0,1]
	v_add_f32_e32 v14, v6, v17
	v_fma_mix_f32 v6, s7, v6, v12 op_sel_hi:[0,0,1]
	v_cndmask_b32_e64 v0, v13, v0, s0
	v_cndmask_b32_e64 v5, v5, v8, s0
	;; [unrolled: 1-line block ×3, first 2 shown]
	v_add_co_ci_u32_e32 v2, vcc_lo, 0, v2, vcc_lo
	v_cndmask_b32_e64 v6, v6, v14, s0
	v_cvt_f16_f32_e32 v0, v0
	v_cvt_f16_f32_e32 v5, v5
	;; [unrolled: 1-line block ×3, first 2 shown]
	s_delay_alu instid0(VALU_DEP_4) | instskip(NEXT) | instid1(VALU_DEP_3)
	v_cvt_f16_f32_e32 v6, v6
	v_pack_b32_f16 v5, v5, v0
	s_delay_alu instid0(VALU_DEP_2)
	v_pack_b32_f16 v6, v6, v7
	global_store_b64 v[9:10], v[5:6], off
	s_and_not1_b32 exec_lo, exec_lo, s6
	s_cbranch_execnz .LBB75_32
.LBB75_33:
	s_nop 0
	s_sendmsg sendmsg(MSG_DEALLOC_VGPRS)
	s_endpgm
	.section	.rodata,"a",@progbits
	.p2align	6, 0x0
	.amdhsa_kernel _ZN2at6native12_GLOBAL__N_125multi_tensor_apply_kernelINS1_18TensorListMetadataILi3EEENS1_24PointwiseOpScalarFunctorIN3c104HalfELi3ELi3ELi0EEEJSt7dividesIfEfEEEvT_T0_DpT1_
		.amdhsa_group_segment_fixed_size 0
		.amdhsa_private_segment_fixed_size 0
		.amdhsa_kernarg_size 3408
		.amdhsa_user_sgpr_count 15
		.amdhsa_user_sgpr_dispatch_ptr 0
		.amdhsa_user_sgpr_queue_ptr 0
		.amdhsa_user_sgpr_kernarg_segment_ptr 1
		.amdhsa_user_sgpr_dispatch_id 0
		.amdhsa_user_sgpr_private_segment_size 0
		.amdhsa_wavefront_size32 1
		.amdhsa_uses_dynamic_stack 0
		.amdhsa_enable_private_segment 0
		.amdhsa_system_sgpr_workgroup_id_x 1
		.amdhsa_system_sgpr_workgroup_id_y 0
		.amdhsa_system_sgpr_workgroup_id_z 0
		.amdhsa_system_sgpr_workgroup_info 0
		.amdhsa_system_vgpr_workitem_id 0
		.amdhsa_next_free_vgpr 48
		.amdhsa_next_free_sgpr 25
		.amdhsa_reserve_vcc 1
		.amdhsa_float_round_mode_32 0
		.amdhsa_float_round_mode_16_64 0
		.amdhsa_float_denorm_mode_32 3
		.amdhsa_float_denorm_mode_16_64 3
		.amdhsa_dx10_clamp 1
		.amdhsa_ieee_mode 1
		.amdhsa_fp16_overflow 0
		.amdhsa_workgroup_processor_mode 1
		.amdhsa_memory_ordered 1
		.amdhsa_forward_progress 0
		.amdhsa_shared_vgpr_count 0
		.amdhsa_exception_fp_ieee_invalid_op 0
		.amdhsa_exception_fp_denorm_src 0
		.amdhsa_exception_fp_ieee_div_zero 0
		.amdhsa_exception_fp_ieee_overflow 0
		.amdhsa_exception_fp_ieee_underflow 0
		.amdhsa_exception_fp_ieee_inexact 0
		.amdhsa_exception_int_div_zero 0
	.end_amdhsa_kernel
	.section	.text._ZN2at6native12_GLOBAL__N_125multi_tensor_apply_kernelINS1_18TensorListMetadataILi3EEENS1_24PointwiseOpScalarFunctorIN3c104HalfELi3ELi3ELi0EEEJSt7dividesIfEfEEEvT_T0_DpT1_,"axG",@progbits,_ZN2at6native12_GLOBAL__N_125multi_tensor_apply_kernelINS1_18TensorListMetadataILi3EEENS1_24PointwiseOpScalarFunctorIN3c104HalfELi3ELi3ELi0EEEJSt7dividesIfEfEEEvT_T0_DpT1_,comdat
.Lfunc_end75:
	.size	_ZN2at6native12_GLOBAL__N_125multi_tensor_apply_kernelINS1_18TensorListMetadataILi3EEENS1_24PointwiseOpScalarFunctorIN3c104HalfELi3ELi3ELi0EEEJSt7dividesIfEfEEEvT_T0_DpT1_, .Lfunc_end75-_ZN2at6native12_GLOBAL__N_125multi_tensor_apply_kernelINS1_18TensorListMetadataILi3EEENS1_24PointwiseOpScalarFunctorIN3c104HalfELi3ELi3ELi0EEEJSt7dividesIfEfEEEvT_T0_DpT1_
                                        ; -- End function
	.section	.AMDGPU.csdata,"",@progbits
; Kernel info:
; codeLenInByte = 2936
; NumSgprs: 27
; NumVgprs: 48
; ScratchSize: 0
; MemoryBound: 0
; FloatMode: 240
; IeeeMode: 1
; LDSByteSize: 0 bytes/workgroup (compile time only)
; SGPRBlocks: 3
; VGPRBlocks: 5
; NumSGPRsForWavesPerEU: 27
; NumVGPRsForWavesPerEU: 48
; Occupancy: 16
; WaveLimiterHint : 0
; COMPUTE_PGM_RSRC2:SCRATCH_EN: 0
; COMPUTE_PGM_RSRC2:USER_SGPR: 15
; COMPUTE_PGM_RSRC2:TRAP_HANDLER: 0
; COMPUTE_PGM_RSRC2:TGID_X_EN: 1
; COMPUTE_PGM_RSRC2:TGID_Y_EN: 0
; COMPUTE_PGM_RSRC2:TGID_Z_EN: 0
; COMPUTE_PGM_RSRC2:TIDIG_COMP_CNT: 0
	.section	.text._ZN2at6native12_GLOBAL__N_125multi_tensor_apply_kernelINS1_18TensorListMetadataILi3EEENS1_24PointwiseOpScalarFunctorIN3c108BFloat16ELi3ELi3ELi0EEEJSt7dividesIfEfEEEvT_T0_DpT1_,"axG",@progbits,_ZN2at6native12_GLOBAL__N_125multi_tensor_apply_kernelINS1_18TensorListMetadataILi3EEENS1_24PointwiseOpScalarFunctorIN3c108BFloat16ELi3ELi3ELi0EEEJSt7dividesIfEfEEEvT_T0_DpT1_,comdat
	.globl	_ZN2at6native12_GLOBAL__N_125multi_tensor_apply_kernelINS1_18TensorListMetadataILi3EEENS1_24PointwiseOpScalarFunctorIN3c108BFloat16ELi3ELi3ELi0EEEJSt7dividesIfEfEEEvT_T0_DpT1_ ; -- Begin function _ZN2at6native12_GLOBAL__N_125multi_tensor_apply_kernelINS1_18TensorListMetadataILi3EEENS1_24PointwiseOpScalarFunctorIN3c108BFloat16ELi3ELi3ELi0EEEJSt7dividesIfEfEEEvT_T0_DpT1_
	.p2align	8
	.type	_ZN2at6native12_GLOBAL__N_125multi_tensor_apply_kernelINS1_18TensorListMetadataILi3EEENS1_24PointwiseOpScalarFunctorIN3c108BFloat16ELi3ELi3ELi0EEEJSt7dividesIfEfEEEvT_T0_DpT1_,@function
_ZN2at6native12_GLOBAL__N_125multi_tensor_apply_kernelINS1_18TensorListMetadataILi3EEENS1_24PointwiseOpScalarFunctorIN3c108BFloat16ELi3ELi3ELi0EEEJSt7dividesIfEfEEEvT_T0_DpT1_: ; @_ZN2at6native12_GLOBAL__N_125multi_tensor_apply_kernelINS1_18TensorListMetadataILi3EEENS1_24PointwiseOpScalarFunctorIN3c108BFloat16ELi3ELi3ELi0EEEJSt7dividesIfEfEEEvT_T0_DpT1_
; %bb.0:
	v_mov_b32_e32 v1, s15
	s_add_u32 s2, s0, s15
	s_mul_hi_u32 s3, s15, 3
	s_mul_i32 s15, s15, 3
	s_addc_u32 s4, s1, 0
	global_load_u8 v1, v1, s[0:1] offset:1536
	s_load_b32 s7, s[0:1], 0xc4c
	s_add_u32 s2, s2, s15
	s_addc_u32 s3, s4, s3
	s_mov_b32 s19, 0
	s_load_b32 s2, s[2:3], 0x740
	s_waitcnt vmcnt(0)
	v_readfirstlane_b32 s3, v1
	s_delay_alu instid0(VALU_DEP_1)
	s_lshl_b32 s3, s3, 3
	s_clause 0x3
	s_load_b64 s[8:9], s[0:1], s3 offset:0x180
	s_load_b64 s[10:11], s[0:1], s3 offset:0x300
	;; [unrolled: 1-line block ×4, first 2 shown]
	s_waitcnt lgkmcnt(0)
	s_ashr_i32 s3, s2, 31
	s_delay_alu instid0(SALU_CYCLE_1) | instskip(NEXT) | instid1(SALU_CYCLE_1)
	s_lshl_b64 s[16:17], s[2:3], 17
	s_add_u32 s6, s8, s16
	s_delay_alu instid0(SALU_CYCLE_1) | instskip(SKIP_2) | instid1(SALU_CYCLE_1)
	s_or_b32 s6, s10, s6
	s_and_b32 s18, s12, 7
	s_and_b32 s6, s6, 7
	s_cmp_eq_u32 s6, 0
	s_cselect_b32 s6, -1, 0
	s_lshl_b64 s[2:3], s[2:3], 16
	s_delay_alu instid0(SALU_CYCLE_1) | instskip(SKIP_3) | instid1(SALU_CYCLE_1)
	s_sub_u32 s14, s4, s2
	s_subb_u32 s15, s5, s3
	s_and_b32 s2, s4, 3
	s_mov_b32 s3, s19
	s_or_b64 s[2:3], s[18:19], s[2:3]
	s_delay_alu instid0(SALU_CYCLE_1) | instskip(SKIP_1) | instid1(SALU_CYCLE_1)
	s_cmp_eq_u64 s[2:3], 0
	s_cselect_b32 s2, -1, 0
	s_and_b32 s2, s6, s2
	s_delay_alu instid0(SALU_CYCLE_1)
	s_and_b32 vcc_lo, exec_lo, s2
	s_mov_b32 s2, -1
	s_cbranch_vccnz .LBB76_29
; %bb.1:
	v_cmp_lt_i64_e64 s2, s[14:15], 1
	s_delay_alu instid0(VALU_DEP_1)
	s_and_b32 vcc_lo, exec_lo, s2
	s_cbranch_vccnz .LBB76_28
; %bb.2:
	s_load_b32 s3, s[0:1], 0xc5c
	v_dual_mov_b32 v14, 0 :: v_dual_lshlrev_b32 v13, 1, v0
	v_cmp_gt_u64_e64 s4, 0x10000, s[14:15]
	v_cmp_eq_f32_e64 s2, s7, 1.0
	s_mov_b64 s[20:21], 0
	s_delay_alu instid0(VALU_DEP_3) | instskip(NEXT) | instid1(VALU_DEP_1)
	v_add_co_u32 v1, s5, s12, v13
	v_add_co_ci_u32_e64 v2, null, s13, 0, s5
	v_add_co_u32 v3, s5, s8, v13
	s_delay_alu instid0(VALU_DEP_1) | instskip(SKIP_1) | instid1(VALU_DEP_1)
	v_add_co_ci_u32_e64 v4, null, s9, 0, s5
	v_add_co_u32 v5, s5, s10, v13
	v_add_co_ci_u32_e64 v6, null, s11, 0, s5
	s_waitcnt lgkmcnt(0)
	s_and_b32 s3, s3, 0xffff
	s_and_b32 s4, s4, exec_lo
	v_mad_u64_u32 v[11:12], null, s3, 6, v[13:14]
	s_cselect_b32 s19, s15, 0
	s_cselect_b32 s18, s14, 0x10000
	s_mul_i32 s5, s3, 3
	s_lshl_b32 s22, s3, 2
	s_lshl_b32 s4, s3, 1
	v_add_co_u32 v20, s6, s22, v13
	v_add_co_u32 v13, s5, s5, v0
	v_add_co_u32 v7, vcc_lo, s12, v11
	v_add_co_ci_u32_e64 v14, null, 0, 0, s5
	v_add_co_u32 v19, s5, v0, s3
	v_add_co_ci_u32_e32 v8, vcc_lo, s13, v12, vcc_lo
	v_add_co_u32 v9, vcc_lo, s8, v11
	v_add_co_ci_u32_e32 v10, vcc_lo, s9, v12, vcc_lo
	v_add_co_u32 v11, vcc_lo, s10, v11
	v_add_co_ci_u32_e64 v21, null, 0, 0, s6
	v_lshlrev_b32_e32 v29, 1, v19
	v_add_co_ci_u32_e32 v12, vcc_lo, s11, v12, vcc_lo
	v_add_co_u32 v15, vcc_lo, s12, v20
	v_add_co_u32 v23, s4, s4, v0
	v_add_co_ci_u32_e32 v16, vcc_lo, s13, v21, vcc_lo
	v_add_co_ci_u32_e64 v24, null, 0, 0, s4
	v_add_co_u32 v25, s4, s12, v29
	v_add_co_u32 v17, vcc_lo, s8, v20
	v_add_co_ci_u32_e64 v26, null, s13, 0, s4
	v_add_co_u32 v27, s4, s8, v29
	v_add_co_ci_u32_e32 v18, vcc_lo, s9, v21, vcc_lo
	v_add_co_u32 v20, vcc_lo, s10, v20
	v_add_co_ci_u32_e64 v28, null, s9, 0, s4
	v_add_co_u32 v29, s4, s10, v29
	v_add_co_ci_u32_e32 v21, vcc_lo, s11, v21, vcc_lo
	v_add_co_ci_u32_e64 v22, null, 0, 0, s5
	v_add_co_ci_u32_e64 v30, null, s11, 0, s4
	s_lshl_b32 s23, s3, 3
	s_branch .LBB76_4
.LBB76_3:                               ;   in Loop: Header=BB76_4 Depth=1
	s_or_b32 exec_lo, exec_lo, s3
	v_add_co_u32 v1, vcc_lo, v1, s23
	v_add_co_ci_u32_e32 v2, vcc_lo, 0, v2, vcc_lo
	v_add_co_u32 v3, vcc_lo, v3, s23
	v_add_co_ci_u32_e32 v4, vcc_lo, 0, v4, vcc_lo
	v_add_co_u32 v5, vcc_lo, v5, s23
	v_add_co_ci_u32_e32 v6, vcc_lo, 0, v6, vcc_lo
	v_add_co_u32 v7, vcc_lo, v7, s23
	v_add_co_ci_u32_e32 v8, vcc_lo, 0, v8, vcc_lo
	v_add_co_u32 v9, vcc_lo, v9, s23
	v_add_co_ci_u32_e32 v10, vcc_lo, 0, v10, vcc_lo
	v_add_co_u32 v11, vcc_lo, v11, s23
	v_add_co_ci_u32_e32 v12, vcc_lo, 0, v12, vcc_lo
	v_add_co_u32 v15, vcc_lo, v15, s23
	v_add_co_ci_u32_e32 v16, vcc_lo, 0, v16, vcc_lo
	v_add_co_u32 v17, vcc_lo, v17, s23
	v_add_co_ci_u32_e32 v18, vcc_lo, 0, v18, vcc_lo
	v_add_co_u32 v20, vcc_lo, v20, s23
	v_add_co_ci_u32_e32 v21, vcc_lo, 0, v21, vcc_lo
	s_add_u32 s20, s20, s22
	v_add_co_u32 v25, vcc_lo, v25, s23
	s_addc_u32 s21, s21, 0
	v_add_co_ci_u32_e32 v26, vcc_lo, 0, v26, vcc_lo
	v_cmp_lt_i64_e64 s3, s[20:21], s[14:15]
	v_cmp_gt_u64_e64 s4, 0x10000, s[20:21]
	v_add_co_u32 v27, vcc_lo, v27, s23
	v_add_co_ci_u32_e32 v28, vcc_lo, 0, v28, vcc_lo
	v_add_co_u32 v29, vcc_lo, v29, s23
	v_add_co_ci_u32_e32 v30, vcc_lo, 0, v30, vcc_lo
	s_and_b32 s3, s3, s4
	s_delay_alu instid0(SALU_CYCLE_1)
	s_and_b32 vcc_lo, exec_lo, s3
	s_cbranch_vccz .LBB76_28
.LBB76_4:                               ; =>This Inner Loop Header: Depth=1
	s_waitcnt vmcnt(1)
	v_add_co_u32 v31, s3, v0, s20
	s_delay_alu instid0(VALU_DEP_1) | instskip(SKIP_2) | instid1(VALU_DEP_2)
	v_add_co_ci_u32_e64 v32, null, 0, s21, s3
	s_waitcnt vmcnt(0)
	v_dual_mov_b32 v34, 0 :: v_dual_mov_b32 v35, 0
	v_cmp_gt_u64_e32 vcc_lo, s[18:19], v[31:32]
	s_and_saveexec_b32 s4, vcc_lo
	s_cbranch_execz .LBB76_6
; %bb.5:                                ;   in Loop: Header=BB76_4 Depth=1
	v_add_co_u32 v31, s3, v1, s16
	s_delay_alu instid0(VALU_DEP_1) | instskip(SKIP_1) | instid1(VALU_DEP_1)
	v_add_co_ci_u32_e64 v32, s3, s17, v2, s3
	v_add_co_u32 v35, s3, v3, s16
	v_add_co_ci_u32_e64 v36, s3, s17, v4, s3
	global_load_u16 v34, v[31:32], off
	global_load_u16 v35, v[35:36], off
.LBB76_6:                               ;   in Loop: Header=BB76_4 Depth=1
	s_or_b32 exec_lo, exec_lo, s4
	v_dual_mov_b32 v31, 0 :: v_dual_mov_b32 v38, 0
	s_and_saveexec_b32 s4, vcc_lo
	s_cbranch_execz .LBB76_8
; %bb.7:                                ;   in Loop: Header=BB76_4 Depth=1
	v_add_co_u32 v32, s3, v5, s16
	s_delay_alu instid0(VALU_DEP_1)
	v_add_co_ci_u32_e64 v33, s3, s17, v6, s3
	global_load_u16 v38, v[32:33], off
.LBB76_8:                               ;   in Loop: Header=BB76_4 Depth=1
	s_or_b32 exec_lo, exec_lo, s4
	v_add_co_u32 v32, s3, v19, s20
	s_delay_alu instid0(VALU_DEP_1) | instskip(SKIP_1) | instid1(VALU_DEP_2)
	v_add_co_ci_u32_e64 v33, s3, s21, v22, s3
	v_mov_b32_e32 v36, 0
	v_cmp_gt_u64_e64 s3, s[18:19], v[32:33]
	s_delay_alu instid0(VALU_DEP_1)
	s_and_saveexec_b32 s5, s3
	s_cbranch_execz .LBB76_10
; %bb.9:                                ;   in Loop: Header=BB76_4 Depth=1
	v_add_co_u32 v31, s4, v25, s16
	s_delay_alu instid0(VALU_DEP_1) | instskip(SKIP_1) | instid1(VALU_DEP_1)
	v_add_co_ci_u32_e64 v32, s4, s17, v26, s4
	v_add_co_u32 v36, s4, v27, s16
	v_add_co_ci_u32_e64 v37, s4, s17, v28, s4
	global_load_u16 v31, v[31:32], off
	global_load_u16 v36, v[36:37], off
.LBB76_10:                              ;   in Loop: Header=BB76_4 Depth=1
	s_or_b32 exec_lo, exec_lo, s5
	v_mov_b32_e32 v32, 0
	v_mov_b32_e32 v40, 0
	s_and_saveexec_b32 s5, s3
	s_cbranch_execz .LBB76_12
; %bb.11:                               ;   in Loop: Header=BB76_4 Depth=1
	v_add_co_u32 v39, s4, v29, s16
	s_delay_alu instid0(VALU_DEP_1)
	v_add_co_ci_u32_e64 v40, s4, s17, v30, s4
	global_load_u16 v40, v[39:40], off
.LBB76_12:                              ;   in Loop: Header=BB76_4 Depth=1
	s_or_b32 exec_lo, exec_lo, s5
	v_add_co_u32 v41, s4, v23, s20
	s_delay_alu instid0(VALU_DEP_1) | instskip(SKIP_1) | instid1(VALU_DEP_2)
	v_add_co_ci_u32_e64 v42, s4, s21, v24, s4
	v_mov_b32_e32 v37, 0
	v_cmp_gt_u64_e64 s4, s[18:19], v[41:42]
	s_delay_alu instid0(VALU_DEP_1)
	s_and_saveexec_b32 s6, s4
	s_cbranch_execz .LBB76_14
; %bb.13:                               ;   in Loop: Header=BB76_4 Depth=1
	v_add_co_u32 v32, s5, v15, s16
	s_delay_alu instid0(VALU_DEP_1) | instskip(SKIP_1) | instid1(VALU_DEP_1)
	v_add_co_ci_u32_e64 v33, s5, s17, v16, s5
	v_add_co_u32 v41, s5, v17, s16
	v_add_co_ci_u32_e64 v42, s5, s17, v18, s5
	global_load_u16 v32, v[32:33], off
	global_load_u16 v37, v[41:42], off
.LBB76_14:                              ;   in Loop: Header=BB76_4 Depth=1
	s_or_b32 exec_lo, exec_lo, s6
	v_mov_b32_e32 v33, 0
	v_mov_b32_e32 v41, 0
	s_and_saveexec_b32 s6, s4
	s_cbranch_execz .LBB76_16
; %bb.15:                               ;   in Loop: Header=BB76_4 Depth=1
	v_add_co_u32 v41, s5, v20, s16
	s_delay_alu instid0(VALU_DEP_1)
	v_add_co_ci_u32_e64 v42, s5, s17, v21, s5
	global_load_u16 v41, v[41:42], off
.LBB76_16:                              ;   in Loop: Header=BB76_4 Depth=1
	s_or_b32 exec_lo, exec_lo, s6
	v_add_co_u32 v42, s5, v13, s20
	s_delay_alu instid0(VALU_DEP_1) | instskip(SKIP_1) | instid1(VALU_DEP_2)
	v_add_co_ci_u32_e64 v43, s5, s21, v14, s5
	v_mov_b32_e32 v39, 0
	v_cmp_gt_u64_e64 s5, s[18:19], v[42:43]
	s_delay_alu instid0(VALU_DEP_1)
	s_and_saveexec_b32 s24, s5
	s_cbranch_execnz .LBB76_22
; %bb.17:                               ;   in Loop: Header=BB76_4 Depth=1
	s_or_b32 exec_lo, exec_lo, s24
	v_mov_b32_e32 v42, 0
	s_and_saveexec_b32 s24, s5
	s_cbranch_execnz .LBB76_23
.LBB76_18:                              ;   in Loop: Header=BB76_4 Depth=1
	s_or_b32 exec_lo, exec_lo, s24
	s_and_saveexec_b32 s6, vcc_lo
	s_cbranch_execnz .LBB76_24
.LBB76_19:                              ;   in Loop: Header=BB76_4 Depth=1
	s_or_b32 exec_lo, exec_lo, s6
	s_and_saveexec_b32 s6, s3
	s_cbranch_execnz .LBB76_25
.LBB76_20:                              ;   in Loop: Header=BB76_4 Depth=1
	s_or_b32 exec_lo, exec_lo, s6
	s_and_saveexec_b32 s3, s4
	s_cbranch_execnz .LBB76_26
.LBB76_21:                              ;   in Loop: Header=BB76_4 Depth=1
	s_or_b32 exec_lo, exec_lo, s3
	s_and_saveexec_b32 s3, s5
	s_cbranch_execz .LBB76_3
	s_branch .LBB76_27
.LBB76_22:                              ;   in Loop: Header=BB76_4 Depth=1
	v_add_co_u32 v42, s6, v7, s16
	s_delay_alu instid0(VALU_DEP_1) | instskip(SKIP_1) | instid1(VALU_DEP_1)
	v_add_co_ci_u32_e64 v43, s6, s17, v8, s6
	v_add_co_u32 v44, s6, v9, s16
	v_add_co_ci_u32_e64 v45, s6, s17, v10, s6
	global_load_u16 v33, v[42:43], off
	global_load_u16 v39, v[44:45], off
	s_or_b32 exec_lo, exec_lo, s24
	v_mov_b32_e32 v42, 0
	s_and_saveexec_b32 s24, s5
	s_cbranch_execz .LBB76_18
.LBB76_23:                              ;   in Loop: Header=BB76_4 Depth=1
	v_add_co_u32 v42, s6, v11, s16
	s_delay_alu instid0(VALU_DEP_1)
	v_add_co_ci_u32_e64 v43, s6, s17, v12, s6
	global_load_u16 v42, v[42:43], off
	s_or_b32 exec_lo, exec_lo, s24
	s_and_saveexec_b32 s6, vcc_lo
	s_cbranch_execz .LBB76_19
.LBB76_24:                              ;   in Loop: Header=BB76_4 Depth=1
	s_waitcnt vmcnt(0)
	v_lshlrev_b32_e32 v35, 16, v35
	v_lshlrev_b32_e32 v38, 16, v38
	;; [unrolled: 1-line block ×3, first 2 shown]
	s_delay_alu instid0(VALU_DEP_2) | instskip(NEXT) | instid1(VALU_DEP_1)
	v_div_scale_f32 v43, null, v38, v38, v35
	v_rcp_f32_e32 v44, v43
	s_waitcnt_depctr 0xfff
	v_fma_f32 v45, -v43, v44, 1.0
	s_delay_alu instid0(VALU_DEP_1) | instskip(SKIP_1) | instid1(VALU_DEP_1)
	v_fmac_f32_e32 v44, v45, v44
	v_div_scale_f32 v46, vcc_lo, v35, v38, v35
	v_mul_f32_e32 v45, v46, v44
	s_delay_alu instid0(VALU_DEP_1) | instskip(NEXT) | instid1(VALU_DEP_1)
	v_fma_f32 v47, -v43, v45, v46
	v_fmac_f32_e32 v45, v47, v44
	s_delay_alu instid0(VALU_DEP_1) | instskip(NEXT) | instid1(VALU_DEP_1)
	v_fma_f32 v43, -v43, v45, v46
	v_div_fmas_f32 v43, v43, v44, v45
	s_delay_alu instid0(VALU_DEP_1) | instskip(NEXT) | instid1(VALU_DEP_1)
	v_div_fixup_f32 v35, v43, v38, v35
	v_add_f32_e32 v38, v35, v34
	v_fmac_f32_e32 v34, s7, v35
	s_delay_alu instid0(VALU_DEP_1) | instskip(NEXT) | instid1(VALU_DEP_1)
	v_cndmask_b32_e64 v34, v34, v38, s2
	v_bfe_u32 v35, v34, 16, 1
	v_cmp_o_f32_e32 vcc_lo, v34, v34
	s_delay_alu instid0(VALU_DEP_2) | instskip(NEXT) | instid1(VALU_DEP_1)
	v_add3_u32 v35, v34, v35, 0x7fff
	v_lshrrev_b32_e32 v35, 16, v35
	s_delay_alu instid0(VALU_DEP_1)
	v_cndmask_b32_e32 v38, 0x7fc0, v35, vcc_lo
	v_add_co_u32 v34, vcc_lo, v1, s16
	v_add_co_ci_u32_e32 v35, vcc_lo, s17, v2, vcc_lo
	global_store_b16 v[34:35], v38, off
	s_or_b32 exec_lo, exec_lo, s6
	s_and_saveexec_b32 s6, s3
	s_cbranch_execz .LBB76_20
.LBB76_25:                              ;   in Loop: Header=BB76_4 Depth=1
	s_waitcnt vmcnt(0)
	v_lshlrev_b32_e32 v34, 16, v36
	v_lshlrev_b32_e32 v35, 16, v40
	;; [unrolled: 1-line block ×3, first 2 shown]
	s_delay_alu instid0(VALU_DEP_2) | instskip(NEXT) | instid1(VALU_DEP_1)
	v_div_scale_f32 v36, null, v35, v35, v34
	v_rcp_f32_e32 v38, v36
	s_waitcnt_depctr 0xfff
	v_fma_f32 v40, -v36, v38, 1.0
	s_delay_alu instid0(VALU_DEP_1) | instskip(SKIP_1) | instid1(VALU_DEP_1)
	v_fmac_f32_e32 v38, v40, v38
	v_div_scale_f32 v43, vcc_lo, v34, v35, v34
	v_mul_f32_e32 v40, v43, v38
	s_delay_alu instid0(VALU_DEP_1) | instskip(NEXT) | instid1(VALU_DEP_1)
	v_fma_f32 v44, -v36, v40, v43
	v_fmac_f32_e32 v40, v44, v38
	s_delay_alu instid0(VALU_DEP_1) | instskip(NEXT) | instid1(VALU_DEP_1)
	v_fma_f32 v36, -v36, v40, v43
	v_div_fmas_f32 v36, v36, v38, v40
	s_delay_alu instid0(VALU_DEP_1) | instskip(NEXT) | instid1(VALU_DEP_1)
	v_div_fixup_f32 v34, v36, v35, v34
	v_add_f32_e32 v35, v34, v31
	v_fmac_f32_e32 v31, s7, v34
	s_delay_alu instid0(VALU_DEP_1) | instskip(NEXT) | instid1(VALU_DEP_1)
	v_cndmask_b32_e64 v31, v31, v35, s2
	v_bfe_u32 v34, v31, 16, 1
	s_delay_alu instid0(VALU_DEP_1) | instskip(NEXT) | instid1(VALU_DEP_1)
	v_add3_u32 v34, v31, v34, 0x7fff
	v_lshrrev_b32_e32 v36, 16, v34
	v_add_co_u32 v34, vcc_lo, v25, s16
	v_add_co_ci_u32_e32 v35, vcc_lo, s17, v26, vcc_lo
	v_cmp_o_f32_e32 vcc_lo, v31, v31
	s_delay_alu instid0(VALU_DEP_4)
	v_cndmask_b32_e32 v31, 0x7fc0, v36, vcc_lo
	global_store_b16 v[34:35], v31, off
	s_or_b32 exec_lo, exec_lo, s6
	s_and_saveexec_b32 s3, s4
	s_cbranch_execz .LBB76_21
.LBB76_26:                              ;   in Loop: Header=BB76_4 Depth=1
	s_waitcnt vmcnt(0)
	v_lshlrev_b32_e32 v31, 16, v37
	v_lshlrev_b32_e32 v34, 16, v41
	;; [unrolled: 1-line block ×3, first 2 shown]
	s_delay_alu instid0(VALU_DEP_2) | instskip(NEXT) | instid1(VALU_DEP_1)
	v_div_scale_f32 v35, null, v34, v34, v31
	v_rcp_f32_e32 v36, v35
	s_waitcnt_depctr 0xfff
	v_fma_f32 v37, -v35, v36, 1.0
	s_delay_alu instid0(VALU_DEP_1) | instskip(SKIP_1) | instid1(VALU_DEP_1)
	v_fmac_f32_e32 v36, v37, v36
	v_div_scale_f32 v38, vcc_lo, v31, v34, v31
	v_mul_f32_e32 v37, v38, v36
	s_delay_alu instid0(VALU_DEP_1) | instskip(NEXT) | instid1(VALU_DEP_1)
	v_fma_f32 v40, -v35, v37, v38
	v_fmac_f32_e32 v37, v40, v36
	s_delay_alu instid0(VALU_DEP_1) | instskip(NEXT) | instid1(VALU_DEP_1)
	v_fma_f32 v35, -v35, v37, v38
	v_div_fmas_f32 v35, v35, v36, v37
	s_delay_alu instid0(VALU_DEP_1) | instskip(NEXT) | instid1(VALU_DEP_1)
	v_div_fixup_f32 v31, v35, v34, v31
	v_add_f32_e32 v34, v31, v32
	v_fmac_f32_e32 v32, s7, v31
	s_delay_alu instid0(VALU_DEP_1) | instskip(NEXT) | instid1(VALU_DEP_1)
	v_cndmask_b32_e64 v34, v32, v34, s2
	v_bfe_u32 v31, v34, 16, 1
	s_delay_alu instid0(VALU_DEP_1) | instskip(NEXT) | instid1(VALU_DEP_1)
	v_add3_u32 v31, v34, v31, 0x7fff
	v_lshrrev_b32_e32 v35, 16, v31
	v_add_co_u32 v31, vcc_lo, v15, s16
	v_add_co_ci_u32_e32 v32, vcc_lo, s17, v16, vcc_lo
	v_cmp_o_f32_e32 vcc_lo, v34, v34
	s_delay_alu instid0(VALU_DEP_4)
	v_cndmask_b32_e32 v34, 0x7fc0, v35, vcc_lo
	global_store_b16 v[31:32], v34, off
	s_or_b32 exec_lo, exec_lo, s3
	s_and_saveexec_b32 s3, s5
	s_cbranch_execz .LBB76_3
.LBB76_27:                              ;   in Loop: Header=BB76_4 Depth=1
	s_waitcnt vmcnt(0)
	v_lshlrev_b32_e32 v31, 16, v39
	v_lshlrev_b32_e32 v32, 16, v42
	;; [unrolled: 1-line block ×3, first 2 shown]
	s_delay_alu instid0(VALU_DEP_2) | instskip(NEXT) | instid1(VALU_DEP_1)
	v_div_scale_f32 v34, null, v32, v32, v31
	v_rcp_f32_e32 v35, v34
	s_waitcnt_depctr 0xfff
	v_fma_f32 v36, -v34, v35, 1.0
	s_delay_alu instid0(VALU_DEP_1) | instskip(SKIP_1) | instid1(VALU_DEP_1)
	v_fmac_f32_e32 v35, v36, v35
	v_div_scale_f32 v37, vcc_lo, v31, v32, v31
	v_mul_f32_e32 v36, v37, v35
	s_delay_alu instid0(VALU_DEP_1) | instskip(NEXT) | instid1(VALU_DEP_1)
	v_fma_f32 v38, -v34, v36, v37
	v_fmac_f32_e32 v36, v38, v35
	s_delay_alu instid0(VALU_DEP_1) | instskip(NEXT) | instid1(VALU_DEP_1)
	v_fma_f32 v34, -v34, v36, v37
	v_div_fmas_f32 v34, v34, v35, v36
	s_delay_alu instid0(VALU_DEP_1) | instskip(NEXT) | instid1(VALU_DEP_1)
	v_div_fixup_f32 v31, v34, v32, v31
	v_dual_add_f32 v32, v31, v33 :: v_dual_fmac_f32 v33, s7, v31
	s_delay_alu instid0(VALU_DEP_1) | instskip(NEXT) | instid1(VALU_DEP_1)
	v_cndmask_b32_e64 v33, v33, v32, s2
	v_bfe_u32 v31, v33, 16, 1
	s_delay_alu instid0(VALU_DEP_1) | instskip(NEXT) | instid1(VALU_DEP_1)
	v_add3_u32 v31, v33, v31, 0x7fff
	v_lshrrev_b32_e32 v34, 16, v31
	v_add_co_u32 v31, vcc_lo, v7, s16
	v_add_co_ci_u32_e32 v32, vcc_lo, s17, v8, vcc_lo
	v_cmp_o_f32_e32 vcc_lo, v33, v33
	s_delay_alu instid0(VALU_DEP_4)
	v_cndmask_b32_e32 v33, 0x7fc0, v34, vcc_lo
	global_store_b16 v[31:32], v33, off
	s_branch .LBB76_3
.LBB76_28:
	s_mov_b32 s2, 0
.LBB76_29:
	s_delay_alu instid0(SALU_CYCLE_1)
	s_and_not1_b32 vcc_lo, exec_lo, s2
	s_cbranch_vccnz .LBB76_33
; %bb.30:
	v_dual_mov_b32 v2, 0 :: v_dual_lshlrev_b32 v1, 2, v0
	s_mov_b32 s18, 0
	s_mov_b32 s2, exec_lo
	s_delay_alu instid0(VALU_DEP_1)
	v_cmpx_gt_i64_e64 s[14:15], v[1:2]
	s_cbranch_execz .LBB76_33
; %bb.31:
	s_load_b32 s1, s[0:1], 0xc5c
	v_lshlrev_b32_e32 v1, 3, v0
	v_cmp_eq_f32_e64 s0, s7, 1.0
	s_delay_alu instid0(VALU_DEP_2) | instskip(NEXT) | instid1(VALU_DEP_1)
	v_add_co_u32 v3, s2, s16, v1
	v_add_co_ci_u32_e64 v4, null, s17, 0, s2
	s_waitcnt lgkmcnt(0)
	s_and_b32 s1, s1, 0xffff
	s_delay_alu instid0(SALU_CYCLE_1)
	v_add_lshl_u32 v1, v0, s1, 2
	s_lshl_b32 s16, s1, 3
	s_lshl_b32 s17, s1, 2
.LBB76_32:                              ; =>This Inner Loop Header: Depth=1
	v_add_co_u32 v5, vcc_lo, s8, v3
	v_add_co_ci_u32_e32 v6, vcc_lo, s9, v4, vcc_lo
	v_add_co_u32 v7, vcc_lo, s10, v3
	v_add_co_ci_u32_e32 v8, vcc_lo, s11, v4, vcc_lo
	v_add_co_u32 v9, vcc_lo, s12, v3
	v_add_co_ci_u32_e32 v10, vcc_lo, s13, v4, vcc_lo
	global_load_b64 v[5:6], v[5:6], off
	global_load_b64 v[7:8], v[7:8], off
	;; [unrolled: 1-line block ×3, first 2 shown]
	v_add_co_u32 v3, vcc_lo, v3, s16
	v_add_co_ci_u32_e32 v4, vcc_lo, 0, v4, vcc_lo
	v_cmp_le_i64_e64 s1, s[14:15], v[1:2]
	v_cmp_lt_u64_e64 s2, 0xffff, v[1:2]
	v_add_co_u32 v1, s3, v1, s17
	s_delay_alu instid0(VALU_DEP_2) | instskip(NEXT) | instid1(SALU_CYCLE_1)
	s_or_b32 s1, s1, s2
	s_and_b32 s1, exec_lo, s1
	s_delay_alu instid0(SALU_CYCLE_1)
	s_or_b32 s18, s1, s18
	s_waitcnt vmcnt(2)
	v_lshlrev_b32_e32 v13, 16, v5
	s_waitcnt vmcnt(1)
	v_lshlrev_b32_e32 v14, 16, v7
	v_and_b32_e32 v16, 0xffff0000, v5
	v_and_b32_e32 v17, 0xffff0000, v7
	v_alignbit_b32 v5, v6, v5, 16
	v_alignbit_b32 v7, v8, v7, 16
	v_and_b32_e32 v8, 0xffff0000, v8
	v_div_scale_f32 v18, null, v14, v14, v13
	s_delay_alu instid0(VALU_DEP_4) | instskip(NEXT) | instid1(VALU_DEP_4)
	v_and_b32_e32 v5, 0xffff0000, v5
	v_and_b32_e32 v7, 0xffff0000, v7
	s_delay_alu instid0(VALU_DEP_3) | instskip(NEXT) | instid1(VALU_DEP_1)
	v_rcp_f32_e32 v24, v18
	v_div_scale_f32 v28, s6, v5, v7, v5
	v_and_b32_e32 v6, 0xffff0000, v6
	s_delay_alu instid0(VALU_DEP_1) | instskip(SKIP_3) | instid1(VALU_DEP_1)
	v_div_scale_f32 v22, null, v8, v8, v6
	s_waitcnt_depctr 0xfff
	v_fma_f32 v30, -v18, v24, 1.0
	v_rcp_f32_e32 v27, v22
	v_fmac_f32_e32 v24, v30, v24
	v_div_scale_f32 v19, vcc_lo, v13, v14, v13
	s_waitcnt_depctr 0xfff
	v_fma_f32 v32, -v22, v27, 1.0
	s_delay_alu instid0(VALU_DEP_1) | instskip(SKIP_2) | instid1(VALU_DEP_2)
	v_fmac_f32_e32 v27, v32, v27
	v_div_scale_f32 v20, null, v17, v17, v16
	v_div_scale_f32 v21, s4, v16, v17, v16
	v_rcp_f32_e32 v25, v20
	s_waitcnt_depctr 0xfff
	v_fma_f32 v31, -v20, v25, 1.0
	s_waitcnt vmcnt(0)
	s_delay_alu instid0(VALU_DEP_1) | instskip(SKIP_3) | instid1(VALU_DEP_4)
	v_dual_fmac_f32 v25, v31, v25 :: v_dual_lshlrev_b32 v0, 16, v11
	v_mul_f32_e32 v31, v19, v24
	v_and_b32_e32 v15, 0xffff0000, v11
	v_alignbit_b32 v11, v12, v11, 16
	v_mul_f32_e32 v32, v21, v25
	s_delay_alu instid0(VALU_DEP_4) | instskip(NEXT) | instid1(VALU_DEP_2)
	v_fma_f32 v33, -v18, v31, v19
	v_fma_f32 v34, -v20, v32, v21
	s_delay_alu instid0(VALU_DEP_1) | instskip(NEXT) | instid1(VALU_DEP_1)
	v_dual_fmac_f32 v31, v33, v24 :: v_dual_fmac_f32 v32, v34, v25
	v_fma_f32 v18, -v18, v31, v19
	s_delay_alu instid0(VALU_DEP_2) | instskip(NEXT) | instid1(VALU_DEP_2)
	v_fma_f32 v19, -v20, v32, v21
	v_div_fmas_f32 v18, v18, v24, v31
	s_mov_b32 vcc_lo, s4
	s_delay_alu instid0(VALU_DEP_2) | instskip(NEXT) | instid1(VALU_DEP_2)
	v_div_fmas_f32 v19, v19, v25, v32
	v_div_fixup_f32 v13, v18, v14, v13
	v_and_b32_e32 v11, 0xffff0000, v11
	s_mov_b32 vcc_lo, s6
	s_delay_alu instid0(VALU_DEP_3) | instskip(NEXT) | instid1(VALU_DEP_3)
	v_div_fixup_f32 v16, v19, v17, v16
	v_add_f32_e32 v18, v13, v0
	v_fmac_f32_e32 v0, s7, v13
	v_div_scale_f32 v26, null, v7, v7, v5
	s_delay_alu instid0(VALU_DEP_2) | instskip(NEXT) | instid1(VALU_DEP_2)
	v_cndmask_b32_e64 v0, v0, v18, s0
	v_rcp_f32_e32 v29, v26
	s_waitcnt_depctr 0xfff
	v_fma_f32 v30, -v26, v29, 1.0
	s_delay_alu instid0(VALU_DEP_1) | instskip(NEXT) | instid1(VALU_DEP_1)
	v_dual_fmac_f32 v29, v30, v29 :: v_dual_and_b32 v12, 0xffff0000, v12
	v_mul_f32_e32 v35, v28, v29
	s_delay_alu instid0(VALU_DEP_1) | instskip(NEXT) | instid1(VALU_DEP_1)
	v_fma_f32 v33, -v26, v35, v28
	v_fmac_f32_e32 v35, v33, v29
	v_div_scale_f32 v23, s5, v6, v8, v6
	s_delay_alu instid0(VALU_DEP_2) | instskip(NEXT) | instid1(VALU_DEP_2)
	v_fma_f32 v21, -v26, v35, v28
	v_mul_f32_e32 v30, v23, v27
	s_delay_alu instid0(VALU_DEP_2) | instskip(NEXT) | instid1(VALU_DEP_2)
	v_div_fmas_f32 v14, v21, v29, v35
	v_fma_f32 v36, -v22, v30, v23
	s_mov_b32 vcc_lo, s5
	s_delay_alu instid0(VALU_DEP_2) | instskip(NEXT) | instid1(VALU_DEP_2)
	v_div_fixup_f32 v5, v14, v7, v5
	v_fmac_f32_e32 v30, v36, v27
	s_delay_alu instid0(VALU_DEP_1) | instskip(NEXT) | instid1(VALU_DEP_1)
	v_fma_f32 v20, -v22, v30, v23
	v_div_fmas_f32 v17, v20, v27, v30
	v_cmp_o_f32_e32 vcc_lo, v0, v0
	s_delay_alu instid0(VALU_DEP_2) | instskip(SKIP_3) | instid1(VALU_DEP_4)
	v_div_fixup_f32 v6, v17, v8, v6
	v_add_f32_e32 v7, v16, v15
	v_dual_fmac_f32 v15, s7, v16 :: v_dual_add_f32 v8, v5, v11
	v_fmac_f32_e32 v11, s7, v5
	v_dual_add_f32 v5, v6, v12 :: v_dual_fmac_f32 v12, s7, v6
	s_delay_alu instid0(VALU_DEP_3) | instskip(SKIP_1) | instid1(VALU_DEP_3)
	v_cndmask_b32_e64 v6, v15, v7, s0
	v_bfe_u32 v7, v0, 16, 1
	v_cndmask_b32_e64 v5, v12, v5, s0
	s_delay_alu instid0(VALU_DEP_3) | instskip(NEXT) | instid1(VALU_DEP_3)
	v_cmp_o_f32_e64 s4, v6, v6
	v_add3_u32 v7, v0, v7, 0x7fff
	s_delay_alu instid0(VALU_DEP_3) | instskip(NEXT) | instid1(VALU_DEP_2)
	v_bfe_u32 v13, v5, 16, 1
	v_lshrrev_b32_e32 v7, 16, v7
	s_delay_alu instid0(VALU_DEP_2) | instskip(NEXT) | instid1(VALU_DEP_1)
	v_add3_u32 v0, v5, v13, 0x7fff
	v_and_b32_e32 v0, 0xffff0000, v0
	v_cndmask_b32_e64 v8, v11, v8, s0
	v_bfe_u32 v11, v6, 16, 1
	s_delay_alu instid0(VALU_DEP_2) | instskip(NEXT) | instid1(VALU_DEP_2)
	v_bfe_u32 v12, v8, 16, 1
	v_add3_u32 v11, v6, v11, 0x7fff
	v_cndmask_b32_e32 v6, 0x7fc0, v7, vcc_lo
	v_cmp_o_f32_e32 vcc_lo, v8, v8
	s_delay_alu instid0(VALU_DEP_4) | instskip(NEXT) | instid1(VALU_DEP_4)
	v_add3_u32 v12, v8, v12, 0x7fff
	v_and_b32_e32 v11, 0xffff0000, v11
	s_delay_alu instid0(VALU_DEP_2) | instskip(NEXT) | instid1(VALU_DEP_2)
	v_lshrrev_b32_e32 v7, 16, v12
	v_cndmask_b32_e64 v11, 0x7fc00000, v11, s4
	v_cmp_o_f32_e64 s4, v5, v5
	s_delay_alu instid0(VALU_DEP_3) | instskip(NEXT) | instid1(VALU_DEP_3)
	v_cndmask_b32_e32 v5, 0x7fc0, v7, vcc_lo
	v_or_b32_e32 v7, v6, v11
	s_delay_alu instid0(VALU_DEP_3) | instskip(SKIP_1) | instid1(VALU_DEP_2)
	v_cndmask_b32_e64 v0, 0x7fc00000, v0, s4
	v_add_co_ci_u32_e64 v2, vcc_lo, 0, v2, s3
	v_or3_b32 v6, 0, v5, v0
	s_delay_alu instid0(VALU_DEP_4)
	v_or3_b32 v5, v7, 0, 0
	global_store_b64 v[9:10], v[5:6], off
	s_and_not1_b32 exec_lo, exec_lo, s18
	s_cbranch_execnz .LBB76_32
.LBB76_33:
	s_nop 0
	s_sendmsg sendmsg(MSG_DEALLOC_VGPRS)
	s_endpgm
	.section	.rodata,"a",@progbits
	.p2align	6, 0x0
	.amdhsa_kernel _ZN2at6native12_GLOBAL__N_125multi_tensor_apply_kernelINS1_18TensorListMetadataILi3EEENS1_24PointwiseOpScalarFunctorIN3c108BFloat16ELi3ELi3ELi0EEEJSt7dividesIfEfEEEvT_T0_DpT1_
		.amdhsa_group_segment_fixed_size 0
		.amdhsa_private_segment_fixed_size 0
		.amdhsa_kernarg_size 3408
		.amdhsa_user_sgpr_count 15
		.amdhsa_user_sgpr_dispatch_ptr 0
		.amdhsa_user_sgpr_queue_ptr 0
		.amdhsa_user_sgpr_kernarg_segment_ptr 1
		.amdhsa_user_sgpr_dispatch_id 0
		.amdhsa_user_sgpr_private_segment_size 0
		.amdhsa_wavefront_size32 1
		.amdhsa_uses_dynamic_stack 0
		.amdhsa_enable_private_segment 0
		.amdhsa_system_sgpr_workgroup_id_x 1
		.amdhsa_system_sgpr_workgroup_id_y 0
		.amdhsa_system_sgpr_workgroup_id_z 0
		.amdhsa_system_sgpr_workgroup_info 0
		.amdhsa_system_vgpr_workitem_id 0
		.amdhsa_next_free_vgpr 48
		.amdhsa_next_free_sgpr 25
		.amdhsa_reserve_vcc 1
		.amdhsa_float_round_mode_32 0
		.amdhsa_float_round_mode_16_64 0
		.amdhsa_float_denorm_mode_32 3
		.amdhsa_float_denorm_mode_16_64 3
		.amdhsa_dx10_clamp 1
		.amdhsa_ieee_mode 1
		.amdhsa_fp16_overflow 0
		.amdhsa_workgroup_processor_mode 1
		.amdhsa_memory_ordered 1
		.amdhsa_forward_progress 0
		.amdhsa_shared_vgpr_count 0
		.amdhsa_exception_fp_ieee_invalid_op 0
		.amdhsa_exception_fp_denorm_src 0
		.amdhsa_exception_fp_ieee_div_zero 0
		.amdhsa_exception_fp_ieee_overflow 0
		.amdhsa_exception_fp_ieee_underflow 0
		.amdhsa_exception_fp_ieee_inexact 0
		.amdhsa_exception_int_div_zero 0
	.end_amdhsa_kernel
	.section	.text._ZN2at6native12_GLOBAL__N_125multi_tensor_apply_kernelINS1_18TensorListMetadataILi3EEENS1_24PointwiseOpScalarFunctorIN3c108BFloat16ELi3ELi3ELi0EEEJSt7dividesIfEfEEEvT_T0_DpT1_,"axG",@progbits,_ZN2at6native12_GLOBAL__N_125multi_tensor_apply_kernelINS1_18TensorListMetadataILi3EEENS1_24PointwiseOpScalarFunctorIN3c108BFloat16ELi3ELi3ELi0EEEJSt7dividesIfEfEEEvT_T0_DpT1_,comdat
.Lfunc_end76:
	.size	_ZN2at6native12_GLOBAL__N_125multi_tensor_apply_kernelINS1_18TensorListMetadataILi3EEENS1_24PointwiseOpScalarFunctorIN3c108BFloat16ELi3ELi3ELi0EEEJSt7dividesIfEfEEEvT_T0_DpT1_, .Lfunc_end76-_ZN2at6native12_GLOBAL__N_125multi_tensor_apply_kernelINS1_18TensorListMetadataILi3EEENS1_24PointwiseOpScalarFunctorIN3c108BFloat16ELi3ELi3ELi0EEEJSt7dividesIfEfEEEvT_T0_DpT1_
                                        ; -- End function
	.section	.AMDGPU.csdata,"",@progbits
; Kernel info:
; codeLenInByte = 3332
; NumSgprs: 27
; NumVgprs: 48
; ScratchSize: 0
; MemoryBound: 0
; FloatMode: 240
; IeeeMode: 1
; LDSByteSize: 0 bytes/workgroup (compile time only)
; SGPRBlocks: 3
; VGPRBlocks: 5
; NumSGPRsForWavesPerEU: 27
; NumVGPRsForWavesPerEU: 48
; Occupancy: 16
; WaveLimiterHint : 0
; COMPUTE_PGM_RSRC2:SCRATCH_EN: 0
; COMPUTE_PGM_RSRC2:USER_SGPR: 15
; COMPUTE_PGM_RSRC2:TRAP_HANDLER: 0
; COMPUTE_PGM_RSRC2:TGID_X_EN: 1
; COMPUTE_PGM_RSRC2:TGID_Y_EN: 0
; COMPUTE_PGM_RSRC2:TGID_Z_EN: 0
; COMPUTE_PGM_RSRC2:TIDIG_COMP_CNT: 0
	.section	.text._ZN2at6native12_GLOBAL__N_125multi_tensor_apply_kernelINS1_18TensorListMetadataILi3EEENS1_32PointwiseOpScalar0dTensorFunctorIhLi3ELi2ELi0EEEJSt7dividesIhEhEEEvT_T0_DpT1_,"axG",@progbits,_ZN2at6native12_GLOBAL__N_125multi_tensor_apply_kernelINS1_18TensorListMetadataILi3EEENS1_32PointwiseOpScalar0dTensorFunctorIhLi3ELi2ELi0EEEJSt7dividesIhEhEEEvT_T0_DpT1_,comdat
	.globl	_ZN2at6native12_GLOBAL__N_125multi_tensor_apply_kernelINS1_18TensorListMetadataILi3EEENS1_32PointwiseOpScalar0dTensorFunctorIhLi3ELi2ELi0EEEJSt7dividesIhEhEEEvT_T0_DpT1_ ; -- Begin function _ZN2at6native12_GLOBAL__N_125multi_tensor_apply_kernelINS1_18TensorListMetadataILi3EEENS1_32PointwiseOpScalar0dTensorFunctorIhLi3ELi2ELi0EEEJSt7dividesIhEhEEEvT_T0_DpT1_
	.p2align	8
	.type	_ZN2at6native12_GLOBAL__N_125multi_tensor_apply_kernelINS1_18TensorListMetadataILi3EEENS1_32PointwiseOpScalar0dTensorFunctorIhLi3ELi2ELi0EEEJSt7dividesIhEhEEEvT_T0_DpT1_,@function
_ZN2at6native12_GLOBAL__N_125multi_tensor_apply_kernelINS1_18TensorListMetadataILi3EEENS1_32PointwiseOpScalar0dTensorFunctorIhLi3ELi2ELi0EEEJSt7dividesIhEhEEEvT_T0_DpT1_: ; @_ZN2at6native12_GLOBAL__N_125multi_tensor_apply_kernelINS1_18TensorListMetadataILi3EEENS1_32PointwiseOpScalar0dTensorFunctorIhLi3ELi2ELi0EEEJSt7dividesIhEhEEEvT_T0_DpT1_
; %bb.0:
	v_dual_mov_b32 v1, s15 :: v_dual_mov_b32 v2, 0
	s_add_u32 s2, s0, s15
	s_mul_i32 s4, s15, 3
	s_addc_u32 s3, s1, 0
	global_load_u8 v1, v1, s[0:1] offset:1536
	s_load_b32 s14, s[0:1], 0xc48
	s_mul_hi_u32 s5, s15, 3
	s_add_u32 s2, s2, s4
	s_addc_u32 s3, s3, s5
	s_load_b32 s2, s[2:3], 0x740
	s_waitcnt vmcnt(0)
	v_readfirstlane_b32 s3, v1
	s_delay_alu instid0(VALU_DEP_1)
	s_lshl_b32 s3, s3, 3
	s_clause 0x1
	s_load_b64 s[4:5], s[0:1], s3 offset:0x180
	s_load_b64 s[6:7], s[0:1], s3 offset:0x300
	s_waitcnt lgkmcnt(0)
	global_load_u8 v3, v2, s[4:5]
	s_clause 0x1
	s_load_b64 s[8:9], s[0:1], s3 offset:0x0
	s_load_b64 s[16:17], s[0:1], s3 offset:0x480
	s_ashr_i32 s3, s2, 31
	s_delay_alu instid0(SALU_CYCLE_1)
	s_lshl_b64 s[10:11], s[2:3], 16
	s_waitcnt lgkmcnt(0)
	s_add_u32 s12, s8, s10
	s_addc_u32 s13, s9, s11
	s_add_u32 s2, s4, s10
	s_add_u32 s3, s6, s10
	s_addc_u32 s15, s7, s11
	s_or_b32 s2, s3, s2
	s_delay_alu instid0(SALU_CYCLE_1) | instskip(NEXT) | instid1(SALU_CYCLE_1)
	s_and_b32 s2, s2, 3
	s_cmp_lg_u32 s2, 0
	s_cselect_b32 s2, -1, 0
	s_sub_u32 s4, s16, s10
	s_subb_u32 s5, s17, s11
	s_or_b64 s[16:17], s[16:17], s[12:13]
	s_mov_b32 s17, 0
	s_and_b32 s16, s16, 3
	s_delay_alu instid0(SALU_CYCLE_1) | instskip(SKIP_1) | instid1(SALU_CYCLE_1)
	s_cmp_lg_u64 s[16:17], 0
	s_cselect_b32 s16, -1, 0
	s_or_b32 s2, s2, s16
	s_delay_alu instid0(SALU_CYCLE_1)
	s_and_not1_b32 vcc_lo, exec_lo, s2
	s_mov_b32 s2, -1
	s_cbranch_vccz .LBB77_5
; %bb.1:
	v_lshlrev_b32_e32 v1, 2, v0
	s_mov_b32 s16, exec_lo
	s_delay_alu instid0(VALU_DEP_1)
	v_cmpx_gt_i64_e64 s[4:5], v[1:2]
	s_cbranch_execz .LBB77_4
; %bb.2:
	s_load_b32 s2, s[0:1], 0xc5c
	s_waitcnt vmcnt(0)
	v_cvt_f32_ubyte0_e32 v4, v3
	s_lshr_b32 s19, s14, 16
	s_waitcnt lgkmcnt(0)
	s_and_b32 s2, s2, 0xffff
	s_delay_alu instid0(SALU_CYCLE_1)
	s_lshl_b32 s18, s2, 2
.LBB77_3:                               ; =>This Inner Loop Header: Depth=1
	v_add_co_u32 v5, vcc_lo, s3, v1
	v_add_co_ci_u32_e32 v6, vcc_lo, s15, v2, vcc_lo
	v_add_co_u32 v7, vcc_lo, s12, v1
	v_add_co_ci_u32_e32 v8, vcc_lo, s13, v2, vcc_lo
	v_add_co_u32 v1, vcc_lo, s18, v1
	global_load_b32 v5, v[5:6], off
	global_load_b32 v6, v[7:8], off
	v_add_co_ci_u32_e32 v2, vcc_lo, 0, v2, vcc_lo
	s_delay_alu instid0(VALU_DEP_1)
	v_cmp_le_i64_e32 vcc_lo, s[4:5], v[1:2]
	s_waitcnt vmcnt(1)
	v_cvt_f32_ubyte0_e32 v9, v5
	v_cvt_f32_ubyte1_e32 v11, v5
	v_cvt_f32_ubyte2_e32 v13, v5
	v_cvt_f32_ubyte3_e32 v5, v5
	s_waitcnt vmcnt(0)
	v_lshrrev_b32_e32 v10, 8, v6
	v_rcp_iflag_f32_e32 v15, v9
	v_rcp_iflag_f32_e32 v16, v11
	;; [unrolled: 1-line block ×4, first 2 shown]
	v_lshrrev_b32_e32 v12, 16, v6
	v_lshrrev_b32_e32 v14, 24, v6
	v_mul_f32_e32 v15, v4, v15
	s_delay_alu instid0(TRANS32_DEP_3)
	v_mul_f32_e32 v16, v4, v16
	s_waitcnt_depctr 0xfff
	v_mul_f32_e32 v17, v4, v17
	v_mul_f32_e32 v18, v4, v18
	v_trunc_f32_e32 v15, v15
	v_trunc_f32_e32 v16, v16
	s_delay_alu instid0(VALU_DEP_4) | instskip(NEXT) | instid1(VALU_DEP_4)
	v_trunc_f32_e32 v17, v17
	v_trunc_f32_e32 v18, v18
	s_delay_alu instid0(VALU_DEP_4)
	v_fma_f32 v19, -v15, v9, v4
	v_cvt_u32_f32_e32 v15, v15
	v_fma_f32 v20, -v16, v11, v4
	v_cvt_u32_f32_e32 v16, v16
	v_fma_f32 v21, -v17, v13, v4
	v_cmp_ge_f32_e64 s2, |v19|, v9
	v_cvt_u32_f32_e32 v17, v17
	v_fma_f32 v22, -v18, v5, v4
	v_cvt_u32_f32_e32 v18, v18
	s_delay_alu instid0(VALU_DEP_4) | instskip(SKIP_1) | instid1(VALU_DEP_2)
	v_add_co_ci_u32_e64 v9, s2, 0, v15, s2
	v_cmp_ge_f32_e64 s2, |v20|, v11
	v_mad_u16 v6, v9, s19, v6
	s_delay_alu instid0(VALU_DEP_2) | instskip(SKIP_1) | instid1(VALU_DEP_2)
	v_add_co_ci_u32_e64 v11, s2, 0, v16, s2
	v_cmp_ge_f32_e64 s2, |v21|, v13
	v_mad_u16 v10, v11, s19, v10
	s_delay_alu instid0(VALU_DEP_2) | instskip(SKIP_1) | instid1(VALU_DEP_3)
	v_add_co_ci_u32_e64 v13, s2, 0, v17, s2
	v_cmp_ge_f32_e64 s2, |v22|, v5
	v_and_b32_e32 v9, 0xff, v10
	s_delay_alu instid0(VALU_DEP_3) | instskip(NEXT) | instid1(VALU_DEP_3)
	v_mad_u16 v11, v13, s19, v12
	v_add_co_ci_u32_e64 v5, s2, 0, v18, s2
	v_cmp_lt_u64_e64 s2, 0xffff, v[1:2]
	s_delay_alu instid0(VALU_DEP_3) | instskip(SKIP_1) | instid1(VALU_DEP_4)
	v_and_b32_e32 v10, 0xff, v11
	v_perm_b32 v6, v9, v6, 0x6050400
	v_mad_u16 v5, v5, s19, v14
	s_delay_alu instid0(VALU_DEP_3) | instskip(SKIP_1) | instid1(VALU_DEP_2)
	v_lshlrev_b32_e32 v9, 16, v10
	s_or_b32 s2, vcc_lo, s2
	v_lshlrev_b32_e32 v5, 24, v5
	s_and_b32 s2, exec_lo, s2
	s_delay_alu instid0(SALU_CYCLE_1) | instskip(NEXT) | instid1(VALU_DEP_1)
	s_or_b32 s17, s2, s17
	v_or3_b32 v5, v6, v9, v5
	global_store_b32 v[7:8], v5, off
	s_and_not1_b32 exec_lo, exec_lo, s17
	s_cbranch_execnz .LBB77_3
.LBB77_4:
	s_or_b32 exec_lo, exec_lo, s16
	s_mov_b32 s2, 0
.LBB77_5:
	s_delay_alu instid0(SALU_CYCLE_1)
	s_and_not1_b32 vcc_lo, exec_lo, s2
	s_cbranch_vccnz .LBB77_25
; %bb.6:
	v_cmp_lt_i64_e64 s2, s[4:5], 1
	s_delay_alu instid0(VALU_DEP_1)
	s_and_b32 vcc_lo, exec_lo, s2
	s_cbranch_vccnz .LBB77_25
; %bb.7:
	s_load_b32 s0, s[0:1], 0xc5c
	v_cmp_gt_u64_e64 s1, 0x10000, s[4:5]
	v_add_co_u32 v1, s2, s10, v0
	s_delay_alu instid0(VALU_DEP_1) | instskip(SKIP_2) | instid1(VALU_DEP_3)
	v_add_co_ci_u32_e64 v2, null, s11, 0, s2
	s_waitcnt vmcnt(0)
	v_cvt_f32_ubyte0_e32 v9, v3
	v_add_co_u32 v10, vcc_lo, s8, v1
	s_delay_alu instid0(VALU_DEP_3)
	v_add_co_ci_u32_e32 v11, vcc_lo, s9, v2, vcc_lo
	v_add_co_u32 v12, vcc_lo, s6, v1
	v_add_co_ci_u32_e32 v13, vcc_lo, s7, v2, vcc_lo
	s_waitcnt lgkmcnt(0)
	s_and_b32 s0, s0, 0xffff
	s_and_b32 s1, s1, exec_lo
	s_mul_i32 s13, s0, 3
	s_cselect_b32 s3, s5, 0
	s_cselect_b32 s2, s4, 0x10000
	s_lshl_b32 s12, s0, 1
	s_lshl_b32 s1, s0, 2
	s_add_u32 s15, s10, s13
	s_addc_u32 s16, s11, 0
	v_add_co_u32 v3, s15, s15, v0
	s_delay_alu instid0(VALU_DEP_1) | instskip(SKIP_1) | instid1(VALU_DEP_2)
	v_add_co_ci_u32_e64 v4, null, s16, 0, s15
	s_add_u32 s10, s10, s12
	v_add_co_u32 v14, vcc_lo, s8, v3
	s_delay_alu instid0(VALU_DEP_2)
	v_add_co_ci_u32_e32 v15, vcc_lo, s9, v4, vcc_lo
	v_add_co_u32 v16, vcc_lo, s6, v3
	s_addc_u32 s11, s11, 0
	v_add_co_u32 v3, s10, s10, v0
	v_add_co_ci_u32_e32 v17, vcc_lo, s7, v4, vcc_lo
	v_add_co_ci_u32_e64 v4, null, s11, 0, s10
	s_delay_alu instid0(VALU_DEP_3) | instskip(SKIP_1) | instid1(VALU_DEP_3)
	v_add_co_u32 v20, vcc_lo, s8, v3
	v_add_co_u32 v18, s10, s13, v0
	v_add_co_ci_u32_e32 v21, vcc_lo, s9, v4, vcc_lo
	v_add_co_u32 v22, vcc_lo, s6, v3
	v_add_co_ci_u32_e32 v23, vcc_lo, s7, v4, vcc_lo
	v_add_co_u32 v1, vcc_lo, v1, s0
	v_add_co_ci_u32_e32 v2, vcc_lo, 0, v2, vcc_lo
	v_add_co_ci_u32_e64 v19, null, 0, 0, s10
	s_delay_alu instid0(VALU_DEP_3) | instskip(NEXT) | instid1(VALU_DEP_3)
	v_add_co_u32 v26, vcc_lo, s8, v1
	v_add_co_ci_u32_e32 v27, vcc_lo, s9, v2, vcc_lo
	v_add_co_u32 v24, s10, s12, v0
	v_add_co_u32 v28, vcc_lo, s6, v1
	v_add_co_u32 v30, s0, v0, s0
	v_add_co_ci_u32_e64 v25, null, 0, 0, s10
	v_add_co_ci_u32_e32 v29, vcc_lo, s7, v2, vcc_lo
	v_add_co_ci_u32_e64 v31, null, 0, 0, s0
	s_mov_b64 s[6:7], 0
	s_lshr_b32 s8, s14, 16
	s_branch .LBB77_9
.LBB77_8:                               ;   in Loop: Header=BB77_9 Depth=1
	s_or_b32 exec_lo, exec_lo, s0
	s_add_u32 s6, s6, s1
	s_addc_u32 s7, s7, 0
	s_delay_alu instid0(SALU_CYCLE_1) | instskip(SKIP_1) | instid1(VALU_DEP_1)
	v_cmp_ge_i64_e64 s0, s[6:7], s[4:5]
	v_cmp_lt_u64_e64 s9, 0xffff, s[6:7]
	s_or_b32 s0, s0, s9
	s_delay_alu instid0(SALU_CYCLE_1)
	s_and_b32 vcc_lo, exec_lo, s0
	s_cbranch_vccnz .LBB77_25
.LBB77_9:                               ; =>This Inner Loop Header: Depth=1
	v_add_co_u32 v1, s0, v0, s6
	s_delay_alu instid0(VALU_DEP_1) | instskip(SKIP_2) | instid1(VALU_DEP_2)
	v_add_co_ci_u32_e64 v2, null, 0, s7, s0
	s_waitcnt vmcnt(0)
	v_dual_mov_b32 v33, 0 :: v_dual_mov_b32 v32, 0
	v_cmp_gt_i64_e32 vcc_lo, s[4:5], v[1:2]
	v_cmp_gt_u64_e64 s0, 0x10000, v[1:2]
	s_delay_alu instid0(VALU_DEP_1) | instskip(NEXT) | instid1(SALU_CYCLE_1)
	s_and_b32 s9, vcc_lo, s0
	s_and_saveexec_b32 s0, s9
	s_cbranch_execz .LBB77_11
; %bb.10:                               ;   in Loop: Header=BB77_9 Depth=1
	v_add_co_u32 v3, vcc_lo, v10, s6
	v_add_co_ci_u32_e32 v4, vcc_lo, s7, v11, vcc_lo
	v_add_co_u32 v5, vcc_lo, v12, s6
	v_add_co_ci_u32_e32 v6, vcc_lo, s7, v13, vcc_lo
	global_load_u8 v32, v[3:4], off
	global_load_u8 v33, v[5:6], off
.LBB77_11:                              ;   in Loop: Header=BB77_9 Depth=1
	s_or_b32 exec_lo, exec_lo, s0
	v_add_co_u32 v3, vcc_lo, v30, s6
	v_add_co_ci_u32_e32 v4, vcc_lo, s7, v31, vcc_lo
	s_delay_alu instid0(VALU_DEP_1) | instskip(SKIP_1) | instid1(VALU_DEP_1)
	v_cmp_gt_i64_e32 vcc_lo, s[4:5], v[3:4]
	v_cmp_gt_u64_e64 s0, 0x10000, v[3:4]
	s_and_b32 s9, vcc_lo, s0
	s_delay_alu instid0(SALU_CYCLE_1)
	s_and_saveexec_b32 s0, s9
	s_cbranch_execz .LBB77_13
; %bb.12:                               ;   in Loop: Header=BB77_9 Depth=1
	v_add_co_u32 v5, vcc_lo, v26, s6
	v_add_co_ci_u32_e32 v6, vcc_lo, s7, v27, vcc_lo
	v_add_co_u32 v7, vcc_lo, v28, s6
	v_add_co_ci_u32_e32 v8, vcc_lo, s7, v29, vcc_lo
	global_load_u8 v5, v[5:6], off
	global_load_u8 v6, v[7:8], off
	s_waitcnt vmcnt(1)
	v_lshl_or_b32 v32, v5, 8, v32
	s_waitcnt vmcnt(0)
	v_lshl_or_b32 v33, v6, 8, v33
.LBB77_13:                              ;   in Loop: Header=BB77_9 Depth=1
	s_or_b32 exec_lo, exec_lo, s0
	v_add_co_u32 v5, vcc_lo, v24, s6
	v_add_co_ci_u32_e32 v6, vcc_lo, s7, v25, vcc_lo
	s_delay_alu instid0(VALU_DEP_1) | instskip(SKIP_1) | instid1(VALU_DEP_1)
	v_cmp_gt_i64_e32 vcc_lo, s[4:5], v[5:6]
	v_cmp_gt_u64_e64 s0, 0x10000, v[5:6]
	s_and_b32 s9, vcc_lo, s0
	s_delay_alu instid0(SALU_CYCLE_1)
	s_and_saveexec_b32 s0, s9
	s_cbranch_execz .LBB77_15
; %bb.14:                               ;   in Loop: Header=BB77_9 Depth=1
	v_add_co_u32 v7, vcc_lo, v20, s6
	v_add_co_ci_u32_e32 v8, vcc_lo, s7, v21, vcc_lo
	v_add_co_u32 v34, vcc_lo, v22, s6
	v_add_co_ci_u32_e32 v35, vcc_lo, s7, v23, vcc_lo
	global_load_u8 v7, v[7:8], off
	global_load_u8 v8, v[34:35], off
	s_waitcnt vmcnt(1)
	v_lshl_or_b32 v32, v7, 16, v32
	s_waitcnt vmcnt(0)
	v_lshl_or_b32 v33, v8, 16, v33
.LBB77_15:                              ;   in Loop: Header=BB77_9 Depth=1
	s_or_b32 exec_lo, exec_lo, s0
	v_add_co_u32 v7, vcc_lo, v18, s6
	v_add_co_ci_u32_e32 v8, vcc_lo, s7, v19, vcc_lo
	s_delay_alu instid0(VALU_DEP_1) | instskip(SKIP_1) | instid1(VALU_DEP_1)
	v_cmp_gt_i64_e32 vcc_lo, s[4:5], v[7:8]
	v_cmp_gt_u64_e64 s0, 0x10000, v[7:8]
	s_and_b32 s9, vcc_lo, s0
	s_delay_alu instid0(SALU_CYCLE_1)
	s_and_saveexec_b32 s0, s9
	s_cbranch_execnz .LBB77_20
; %bb.16:                               ;   in Loop: Header=BB77_9 Depth=1
	s_or_b32 exec_lo, exec_lo, s0
	s_delay_alu instid0(SALU_CYCLE_1)
	s_mov_b32 s0, exec_lo
	v_cmpx_gt_u64_e64 s[2:3], v[1:2]
	s_cbranch_execnz .LBB77_21
.LBB77_17:                              ;   in Loop: Header=BB77_9 Depth=1
	s_or_b32 exec_lo, exec_lo, s0
	s_delay_alu instid0(SALU_CYCLE_1)
	s_mov_b32 s0, exec_lo
	v_cmpx_gt_u64_e64 s[2:3], v[3:4]
	s_cbranch_execnz .LBB77_22
.LBB77_18:                              ;   in Loop: Header=BB77_9 Depth=1
	s_or_b32 exec_lo, exec_lo, s0
	s_delay_alu instid0(SALU_CYCLE_1)
	s_mov_b32 s0, exec_lo
	v_cmpx_gt_u64_e64 s[2:3], v[5:6]
	s_cbranch_execnz .LBB77_23
.LBB77_19:                              ;   in Loop: Header=BB77_9 Depth=1
	s_or_b32 exec_lo, exec_lo, s0
	s_delay_alu instid0(SALU_CYCLE_1)
	s_mov_b32 s0, exec_lo
	v_cmpx_gt_u64_e64 s[2:3], v[7:8]
	s_cbranch_execz .LBB77_8
	s_branch .LBB77_24
.LBB77_20:                              ;   in Loop: Header=BB77_9 Depth=1
	v_add_co_u32 v34, vcc_lo, v14, s6
	v_add_co_ci_u32_e32 v35, vcc_lo, s7, v15, vcc_lo
	v_add_co_u32 v36, vcc_lo, v16, s6
	v_add_co_ci_u32_e32 v37, vcc_lo, s7, v17, vcc_lo
	global_load_u8 v34, v[34:35], off
	global_load_u8 v35, v[36:37], off
	s_waitcnt vmcnt(1)
	v_lshl_or_b32 v32, v34, 24, v32
	s_waitcnt vmcnt(0)
	v_lshl_or_b32 v33, v35, 24, v33
	s_or_b32 exec_lo, exec_lo, s0
	s_delay_alu instid0(SALU_CYCLE_1)
	s_mov_b32 s0, exec_lo
	v_cmpx_gt_u64_e64 s[2:3], v[1:2]
	s_cbranch_execz .LBB77_17
.LBB77_21:                              ;   in Loop: Header=BB77_9 Depth=1
	s_waitcnt vmcnt(0)
	v_cvt_f32_ubyte0_e32 v1, v33
	s_delay_alu instid0(VALU_DEP_1) | instskip(SKIP_2) | instid1(VALU_DEP_1)
	v_rcp_iflag_f32_e32 v2, v1
	s_waitcnt_depctr 0xfff
	v_mul_f32_e32 v2, v9, v2
	v_trunc_f32_e32 v2, v2
	s_delay_alu instid0(VALU_DEP_1) | instskip(SKIP_1) | instid1(VALU_DEP_2)
	v_fma_f32 v34, -v2, v1, v9
	v_cvt_u32_f32_e32 v2, v2
	v_cmp_ge_f32_e64 vcc_lo, |v34|, v1
	s_delay_alu instid0(VALU_DEP_2) | instskip(SKIP_2) | instid1(VALU_DEP_3)
	v_add_co_ci_u32_e32 v34, vcc_lo, 0, v2, vcc_lo
	v_add_co_u32 v1, vcc_lo, v10, s6
	v_add_co_ci_u32_e32 v2, vcc_lo, s7, v11, vcc_lo
	v_mad_u16 v34, v34, s8, v32
	global_store_b8 v[1:2], v34, off
	s_or_b32 exec_lo, exec_lo, s0
	s_delay_alu instid0(SALU_CYCLE_1)
	s_mov_b32 s0, exec_lo
	v_cmpx_gt_u64_e64 s[2:3], v[3:4]
	s_cbranch_execz .LBB77_18
.LBB77_22:                              ;   in Loop: Header=BB77_9 Depth=1
	s_waitcnt vmcnt(0)
	v_cvt_f32_ubyte1_e32 v1, v33
	v_lshrrev_b32_e32 v4, 8, v32
	s_delay_alu instid0(VALU_DEP_2) | instskip(SKIP_2) | instid1(VALU_DEP_1)
	v_rcp_iflag_f32_e32 v2, v1
	s_waitcnt_depctr 0xfff
	v_mul_f32_e32 v2, v9, v2
	v_trunc_f32_e32 v2, v2
	s_delay_alu instid0(VALU_DEP_1) | instskip(SKIP_1) | instid1(VALU_DEP_2)
	v_fma_f32 v3, -v2, v1, v9
	v_cvt_u32_f32_e32 v2, v2
	v_cmp_ge_f32_e64 vcc_lo, |v3|, v1
	s_delay_alu instid0(VALU_DEP_2) | instskip(NEXT) | instid1(VALU_DEP_1)
	v_add_co_ci_u32_e32 v1, vcc_lo, 0, v2, vcc_lo
	v_mad_u16 v3, v1, s8, v4
	v_add_co_u32 v1, vcc_lo, v26, s6
	v_add_co_ci_u32_e32 v2, vcc_lo, s7, v27, vcc_lo
	global_store_b8 v[1:2], v3, off
	s_or_b32 exec_lo, exec_lo, s0
	s_delay_alu instid0(SALU_CYCLE_1)
	s_mov_b32 s0, exec_lo
	v_cmpx_gt_u64_e64 s[2:3], v[5:6]
	s_cbranch_execz .LBB77_19
.LBB77_23:                              ;   in Loop: Header=BB77_9 Depth=1
	s_waitcnt vmcnt(0)
	v_cvt_f32_ubyte2_e32 v1, v33
	v_lshrrev_b32_e32 v4, 16, v32
	s_delay_alu instid0(VALU_DEP_2) | instskip(SKIP_2) | instid1(VALU_DEP_1)
	v_rcp_iflag_f32_e32 v2, v1
	s_waitcnt_depctr 0xfff
	v_mul_f32_e32 v2, v9, v2
	v_trunc_f32_e32 v2, v2
	s_delay_alu instid0(VALU_DEP_1) | instskip(SKIP_1) | instid1(VALU_DEP_2)
	v_fma_f32 v3, -v2, v1, v9
	v_cvt_u32_f32_e32 v2, v2
	v_cmp_ge_f32_e64 vcc_lo, |v3|, v1
	s_delay_alu instid0(VALU_DEP_2) | instskip(NEXT) | instid1(VALU_DEP_1)
	v_add_co_ci_u32_e32 v1, vcc_lo, 0, v2, vcc_lo
	v_mad_u16 v3, v1, s8, v4
	v_add_co_u32 v1, vcc_lo, v20, s6
	v_add_co_ci_u32_e32 v2, vcc_lo, s7, v21, vcc_lo
	global_store_b8 v[1:2], v3, off
	s_or_b32 exec_lo, exec_lo, s0
	s_delay_alu instid0(SALU_CYCLE_1)
	s_mov_b32 s0, exec_lo
	v_cmpx_gt_u64_e64 s[2:3], v[7:8]
	s_cbranch_execz .LBB77_8
.LBB77_24:                              ;   in Loop: Header=BB77_9 Depth=1
	s_waitcnt vmcnt(0)
	v_cvt_f32_ubyte3_e32 v1, v33
	v_lshrrev_b32_e32 v4, 24, v32
	s_delay_alu instid0(VALU_DEP_2) | instskip(SKIP_2) | instid1(VALU_DEP_1)
	v_rcp_iflag_f32_e32 v2, v1
	s_waitcnt_depctr 0xfff
	v_mul_f32_e32 v2, v9, v2
	v_trunc_f32_e32 v2, v2
	s_delay_alu instid0(VALU_DEP_1) | instskip(SKIP_1) | instid1(VALU_DEP_2)
	v_fma_f32 v3, -v2, v1, v9
	v_cvt_u32_f32_e32 v2, v2
	v_cmp_ge_f32_e64 vcc_lo, |v3|, v1
	s_delay_alu instid0(VALU_DEP_2) | instskip(NEXT) | instid1(VALU_DEP_1)
	v_add_co_ci_u32_e32 v1, vcc_lo, 0, v2, vcc_lo
	v_mad_u16 v3, v1, s8, v4
	v_add_co_u32 v1, vcc_lo, v14, s6
	v_add_co_ci_u32_e32 v2, vcc_lo, s7, v15, vcc_lo
	global_store_b8 v[1:2], v3, off
	s_branch .LBB77_8
.LBB77_25:
	s_nop 0
	s_sendmsg sendmsg(MSG_DEALLOC_VGPRS)
	s_endpgm
	.section	.rodata,"a",@progbits
	.p2align	6, 0x0
	.amdhsa_kernel _ZN2at6native12_GLOBAL__N_125multi_tensor_apply_kernelINS1_18TensorListMetadataILi3EEENS1_32PointwiseOpScalar0dTensorFunctorIhLi3ELi2ELi0EEEJSt7dividesIhEhEEEvT_T0_DpT1_
		.amdhsa_group_segment_fixed_size 0
		.amdhsa_private_segment_fixed_size 0
		.amdhsa_kernarg_size 3408
		.amdhsa_user_sgpr_count 15
		.amdhsa_user_sgpr_dispatch_ptr 0
		.amdhsa_user_sgpr_queue_ptr 0
		.amdhsa_user_sgpr_kernarg_segment_ptr 1
		.amdhsa_user_sgpr_dispatch_id 0
		.amdhsa_user_sgpr_private_segment_size 0
		.amdhsa_wavefront_size32 1
		.amdhsa_uses_dynamic_stack 0
		.amdhsa_enable_private_segment 0
		.amdhsa_system_sgpr_workgroup_id_x 1
		.amdhsa_system_sgpr_workgroup_id_y 0
		.amdhsa_system_sgpr_workgroup_id_z 0
		.amdhsa_system_sgpr_workgroup_info 0
		.amdhsa_system_vgpr_workitem_id 0
		.amdhsa_next_free_vgpr 38
		.amdhsa_next_free_sgpr 20
		.amdhsa_reserve_vcc 1
		.amdhsa_float_round_mode_32 0
		.amdhsa_float_round_mode_16_64 0
		.amdhsa_float_denorm_mode_32 3
		.amdhsa_float_denorm_mode_16_64 3
		.amdhsa_dx10_clamp 1
		.amdhsa_ieee_mode 1
		.amdhsa_fp16_overflow 0
		.amdhsa_workgroup_processor_mode 1
		.amdhsa_memory_ordered 1
		.amdhsa_forward_progress 0
		.amdhsa_shared_vgpr_count 0
		.amdhsa_exception_fp_ieee_invalid_op 0
		.amdhsa_exception_fp_denorm_src 0
		.amdhsa_exception_fp_ieee_div_zero 0
		.amdhsa_exception_fp_ieee_overflow 0
		.amdhsa_exception_fp_ieee_underflow 0
		.amdhsa_exception_fp_ieee_inexact 0
		.amdhsa_exception_int_div_zero 0
	.end_amdhsa_kernel
	.section	.text._ZN2at6native12_GLOBAL__N_125multi_tensor_apply_kernelINS1_18TensorListMetadataILi3EEENS1_32PointwiseOpScalar0dTensorFunctorIhLi3ELi2ELi0EEEJSt7dividesIhEhEEEvT_T0_DpT1_,"axG",@progbits,_ZN2at6native12_GLOBAL__N_125multi_tensor_apply_kernelINS1_18TensorListMetadataILi3EEENS1_32PointwiseOpScalar0dTensorFunctorIhLi3ELi2ELi0EEEJSt7dividesIhEhEEEvT_T0_DpT1_,comdat
.Lfunc_end77:
	.size	_ZN2at6native12_GLOBAL__N_125multi_tensor_apply_kernelINS1_18TensorListMetadataILi3EEENS1_32PointwiseOpScalar0dTensorFunctorIhLi3ELi2ELi0EEEJSt7dividesIhEhEEEvT_T0_DpT1_, .Lfunc_end77-_ZN2at6native12_GLOBAL__N_125multi_tensor_apply_kernelINS1_18TensorListMetadataILi3EEENS1_32PointwiseOpScalar0dTensorFunctorIhLi3ELi2ELi0EEEJSt7dividesIhEhEEEvT_T0_DpT1_
                                        ; -- End function
	.section	.AMDGPU.csdata,"",@progbits
; Kernel info:
; codeLenInByte = 2156
; NumSgprs: 22
; NumVgprs: 38
; ScratchSize: 0
; MemoryBound: 0
; FloatMode: 240
; IeeeMode: 1
; LDSByteSize: 0 bytes/workgroup (compile time only)
; SGPRBlocks: 2
; VGPRBlocks: 4
; NumSGPRsForWavesPerEU: 22
; NumVGPRsForWavesPerEU: 38
; Occupancy: 16
; WaveLimiterHint : 0
; COMPUTE_PGM_RSRC2:SCRATCH_EN: 0
; COMPUTE_PGM_RSRC2:USER_SGPR: 15
; COMPUTE_PGM_RSRC2:TRAP_HANDLER: 0
; COMPUTE_PGM_RSRC2:TGID_X_EN: 1
; COMPUTE_PGM_RSRC2:TGID_Y_EN: 0
; COMPUTE_PGM_RSRC2:TGID_Z_EN: 0
; COMPUTE_PGM_RSRC2:TIDIG_COMP_CNT: 0
	.section	.text._ZN2at6native12_GLOBAL__N_125multi_tensor_apply_kernelINS1_18TensorListMetadataILi3EEENS1_32PointwiseOpScalar0dTensorFunctorIaLi3ELi2ELi0EEEJSt7dividesIaEaEEEvT_T0_DpT1_,"axG",@progbits,_ZN2at6native12_GLOBAL__N_125multi_tensor_apply_kernelINS1_18TensorListMetadataILi3EEENS1_32PointwiseOpScalar0dTensorFunctorIaLi3ELi2ELi0EEEJSt7dividesIaEaEEEvT_T0_DpT1_,comdat
	.globl	_ZN2at6native12_GLOBAL__N_125multi_tensor_apply_kernelINS1_18TensorListMetadataILi3EEENS1_32PointwiseOpScalar0dTensorFunctorIaLi3ELi2ELi0EEEJSt7dividesIaEaEEEvT_T0_DpT1_ ; -- Begin function _ZN2at6native12_GLOBAL__N_125multi_tensor_apply_kernelINS1_18TensorListMetadataILi3EEENS1_32PointwiseOpScalar0dTensorFunctorIaLi3ELi2ELi0EEEJSt7dividesIaEaEEEvT_T0_DpT1_
	.p2align	8
	.type	_ZN2at6native12_GLOBAL__N_125multi_tensor_apply_kernelINS1_18TensorListMetadataILi3EEENS1_32PointwiseOpScalar0dTensorFunctorIaLi3ELi2ELi0EEEJSt7dividesIaEaEEEvT_T0_DpT1_,@function
_ZN2at6native12_GLOBAL__N_125multi_tensor_apply_kernelINS1_18TensorListMetadataILi3EEENS1_32PointwiseOpScalar0dTensorFunctorIaLi3ELi2ELi0EEEJSt7dividesIaEaEEEvT_T0_DpT1_: ; @_ZN2at6native12_GLOBAL__N_125multi_tensor_apply_kernelINS1_18TensorListMetadataILi3EEENS1_32PointwiseOpScalar0dTensorFunctorIaLi3ELi2ELi0EEEJSt7dividesIaEaEEEvT_T0_DpT1_
; %bb.0:
	v_dual_mov_b32 v1, s15 :: v_dual_mov_b32 v2, 0
	s_add_u32 s2, s0, s15
	s_mul_i32 s4, s15, 3
	s_addc_u32 s3, s1, 0
	global_load_u8 v1, v1, s[0:1] offset:1536
	s_load_b32 s14, s[0:1], 0xc48
	s_mul_hi_u32 s5, s15, 3
	s_add_u32 s2, s2, s4
	s_addc_u32 s3, s3, s5
	s_load_b32 s2, s[2:3], 0x740
	s_waitcnt vmcnt(0)
	v_readfirstlane_b32 s3, v1
	s_delay_alu instid0(VALU_DEP_1)
	s_lshl_b32 s3, s3, 3
	s_clause 0x1
	s_load_b64 s[4:5], s[0:1], s3 offset:0x180
	s_load_b64 s[6:7], s[0:1], s3 offset:0x300
	s_waitcnt lgkmcnt(0)
	global_load_u8 v3, v2, s[4:5]
	s_clause 0x1
	s_load_b64 s[8:9], s[0:1], s3 offset:0x0
	s_load_b64 s[16:17], s[0:1], s3 offset:0x480
	s_ashr_i32 s3, s2, 31
	s_delay_alu instid0(SALU_CYCLE_1)
	s_lshl_b64 s[10:11], s[2:3], 16
	s_waitcnt lgkmcnt(0)
	s_add_u32 s12, s8, s10
	s_addc_u32 s13, s9, s11
	s_add_u32 s2, s4, s10
	s_add_u32 s3, s6, s10
	s_addc_u32 s15, s7, s11
	s_or_b32 s2, s3, s2
	s_delay_alu instid0(SALU_CYCLE_1) | instskip(NEXT) | instid1(SALU_CYCLE_1)
	s_and_b32 s2, s2, 3
	s_cmp_lg_u32 s2, 0
	s_cselect_b32 s2, -1, 0
	s_sub_u32 s4, s16, s10
	s_subb_u32 s5, s17, s11
	s_or_b64 s[16:17], s[16:17], s[12:13]
	s_mov_b32 s17, 0
	s_and_b32 s16, s16, 3
	s_delay_alu instid0(SALU_CYCLE_1) | instskip(SKIP_1) | instid1(SALU_CYCLE_1)
	s_cmp_lg_u64 s[16:17], 0
	s_cselect_b32 s16, -1, 0
	s_or_b32 s2, s2, s16
	s_delay_alu instid0(SALU_CYCLE_1)
	s_and_not1_b32 vcc_lo, exec_lo, s2
	s_mov_b32 s2, -1
	s_cbranch_vccz .LBB78_5
; %bb.1:
	v_lshlrev_b32_e32 v1, 2, v0
	s_mov_b32 s16, exec_lo
	s_delay_alu instid0(VALU_DEP_1)
	v_cmpx_gt_i64_e64 s[4:5], v[1:2]
	s_cbranch_execz .LBB78_4
; %bb.2:
	s_load_b32 s2, s[0:1], 0xc5c
	s_waitcnt vmcnt(0)
	v_bfe_i32 v4, v3, 0, 8
	s_lshr_b32 s19, s14, 16
	s_delay_alu instid0(VALU_DEP_1) | instskip(SKIP_2) | instid1(SALU_CYCLE_1)
	v_cvt_f32_i32_e32 v5, v4
	s_waitcnt lgkmcnt(0)
	s_and_b32 s2, s2, 0xffff
	s_lshl_b32 s18, s2, 2
.LBB78_3:                               ; =>This Inner Loop Header: Depth=1
	v_add_co_u32 v6, vcc_lo, s3, v1
	v_add_co_ci_u32_e32 v7, vcc_lo, s15, v2, vcc_lo
	v_add_co_u32 v8, vcc_lo, s12, v1
	v_add_co_ci_u32_e32 v9, vcc_lo, s13, v2, vcc_lo
	v_add_co_u32 v1, vcc_lo, s18, v1
	global_load_b32 v6, v[6:7], off
	global_load_b32 v7, v[8:9], off
	v_add_co_ci_u32_e32 v2, vcc_lo, 0, v2, vcc_lo
	s_delay_alu instid0(VALU_DEP_1)
	v_cmp_le_i64_e32 vcc_lo, s[4:5], v[1:2]
	s_waitcnt vmcnt(1)
	v_bfe_i32 v14, v6, 16, 8
	v_bfe_i32 v12, v6, 8, 8
	;; [unrolled: 1-line block ×3, first 2 shown]
	v_ashrrev_i32_e32 v6, 24, v6
	s_waitcnt vmcnt(0)
	v_lshrrev_b32_e32 v11, 8, v7
	v_xor_b32_e32 v18, v4, v14
	v_cvt_f32_i32_e32 v14, v14
	v_xor_b32_e32 v17, v4, v12
	v_cvt_f32_i32_e32 v12, v12
	;; [unrolled: 2-line block ×3, first 2 shown]
	v_rcp_iflag_f32_e32 v22, v14
	v_ashrrev_i32_e32 v17, 30, v17
	v_rcp_iflag_f32_e32 v21, v12
	v_xor_b32_e32 v19, v4, v6
	v_rcp_iflag_f32_e32 v20, v10
	v_cvt_f32_i32_e32 v6, v6
	v_ashrrev_i32_e32 v18, 30, v18
	v_or_b32_e32 v17, 1, v17
	v_ashrrev_i32_e32 v16, 30, v16
	v_ashrrev_i32_e32 v19, 30, v19
	v_mul_f32_e32 v22, v5, v22
	v_rcp_iflag_f32_e32 v23, v6
	v_or_b32_e32 v18, 1, v18
	v_or_b32_e32 v16, 1, v16
	v_mul_f32_e32 v20, v5, v20
	v_trunc_f32_e32 v22, v22
	v_or_b32_e32 v19, 1, v19
	v_lshrrev_b32_e32 v13, 16, v7
	v_lshrrev_b32_e32 v15, 24, v7
	v_trunc_f32_e32 v20, v20
	v_fma_f32 v26, -v22, v14, v5
	v_cvt_i32_f32_e32 v22, v22
	v_mul_f32_e32 v21, v5, v21
	s_delay_alu instid0(VALU_DEP_4) | instskip(SKIP_1) | instid1(VALU_DEP_3)
	v_fma_f32 v24, -v20, v10, v5
	v_cvt_i32_f32_e32 v20, v20
	v_trunc_f32_e32 v21, v21
	s_delay_alu instid0(VALU_DEP_1) | instskip(SKIP_1) | instid1(VALU_DEP_2)
	v_fma_f32 v25, -v21, v12, v5
	v_cvt_i32_f32_e32 v21, v21
	v_cmp_ge_f32_e64 s2, |v25|, |v12|
	s_delay_alu instid0(VALU_DEP_1) | instskip(SKIP_1) | instid1(VALU_DEP_2)
	v_cndmask_b32_e64 v12, 0, v17, s2
	v_cmp_ge_f32_e64 s2, |v26|, |v14|
	v_add_nc_u32_e32 v12, v21, v12
	s_delay_alu instid0(VALU_DEP_2) | instskip(SKIP_1) | instid1(VALU_DEP_3)
	v_cndmask_b32_e64 v14, 0, v18, s2
	v_cmp_ge_f32_e64 s2, |v24|, |v10|
	v_mad_u16 v11, v12, s19, v11
	s_delay_alu instid0(VALU_DEP_3) | instskip(NEXT) | instid1(VALU_DEP_3)
	v_add_nc_u32_e32 v14, v22, v14
	v_cndmask_b32_e64 v10, 0, v16, s2
	v_mul_f32_e32 v23, v5, v23
	s_delay_alu instid0(VALU_DEP_3) | instskip(NEXT) | instid1(VALU_DEP_3)
	v_mad_u16 v12, v14, s19, v13
	v_add_nc_u32_e32 v10, v20, v10
	s_delay_alu instid0(VALU_DEP_3) | instskip(NEXT) | instid1(VALU_DEP_2)
	v_trunc_f32_e32 v23, v23
	v_mad_u16 v7, v10, s19, v7
	s_delay_alu instid0(VALU_DEP_2) | instskip(SKIP_3) | instid1(VALU_DEP_4)
	v_fma_f32 v27, -v23, v6, v5
	v_cvt_i32_f32_e32 v23, v23
	v_and_b32_e32 v10, 0xff, v11
	v_and_b32_e32 v11, 0xff, v12
	v_cmp_ge_f32_e64 s2, |v27|, |v6|
	s_delay_alu instid0(VALU_DEP_3) | instskip(NEXT) | instid1(VALU_DEP_3)
	v_perm_b32 v7, v10, v7, 0x6050400
	v_lshlrev_b32_e32 v10, 16, v11
	s_delay_alu instid0(VALU_DEP_3) | instskip(SKIP_1) | instid1(VALU_DEP_2)
	v_cndmask_b32_e64 v6, 0, v19, s2
	v_cmp_lt_u64_e64 s2, 0xffff, v[1:2]
	v_add_nc_u32_e32 v6, v23, v6
	s_delay_alu instid0(VALU_DEP_2) | instskip(NEXT) | instid1(SALU_CYCLE_1)
	s_or_b32 s2, vcc_lo, s2
	s_and_b32 s2, exec_lo, s2
	s_delay_alu instid0(VALU_DEP_1) | instskip(SKIP_1) | instid1(VALU_DEP_1)
	v_mad_u16 v6, v6, s19, v15
	s_or_b32 s17, s2, s17
	v_lshlrev_b32_e32 v6, 24, v6
	s_delay_alu instid0(VALU_DEP_1)
	v_or3_b32 v6, v7, v10, v6
	global_store_b32 v[8:9], v6, off
	s_and_not1_b32 exec_lo, exec_lo, s17
	s_cbranch_execnz .LBB78_3
.LBB78_4:
	s_or_b32 exec_lo, exec_lo, s16
	s_mov_b32 s2, 0
.LBB78_5:
	s_delay_alu instid0(SALU_CYCLE_1)
	s_and_not1_b32 vcc_lo, exec_lo, s2
	s_cbranch_vccnz .LBB78_25
; %bb.6:
	v_cmp_lt_i64_e64 s2, s[4:5], 1
	s_delay_alu instid0(VALU_DEP_1)
	s_and_b32 vcc_lo, exec_lo, s2
	s_cbranch_vccnz .LBB78_25
; %bb.7:
	s_load_b32 s0, s[0:1], 0xc5c
	v_cmp_gt_u64_e64 s1, 0x10000, s[4:5]
	v_add_co_u32 v1, s2, s10, v0
	s_delay_alu instid0(VALU_DEP_1) | instskip(SKIP_2) | instid1(VALU_DEP_3)
	v_add_co_ci_u32_e64 v2, null, s11, 0, s2
	s_waitcnt vmcnt(0)
	v_bfe_i32 v9, v3, 0, 8
	v_add_co_u32 v11, vcc_lo, s8, v1
	s_delay_alu instid0(VALU_DEP_3)
	v_add_co_ci_u32_e32 v12, vcc_lo, s9, v2, vcc_lo
	v_add_co_u32 v13, vcc_lo, s6, v1
	v_add_co_ci_u32_e32 v14, vcc_lo, s7, v2, vcc_lo
	v_cvt_f32_i32_e32 v10, v9
	s_waitcnt lgkmcnt(0)
	s_and_b32 s0, s0, 0xffff
	s_and_b32 s1, s1, exec_lo
	s_mul_i32 s13, s0, 3
	s_cselect_b32 s3, s5, 0
	s_cselect_b32 s2, s4, 0x10000
	s_lshl_b32 s12, s0, 1
	s_lshl_b32 s1, s0, 2
	s_add_u32 s15, s10, s13
	s_addc_u32 s16, s11, 0
	v_add_co_u32 v3, s15, s15, v0
	s_delay_alu instid0(VALU_DEP_1) | instskip(SKIP_1) | instid1(VALU_DEP_2)
	v_add_co_ci_u32_e64 v4, null, s16, 0, s15
	s_add_u32 s10, s10, s12
	v_add_co_u32 v15, vcc_lo, s8, v3
	s_delay_alu instid0(VALU_DEP_2)
	v_add_co_ci_u32_e32 v16, vcc_lo, s9, v4, vcc_lo
	v_add_co_u32 v17, vcc_lo, s6, v3
	s_addc_u32 s11, s11, 0
	v_add_co_u32 v3, s10, s10, v0
	v_add_co_ci_u32_e32 v18, vcc_lo, s7, v4, vcc_lo
	v_add_co_ci_u32_e64 v4, null, s11, 0, s10
	s_delay_alu instid0(VALU_DEP_3) | instskip(SKIP_1) | instid1(VALU_DEP_3)
	v_add_co_u32 v21, vcc_lo, s8, v3
	v_add_co_u32 v19, s10, s13, v0
	v_add_co_ci_u32_e32 v22, vcc_lo, s9, v4, vcc_lo
	v_add_co_u32 v23, vcc_lo, s6, v3
	v_add_co_ci_u32_e32 v24, vcc_lo, s7, v4, vcc_lo
	v_add_co_u32 v1, vcc_lo, v1, s0
	v_add_co_ci_u32_e32 v2, vcc_lo, 0, v2, vcc_lo
	v_add_co_ci_u32_e64 v20, null, 0, 0, s10
	s_delay_alu instid0(VALU_DEP_3) | instskip(NEXT) | instid1(VALU_DEP_3)
	v_add_co_u32 v27, vcc_lo, s8, v1
	v_add_co_ci_u32_e32 v28, vcc_lo, s9, v2, vcc_lo
	v_add_co_u32 v25, s10, s12, v0
	v_add_co_u32 v29, vcc_lo, s6, v1
	v_add_co_u32 v31, s0, v0, s0
	v_add_co_ci_u32_e64 v26, null, 0, 0, s10
	v_add_co_ci_u32_e32 v30, vcc_lo, s7, v2, vcc_lo
	v_add_co_ci_u32_e64 v32, null, 0, 0, s0
	s_mov_b64 s[6:7], 0
	s_lshr_b32 s8, s14, 16
	s_branch .LBB78_9
.LBB78_8:                               ;   in Loop: Header=BB78_9 Depth=1
	s_or_b32 exec_lo, exec_lo, s0
	s_add_u32 s6, s6, s1
	s_addc_u32 s7, s7, 0
	s_delay_alu instid0(SALU_CYCLE_1) | instskip(SKIP_1) | instid1(VALU_DEP_1)
	v_cmp_ge_i64_e64 s0, s[6:7], s[4:5]
	v_cmp_lt_u64_e64 s9, 0xffff, s[6:7]
	s_or_b32 s0, s0, s9
	s_delay_alu instid0(SALU_CYCLE_1)
	s_and_b32 vcc_lo, exec_lo, s0
	s_cbranch_vccnz .LBB78_25
.LBB78_9:                               ; =>This Inner Loop Header: Depth=1
	v_add_co_u32 v1, s0, v0, s6
	s_delay_alu instid0(VALU_DEP_1) | instskip(SKIP_2) | instid1(VALU_DEP_2)
	v_add_co_ci_u32_e64 v2, null, 0, s7, s0
	s_waitcnt vmcnt(0)
	v_dual_mov_b32 v34, 0 :: v_dual_mov_b32 v33, 0
	v_cmp_gt_i64_e32 vcc_lo, s[4:5], v[1:2]
	v_cmp_gt_u64_e64 s0, 0x10000, v[1:2]
	s_delay_alu instid0(VALU_DEP_1) | instskip(NEXT) | instid1(SALU_CYCLE_1)
	s_and_b32 s9, vcc_lo, s0
	s_and_saveexec_b32 s0, s9
	s_cbranch_execz .LBB78_11
; %bb.10:                               ;   in Loop: Header=BB78_9 Depth=1
	v_add_co_u32 v3, vcc_lo, v11, s6
	v_add_co_ci_u32_e32 v4, vcc_lo, s7, v12, vcc_lo
	v_add_co_u32 v5, vcc_lo, v13, s6
	v_add_co_ci_u32_e32 v6, vcc_lo, s7, v14, vcc_lo
	global_load_u8 v33, v[3:4], off
	global_load_u8 v34, v[5:6], off
.LBB78_11:                              ;   in Loop: Header=BB78_9 Depth=1
	s_or_b32 exec_lo, exec_lo, s0
	v_add_co_u32 v3, vcc_lo, v31, s6
	v_add_co_ci_u32_e32 v4, vcc_lo, s7, v32, vcc_lo
	s_delay_alu instid0(VALU_DEP_1) | instskip(SKIP_1) | instid1(VALU_DEP_1)
	v_cmp_gt_i64_e32 vcc_lo, s[4:5], v[3:4]
	v_cmp_gt_u64_e64 s0, 0x10000, v[3:4]
	s_and_b32 s9, vcc_lo, s0
	s_delay_alu instid0(SALU_CYCLE_1)
	s_and_saveexec_b32 s0, s9
	s_cbranch_execz .LBB78_13
; %bb.12:                               ;   in Loop: Header=BB78_9 Depth=1
	v_add_co_u32 v5, vcc_lo, v27, s6
	v_add_co_ci_u32_e32 v6, vcc_lo, s7, v28, vcc_lo
	v_add_co_u32 v7, vcc_lo, v29, s6
	v_add_co_ci_u32_e32 v8, vcc_lo, s7, v30, vcc_lo
	global_load_u8 v5, v[5:6], off
	global_load_u8 v6, v[7:8], off
	s_waitcnt vmcnt(1)
	v_lshl_or_b32 v33, v5, 8, v33
	s_waitcnt vmcnt(0)
	v_lshl_or_b32 v34, v6, 8, v34
.LBB78_13:                              ;   in Loop: Header=BB78_9 Depth=1
	s_or_b32 exec_lo, exec_lo, s0
	v_add_co_u32 v5, vcc_lo, v25, s6
	v_add_co_ci_u32_e32 v6, vcc_lo, s7, v26, vcc_lo
	s_delay_alu instid0(VALU_DEP_1) | instskip(SKIP_1) | instid1(VALU_DEP_1)
	v_cmp_gt_i64_e32 vcc_lo, s[4:5], v[5:6]
	v_cmp_gt_u64_e64 s0, 0x10000, v[5:6]
	s_and_b32 s9, vcc_lo, s0
	s_delay_alu instid0(SALU_CYCLE_1)
	s_and_saveexec_b32 s0, s9
	s_cbranch_execz .LBB78_15
; %bb.14:                               ;   in Loop: Header=BB78_9 Depth=1
	v_add_co_u32 v7, vcc_lo, v21, s6
	v_add_co_ci_u32_e32 v8, vcc_lo, s7, v22, vcc_lo
	v_add_co_u32 v35, vcc_lo, v23, s6
	v_add_co_ci_u32_e32 v36, vcc_lo, s7, v24, vcc_lo
	global_load_u8 v7, v[7:8], off
	global_load_u8 v8, v[35:36], off
	s_waitcnt vmcnt(1)
	v_lshl_or_b32 v33, v7, 16, v33
	s_waitcnt vmcnt(0)
	v_lshl_or_b32 v34, v8, 16, v34
.LBB78_15:                              ;   in Loop: Header=BB78_9 Depth=1
	s_or_b32 exec_lo, exec_lo, s0
	v_add_co_u32 v7, vcc_lo, v19, s6
	v_add_co_ci_u32_e32 v8, vcc_lo, s7, v20, vcc_lo
	s_delay_alu instid0(VALU_DEP_1) | instskip(SKIP_1) | instid1(VALU_DEP_1)
	v_cmp_gt_i64_e32 vcc_lo, s[4:5], v[7:8]
	v_cmp_gt_u64_e64 s0, 0x10000, v[7:8]
	s_and_b32 s9, vcc_lo, s0
	s_delay_alu instid0(SALU_CYCLE_1)
	s_and_saveexec_b32 s0, s9
	s_cbranch_execnz .LBB78_20
; %bb.16:                               ;   in Loop: Header=BB78_9 Depth=1
	s_or_b32 exec_lo, exec_lo, s0
	s_delay_alu instid0(SALU_CYCLE_1)
	s_mov_b32 s0, exec_lo
	v_cmpx_gt_u64_e64 s[2:3], v[1:2]
	s_cbranch_execnz .LBB78_21
.LBB78_17:                              ;   in Loop: Header=BB78_9 Depth=1
	s_or_b32 exec_lo, exec_lo, s0
	s_delay_alu instid0(SALU_CYCLE_1)
	s_mov_b32 s0, exec_lo
	v_cmpx_gt_u64_e64 s[2:3], v[3:4]
	s_cbranch_execnz .LBB78_22
.LBB78_18:                              ;   in Loop: Header=BB78_9 Depth=1
	s_or_b32 exec_lo, exec_lo, s0
	s_delay_alu instid0(SALU_CYCLE_1)
	s_mov_b32 s0, exec_lo
	v_cmpx_gt_u64_e64 s[2:3], v[5:6]
	s_cbranch_execnz .LBB78_23
.LBB78_19:                              ;   in Loop: Header=BB78_9 Depth=1
	s_or_b32 exec_lo, exec_lo, s0
	s_delay_alu instid0(SALU_CYCLE_1)
	s_mov_b32 s0, exec_lo
	v_cmpx_gt_u64_e64 s[2:3], v[7:8]
	s_cbranch_execz .LBB78_8
	s_branch .LBB78_24
.LBB78_20:                              ;   in Loop: Header=BB78_9 Depth=1
	v_add_co_u32 v35, vcc_lo, v15, s6
	v_add_co_ci_u32_e32 v36, vcc_lo, s7, v16, vcc_lo
	v_add_co_u32 v37, vcc_lo, v17, s6
	v_add_co_ci_u32_e32 v38, vcc_lo, s7, v18, vcc_lo
	global_load_u8 v35, v[35:36], off
	global_load_u8 v36, v[37:38], off
	s_waitcnt vmcnt(1)
	v_lshl_or_b32 v33, v35, 24, v33
	s_waitcnt vmcnt(0)
	v_lshl_or_b32 v34, v36, 24, v34
	s_or_b32 exec_lo, exec_lo, s0
	s_delay_alu instid0(SALU_CYCLE_1)
	s_mov_b32 s0, exec_lo
	v_cmpx_gt_u64_e64 s[2:3], v[1:2]
	s_cbranch_execz .LBB78_17
.LBB78_21:                              ;   in Loop: Header=BB78_9 Depth=1
	s_waitcnt vmcnt(0)
	v_bfe_i32 v1, v34, 0, 8
	s_delay_alu instid0(VALU_DEP_1) | instskip(SKIP_1) | instid1(VALU_DEP_2)
	v_cvt_f32_i32_e32 v2, v1
	v_xor_b32_e32 v1, v9, v1
	v_rcp_iflag_f32_e32 v35, v2
	s_delay_alu instid0(VALU_DEP_1) | instskip(NEXT) | instid1(VALU_DEP_1)
	v_ashrrev_i32_e32 v1, 30, v1
	v_or_b32_e32 v1, 1, v1
	s_waitcnt_depctr 0xfff
	v_mul_f32_e32 v35, v10, v35
	s_delay_alu instid0(VALU_DEP_1) | instskip(NEXT) | instid1(VALU_DEP_1)
	v_trunc_f32_e32 v35, v35
	v_fma_f32 v36, -v35, v2, v10
	v_cvt_i32_f32_e32 v35, v35
	s_delay_alu instid0(VALU_DEP_2) | instskip(SKIP_1) | instid1(VALU_DEP_1)
	v_cmp_ge_f32_e64 vcc_lo, |v36|, |v2|
	v_cndmask_b32_e32 v1, 0, v1, vcc_lo
	v_add_nc_u32_e32 v1, v35, v1
	s_delay_alu instid0(VALU_DEP_1) | instskip(SKIP_4) | instid1(SALU_CYCLE_1)
	v_mad_u16 v35, v1, s8, v33
	v_add_co_u32 v1, vcc_lo, v11, s6
	v_add_co_ci_u32_e32 v2, vcc_lo, s7, v12, vcc_lo
	global_store_b8 v[1:2], v35, off
	s_or_b32 exec_lo, exec_lo, s0
	s_mov_b32 s0, exec_lo
	v_cmpx_gt_u64_e64 s[2:3], v[3:4]
	s_cbranch_execz .LBB78_18
.LBB78_22:                              ;   in Loop: Header=BB78_9 Depth=1
	s_waitcnt vmcnt(0)
	v_bfe_i32 v1, v34, 8, 8
	s_delay_alu instid0(VALU_DEP_1) | instskip(SKIP_1) | instid1(VALU_DEP_2)
	v_cvt_f32_i32_e32 v2, v1
	v_xor_b32_e32 v1, v9, v1
	v_rcp_iflag_f32_e32 v3, v2
	s_delay_alu instid0(VALU_DEP_1) | instskip(NEXT) | instid1(VALU_DEP_1)
	v_ashrrev_i32_e32 v1, 30, v1
	v_or_b32_e32 v1, 1, v1
	s_waitcnt_depctr 0xfff
	v_mul_f32_e32 v3, v10, v3
	s_delay_alu instid0(VALU_DEP_1) | instskip(NEXT) | instid1(VALU_DEP_1)
	v_trunc_f32_e32 v3, v3
	v_fma_f32 v4, -v3, v2, v10
	v_cvt_i32_f32_e32 v3, v3
	s_delay_alu instid0(VALU_DEP_2) | instskip(SKIP_2) | instid1(VALU_DEP_1)
	v_cmp_ge_f32_e64 vcc_lo, |v4|, |v2|
	v_lshrrev_b32_e32 v2, 8, v33
	v_cndmask_b32_e32 v1, 0, v1, vcc_lo
	v_add_nc_u32_e32 v1, v3, v1
	s_delay_alu instid0(VALU_DEP_1) | instskip(SKIP_4) | instid1(SALU_CYCLE_1)
	v_mad_u16 v3, v1, s8, v2
	v_add_co_u32 v1, vcc_lo, v27, s6
	v_add_co_ci_u32_e32 v2, vcc_lo, s7, v28, vcc_lo
	global_store_b8 v[1:2], v3, off
	s_or_b32 exec_lo, exec_lo, s0
	s_mov_b32 s0, exec_lo
	v_cmpx_gt_u64_e64 s[2:3], v[5:6]
	s_cbranch_execz .LBB78_19
.LBB78_23:                              ;   in Loop: Header=BB78_9 Depth=1
	s_waitcnt vmcnt(0)
	v_bfe_i32 v1, v34, 16, 8
	s_delay_alu instid0(VALU_DEP_1) | instskip(SKIP_1) | instid1(VALU_DEP_2)
	v_cvt_f32_i32_e32 v2, v1
	v_xor_b32_e32 v1, v9, v1
	v_rcp_iflag_f32_e32 v3, v2
	s_delay_alu instid0(VALU_DEP_1) | instskip(NEXT) | instid1(VALU_DEP_1)
	v_ashrrev_i32_e32 v1, 30, v1
	v_or_b32_e32 v1, 1, v1
	s_waitcnt_depctr 0xfff
	v_mul_f32_e32 v3, v10, v3
	s_delay_alu instid0(VALU_DEP_1) | instskip(NEXT) | instid1(VALU_DEP_1)
	v_trunc_f32_e32 v3, v3
	v_fma_f32 v4, -v3, v2, v10
	v_cvt_i32_f32_e32 v3, v3
	s_delay_alu instid0(VALU_DEP_2) | instskip(SKIP_2) | instid1(VALU_DEP_1)
	v_cmp_ge_f32_e64 vcc_lo, |v4|, |v2|
	v_lshrrev_b32_e32 v2, 16, v33
	v_cndmask_b32_e32 v1, 0, v1, vcc_lo
	v_add_nc_u32_e32 v1, v3, v1
	s_delay_alu instid0(VALU_DEP_1) | instskip(SKIP_4) | instid1(SALU_CYCLE_1)
	v_mad_u16 v3, v1, s8, v2
	v_add_co_u32 v1, vcc_lo, v21, s6
	v_add_co_ci_u32_e32 v2, vcc_lo, s7, v22, vcc_lo
	global_store_b8 v[1:2], v3, off
	s_or_b32 exec_lo, exec_lo, s0
	s_mov_b32 s0, exec_lo
	v_cmpx_gt_u64_e64 s[2:3], v[7:8]
	s_cbranch_execz .LBB78_8
.LBB78_24:                              ;   in Loop: Header=BB78_9 Depth=1
	s_waitcnt vmcnt(0)
	v_ashrrev_i32_e32 v1, 24, v34
	s_delay_alu instid0(VALU_DEP_1) | instskip(SKIP_1) | instid1(VALU_DEP_2)
	v_cvt_f32_i32_e32 v2, v1
	v_xor_b32_e32 v1, v9, v1
	v_rcp_iflag_f32_e32 v3, v2
	s_delay_alu instid0(VALU_DEP_1) | instskip(NEXT) | instid1(VALU_DEP_1)
	v_ashrrev_i32_e32 v1, 30, v1
	v_or_b32_e32 v1, 1, v1
	s_waitcnt_depctr 0xfff
	v_mul_f32_e32 v3, v10, v3
	s_delay_alu instid0(VALU_DEP_1) | instskip(NEXT) | instid1(VALU_DEP_1)
	v_trunc_f32_e32 v3, v3
	v_fma_f32 v4, -v3, v2, v10
	v_cvt_i32_f32_e32 v3, v3
	s_delay_alu instid0(VALU_DEP_2) | instskip(SKIP_2) | instid1(VALU_DEP_1)
	v_cmp_ge_f32_e64 vcc_lo, |v4|, |v2|
	v_lshrrev_b32_e32 v2, 24, v33
	v_cndmask_b32_e32 v1, 0, v1, vcc_lo
	v_add_nc_u32_e32 v1, v3, v1
	s_delay_alu instid0(VALU_DEP_1)
	v_mad_u16 v3, v1, s8, v2
	v_add_co_u32 v1, vcc_lo, v15, s6
	v_add_co_ci_u32_e32 v2, vcc_lo, s7, v16, vcc_lo
	global_store_b8 v[1:2], v3, off
	s_branch .LBB78_8
.LBB78_25:
	s_nop 0
	s_sendmsg sendmsg(MSG_DEALLOC_VGPRS)
	s_endpgm
	.section	.rodata,"a",@progbits
	.p2align	6, 0x0
	.amdhsa_kernel _ZN2at6native12_GLOBAL__N_125multi_tensor_apply_kernelINS1_18TensorListMetadataILi3EEENS1_32PointwiseOpScalar0dTensorFunctorIaLi3ELi2ELi0EEEJSt7dividesIaEaEEEvT_T0_DpT1_
		.amdhsa_group_segment_fixed_size 0
		.amdhsa_private_segment_fixed_size 0
		.amdhsa_kernarg_size 3408
		.amdhsa_user_sgpr_count 15
		.amdhsa_user_sgpr_dispatch_ptr 0
		.amdhsa_user_sgpr_queue_ptr 0
		.amdhsa_user_sgpr_kernarg_segment_ptr 1
		.amdhsa_user_sgpr_dispatch_id 0
		.amdhsa_user_sgpr_private_segment_size 0
		.amdhsa_wavefront_size32 1
		.amdhsa_uses_dynamic_stack 0
		.amdhsa_enable_private_segment 0
		.amdhsa_system_sgpr_workgroup_id_x 1
		.amdhsa_system_sgpr_workgroup_id_y 0
		.amdhsa_system_sgpr_workgroup_id_z 0
		.amdhsa_system_sgpr_workgroup_info 0
		.amdhsa_system_vgpr_workitem_id 0
		.amdhsa_next_free_vgpr 39
		.amdhsa_next_free_sgpr 20
		.amdhsa_reserve_vcc 1
		.amdhsa_float_round_mode_32 0
		.amdhsa_float_round_mode_16_64 0
		.amdhsa_float_denorm_mode_32 3
		.amdhsa_float_denorm_mode_16_64 3
		.amdhsa_dx10_clamp 1
		.amdhsa_ieee_mode 1
		.amdhsa_fp16_overflow 0
		.amdhsa_workgroup_processor_mode 1
		.amdhsa_memory_ordered 1
		.amdhsa_forward_progress 0
		.amdhsa_shared_vgpr_count 0
		.amdhsa_exception_fp_ieee_invalid_op 0
		.amdhsa_exception_fp_denorm_src 0
		.amdhsa_exception_fp_ieee_div_zero 0
		.amdhsa_exception_fp_ieee_overflow 0
		.amdhsa_exception_fp_ieee_underflow 0
		.amdhsa_exception_fp_ieee_inexact 0
		.amdhsa_exception_int_div_zero 0
	.end_amdhsa_kernel
	.section	.text._ZN2at6native12_GLOBAL__N_125multi_tensor_apply_kernelINS1_18TensorListMetadataILi3EEENS1_32PointwiseOpScalar0dTensorFunctorIaLi3ELi2ELi0EEEJSt7dividesIaEaEEEvT_T0_DpT1_,"axG",@progbits,_ZN2at6native12_GLOBAL__N_125multi_tensor_apply_kernelINS1_18TensorListMetadataILi3EEENS1_32PointwiseOpScalar0dTensorFunctorIaLi3ELi2ELi0EEEJSt7dividesIaEaEEEvT_T0_DpT1_,comdat
.Lfunc_end78:
	.size	_ZN2at6native12_GLOBAL__N_125multi_tensor_apply_kernelINS1_18TensorListMetadataILi3EEENS1_32PointwiseOpScalar0dTensorFunctorIaLi3ELi2ELi0EEEJSt7dividesIaEaEEEvT_T0_DpT1_, .Lfunc_end78-_ZN2at6native12_GLOBAL__N_125multi_tensor_apply_kernelINS1_18TensorListMetadataILi3EEENS1_32PointwiseOpScalar0dTensorFunctorIaLi3ELi2ELi0EEEJSt7dividesIaEaEEEvT_T0_DpT1_
                                        ; -- End function
	.section	.AMDGPU.csdata,"",@progbits
; Kernel info:
; codeLenInByte = 2384
; NumSgprs: 22
; NumVgprs: 39
; ScratchSize: 0
; MemoryBound: 0
; FloatMode: 240
; IeeeMode: 1
; LDSByteSize: 0 bytes/workgroup (compile time only)
; SGPRBlocks: 2
; VGPRBlocks: 4
; NumSGPRsForWavesPerEU: 22
; NumVGPRsForWavesPerEU: 39
; Occupancy: 16
; WaveLimiterHint : 0
; COMPUTE_PGM_RSRC2:SCRATCH_EN: 0
; COMPUTE_PGM_RSRC2:USER_SGPR: 15
; COMPUTE_PGM_RSRC2:TRAP_HANDLER: 0
; COMPUTE_PGM_RSRC2:TGID_X_EN: 1
; COMPUTE_PGM_RSRC2:TGID_Y_EN: 0
; COMPUTE_PGM_RSRC2:TGID_Z_EN: 0
; COMPUTE_PGM_RSRC2:TIDIG_COMP_CNT: 0
	.section	.text._ZN2at6native12_GLOBAL__N_125multi_tensor_apply_kernelINS1_18TensorListMetadataILi3EEENS1_32PointwiseOpScalar0dTensorFunctorIiLi3ELi2ELi0EEEJSt7dividesIiEiEEEvT_T0_DpT1_,"axG",@progbits,_ZN2at6native12_GLOBAL__N_125multi_tensor_apply_kernelINS1_18TensorListMetadataILi3EEENS1_32PointwiseOpScalar0dTensorFunctorIiLi3ELi2ELi0EEEJSt7dividesIiEiEEEvT_T0_DpT1_,comdat
	.globl	_ZN2at6native12_GLOBAL__N_125multi_tensor_apply_kernelINS1_18TensorListMetadataILi3EEENS1_32PointwiseOpScalar0dTensorFunctorIiLi3ELi2ELi0EEEJSt7dividesIiEiEEEvT_T0_DpT1_ ; -- Begin function _ZN2at6native12_GLOBAL__N_125multi_tensor_apply_kernelINS1_18TensorListMetadataILi3EEENS1_32PointwiseOpScalar0dTensorFunctorIiLi3ELi2ELi0EEEJSt7dividesIiEiEEEvT_T0_DpT1_
	.p2align	8
	.type	_ZN2at6native12_GLOBAL__N_125multi_tensor_apply_kernelINS1_18TensorListMetadataILi3EEENS1_32PointwiseOpScalar0dTensorFunctorIiLi3ELi2ELi0EEEJSt7dividesIiEiEEEvT_T0_DpT1_,@function
_ZN2at6native12_GLOBAL__N_125multi_tensor_apply_kernelINS1_18TensorListMetadataILi3EEENS1_32PointwiseOpScalar0dTensorFunctorIiLi3ELi2ELi0EEEJSt7dividesIiEiEEEvT_T0_DpT1_: ; @_ZN2at6native12_GLOBAL__N_125multi_tensor_apply_kernelINS1_18TensorListMetadataILi3EEENS1_32PointwiseOpScalar0dTensorFunctorIiLi3ELi2ELi0EEEJSt7dividesIiEiEEEvT_T0_DpT1_
; %bb.0:
	v_mov_b32_e32 v1, s15
	s_add_u32 s2, s0, s15
	s_mul_hi_u32 s3, s15, 3
	s_mul_i32 s15, s15, 3
	s_addc_u32 s4, s1, 0
	global_load_u8 v1, v1, s[0:1] offset:1536
	s_load_b32 s14, s[0:1], 0xc4c
	s_add_u32 s2, s2, s15
	s_addc_u32 s3, s4, s3
	s_mov_b32 s23, 0
	s_load_b32 s2, s[2:3], 0x740
	s_mov_b32 s25, s23
	s_waitcnt vmcnt(0)
	v_readfirstlane_b32 s3, v1
	s_delay_alu instid0(VALU_DEP_1)
	s_lshl_b32 s3, s3, 3
	s_clause 0x3
	s_load_b64 s[10:11], s[0:1], s3 offset:0x0
	s_load_b64 s[18:19], s[0:1], s3 offset:0x180
	;; [unrolled: 1-line block ×4, first 2 shown]
	s_waitcnt lgkmcnt(0)
	s_ashr_i32 s3, s2, 31
	s_delay_alu instid0(SALU_CYCLE_1) | instskip(NEXT) | instid1(SALU_CYCLE_1)
	s_lshl_b64 s[6:7], s[2:3], 18
	s_add_u32 s5, s10, s6
	s_addc_u32 s15, s11, s7
	s_add_u32 s4, s18, s6
	s_and_b32 s22, s5, 15
	s_add_u32 s16, s12, s6
	s_addc_u32 s17, s13, s7
	s_or_b32 s4, s16, s4
	s_load_b32 s18, s[18:19], 0x0
	s_and_b32 s4, s4, 15
	s_delay_alu instid0(SALU_CYCLE_1) | instskip(SKIP_2) | instid1(SALU_CYCLE_1)
	s_cmp_lg_u32 s4, 0
	s_cselect_b32 s4, -1, 0
	s_lshl_b64 s[2:3], s[2:3], 16
	s_sub_u32 s8, s20, s2
	s_subb_u32 s9, s21, s3
	s_and_b32 s24, s20, 3
	s_delay_alu instid0(SALU_CYCLE_1) | instskip(NEXT) | instid1(SALU_CYCLE_1)
	s_or_b64 s[2:3], s[22:23], s[24:25]
	s_cmp_lg_u64 s[2:3], 0
	s_cselect_b32 s2, -1, 0
	s_delay_alu instid0(SALU_CYCLE_1) | instskip(NEXT) | instid1(SALU_CYCLE_1)
	s_or_b32 s2, s4, s2
	s_and_not1_b32 vcc_lo, exec_lo, s2
	s_mov_b32 s2, -1
	s_cbranch_vccz .LBB79_5
; %bb.1:
	v_dual_mov_b32 v2, 0 :: v_dual_lshlrev_b32 v1, 2, v0
	s_mov_b32 s19, exec_lo
	s_delay_alu instid0(VALU_DEP_1)
	v_cmpx_gt_i64_e64 s[8:9], v[1:2]
	s_cbranch_execz .LBB79_4
; %bb.2:
	s_load_b32 s2, s[0:1], 0xc5c
	v_lshlrev_b32_e32 v3, 4, v0
	s_waitcnt lgkmcnt(0)
	s_ashr_i32 s20, s18, 31
	s_abs_i32 s21, s18
	s_mov_b32 s22, 0
	s_and_b32 s2, s2, 0xffff
	s_delay_alu instid0(SALU_CYCLE_1)
	v_add_lshl_u32 v1, v0, s2, 2
	s_lshl_b32 s23, s2, 2
	s_lshl_b32 s24, s2, 4
.LBB79_3:                               ; =>This Inner Loop Header: Depth=1
	v_add_co_u32 v4, s2, s16, v3
	s_delay_alu instid0(VALU_DEP_1) | instskip(SKIP_1) | instid1(VALU_DEP_1)
	v_add_co_ci_u32_e64 v5, null, s17, 0, s2
	v_add_co_u32 v12, s2, s5, v3
	v_add_co_ci_u32_e64 v13, null, s15, 0, s2
	global_load_b128 v[4:7], v[4:5], off
	global_load_b128 v[8:11], v[12:13], off
	v_cmp_le_i64_e32 vcc_lo, s[8:9], v[1:2]
	v_cmp_lt_u64_e64 s2, 0xffff, v[1:2]
	v_add_co_u32 v1, s3, v1, s23
	s_delay_alu instid0(VALU_DEP_1) | instskip(NEXT) | instid1(VALU_DEP_3)
	v_add_co_ci_u32_e64 v2, s3, 0, v2, s3
	s_or_b32 s25, vcc_lo, s2
	s_add_u32 s5, s5, s24
	s_addc_u32 s15, s15, 0
	s_add_u32 s16, s16, s24
	s_addc_u32 s17, s17, 0
	s_waitcnt vmcnt(1)
	v_sub_nc_u32_e32 v16, 0, v4
	v_ashrrev_i32_e32 v15, 31, v4
	v_ashrrev_i32_e32 v17, 31, v5
	;; [unrolled: 1-line block ×3, first 2 shown]
	v_sub_nc_u32_e32 v20, 0, v6
	v_max_i32_e32 v4, v4, v16
	v_sub_nc_u32_e32 v22, 0, v7
	v_xor_b32_e32 v16, s20, v17
	v_xor_b32_e32 v17, s20, v19
	v_max_i32_e32 v6, v6, v20
	v_cvt_f32_u32_e32 v19, v4
	v_sub_nc_u32_e32 v20, 0, v4
	v_ashrrev_i32_e32 v21, 31, v7
	v_max_i32_e32 v7, v7, v22
	v_sub_nc_u32_e32 v18, 0, v5
	v_rcp_iflag_f32_e32 v19, v19
	s_waitcnt vmcnt(0)
	v_mov_b32_e32 v14, v11
	v_cvt_f32_u32_e32 v23, v6
	v_cvt_f32_u32_e32 v25, v7
	v_max_i32_e32 v5, v5, v18
	v_xor_b32_e32 v18, s20, v21
	v_sub_nc_u32_e32 v26, 0, v7
	v_rcp_iflag_f32_e32 v23, v23
	v_rcp_iflag_f32_e32 v25, v25
	v_cvt_f32_u32_e32 v21, v5
	v_mul_f32_e32 v19, 0x4f7ffffe, v19
	v_sub_nc_u32_e32 v22, 0, v5
	v_sub_nc_u32_e32 v24, 0, v6
	v_xor_b32_e32 v15, s20, v15
	v_rcp_iflag_f32_e32 v21, v21
	v_cvt_u32_f32_e32 v19, v19
	s_delay_alu instid0(VALU_DEP_1) | instskip(NEXT) | instid1(VALU_DEP_1)
	v_mul_lo_u32 v20, v20, v19
	v_mul_hi_u32 v20, v19, v20
	s_delay_alu instid0(VALU_DEP_1) | instskip(NEXT) | instid1(VALU_DEP_1)
	v_add_nc_u32_e32 v19, v19, v20
	v_mul_hi_u32 v19, s21, v19
	v_mul_f32_e32 v25, 0x4f7ffffe, v25
	s_delay_alu instid0(VALU_DEP_1) | instskip(NEXT) | instid1(VALU_DEP_1)
	v_cvt_u32_f32_e32 v25, v25
	v_mul_lo_u32 v26, v26, v25
	s_delay_alu instid0(VALU_DEP_1) | instskip(SKIP_1) | instid1(VALU_DEP_1)
	v_mul_hi_u32 v26, v25, v26
	v_mul_f32_e32 v21, 0x4f7ffffe, v21
	v_cvt_u32_f32_e32 v21, v21
	s_delay_alu instid0(VALU_DEP_1) | instskip(NEXT) | instid1(VALU_DEP_1)
	v_mul_lo_u32 v22, v22, v21
	v_mul_hi_u32 v22, v21, v22
	s_delay_alu instid0(VALU_DEP_1) | instskip(NEXT) | instid1(VALU_DEP_1)
	v_dual_mul_f32 v23, 0x4f7ffffe, v23 :: v_dual_add_nc_u32 v20, v21, v22
	v_cvt_u32_f32_e32 v23, v23
	v_add_nc_u32_e32 v22, v25, v26
	s_delay_alu instid0(VALU_DEP_3) | instskip(NEXT) | instid1(VALU_DEP_3)
	v_mul_hi_u32 v20, s21, v20
	v_mul_lo_u32 v24, v24, v23
	s_delay_alu instid0(VALU_DEP_3) | instskip(NEXT) | instid1(VALU_DEP_3)
	v_mul_hi_u32 v22, s21, v22
	v_mul_lo_u32 v25, v20, v5
	;; [unrolled: 3-line block ×3, first 2 shown]
	s_delay_alu instid0(VALU_DEP_3) | instskip(NEXT) | instid1(VALU_DEP_3)
	v_sub_nc_u32_e32 v25, s21, v25
	v_add_nc_u32_e32 v21, v23, v24
	v_mul_lo_u32 v23, v19, v4
	v_add_nc_u32_e32 v24, 1, v19
	v_sub_nc_u32_e32 v27, s21, v27
	v_cmp_ge_u32_e64 s2, v25, v5
	v_mul_hi_u32 v21, s21, v21
	s_delay_alu instid0(VALU_DEP_3) | instskip(SKIP_1) | instid1(VALU_DEP_3)
	v_cmp_ge_u32_e64 s4, v27, v7
	v_sub_nc_u32_e32 v23, s21, v23
	v_mul_lo_u32 v26, v21, v6
	s_delay_alu instid0(VALU_DEP_2) | instskip(SKIP_2) | instid1(VALU_DEP_4)
	v_cmp_ge_u32_e32 vcc_lo, v23, v4
	v_dual_cndmask_b32 v19, v19, v24 :: v_dual_add_nc_u32 v30, 1, v22
	v_sub_nc_u32_e32 v24, v23, v4
	v_sub_nc_u32_e32 v26, s21, v26
	s_delay_alu instid0(VALU_DEP_3) | instskip(SKIP_1) | instid1(VALU_DEP_4)
	v_cndmask_b32_e64 v22, v22, v30, s4
	v_sub_nc_u32_e32 v30, v27, v7
	v_dual_cndmask_b32 v23, v23, v24 :: v_dual_add_nc_u32 v24, 1, v19
	s_delay_alu instid0(VALU_DEP_4) | instskip(NEXT) | instid1(VALU_DEP_3)
	v_cmp_ge_u32_e64 s3, v26, v6
	v_cndmask_b32_e64 v27, v27, v30, s4
	s_delay_alu instid0(VALU_DEP_3) | instskip(NEXT) | instid1(VALU_DEP_4)
	v_cmp_ge_u32_e32 vcc_lo, v23, v4
	v_dual_cndmask_b32 v4, v19, v24 :: v_dual_add_nc_u32 v29, 1, v21
	s_delay_alu instid0(VALU_DEP_1) | instskip(SKIP_2) | instid1(VALU_DEP_4)
	v_cndmask_b32_e64 v21, v21, v29, s3
	v_sub_nc_u32_e32 v29, v26, v6
	v_cmp_ge_u32_e32 vcc_lo, v27, v7
	v_xor_b32_e32 v4, v4, v15
	s_delay_alu instid0(VALU_DEP_3) | instskip(SKIP_1) | instid1(VALU_DEP_1)
	v_cndmask_b32_e64 v26, v26, v29, s3
	v_add_nc_u32_e32 v29, 1, v22
	v_dual_cndmask_b32 v7, v22, v29 :: v_dual_add_nc_u32 v28, 1, v20
	s_delay_alu instid0(VALU_DEP_1) | instskip(SKIP_1) | instid1(VALU_DEP_3)
	v_cndmask_b32_e64 v20, v20, v28, s2
	v_sub_nc_u32_e32 v28, v25, v5
	v_xor_b32_e32 v7, v7, v18
	s_delay_alu instid0(VALU_DEP_2) | instskip(NEXT) | instid1(VALU_DEP_4)
	v_cndmask_b32_e64 v25, v25, v28, s2
	v_add_nc_u32_e32 v28, 1, v20
	s_and_b32 s2, exec_lo, s25
	s_delay_alu instid0(VALU_DEP_3)
	v_sub_nc_u32_e32 v7, v7, v18
	v_sub_nc_u32_e32 v18, v4, v15
	v_cmp_ge_u32_e32 vcc_lo, v25, v5
	v_add_nc_u32_e32 v30, 1, v21
	s_or_b32 s22, s2, s22
	v_cndmask_b32_e32 v5, v20, v28, vcc_lo
	v_cmp_ge_u32_e32 vcc_lo, v26, v6
	s_delay_alu instid0(VALU_DEP_2) | instskip(SKIP_1) | instid1(VALU_DEP_2)
	v_xor_b32_e32 v5, v5, v16
	v_cndmask_b32_e32 v6, v21, v30, vcc_lo
	v_sub_nc_u32_e32 v19, v5, v16
	s_delay_alu instid0(VALU_DEP_2) | instskip(SKIP_2) | instid1(VALU_DEP_3)
	v_xor_b32_e32 v6, v6, v17
	v_mad_u64_u32 v[15:16], null, v7, s14, v[14:15]
	v_mad_u64_u32 v[4:5], null, v18, s14, v[8:9]
	v_sub_nc_u32_e32 v17, v6, v17
	v_mad_u64_u32 v[5:6], null, v19, s14, v[9:10]
	s_delay_alu instid0(VALU_DEP_2)
	v_mad_u64_u32 v[6:7], null, v17, s14, v[10:11]
	v_mov_b32_e32 v7, v15
	global_store_b128 v[12:13], v[4:7], off
	s_and_not1_b32 exec_lo, exec_lo, s22
	s_cbranch_execnz .LBB79_3
.LBB79_4:
	s_or_b32 exec_lo, exec_lo, s19
	s_mov_b32 s2, 0
.LBB79_5:
	s_delay_alu instid0(SALU_CYCLE_1)
	s_and_not1_b32 vcc_lo, exec_lo, s2
	s_cbranch_vccnz .LBB79_25
; %bb.6:
	v_cmp_lt_i64_e64 s2, s[8:9], 1
	s_delay_alu instid0(VALU_DEP_1)
	s_and_b32 vcc_lo, exec_lo, s2
	s_cbranch_vccnz .LBB79_25
; %bb.7:
	s_load_b32 s0, s[0:1], 0xc5c
	v_dual_mov_b32 v1, 0 :: v_dual_lshlrev_b32 v2, 2, v0
	v_cmp_gt_u64_e64 s2, 0x10000, s[8:9]
	s_mov_b32 s3, 0
	s_delay_alu instid0(VALU_DEP_2) | instskip(NEXT) | instid1(VALU_DEP_3)
	v_mov_b32_e32 v3, v1
	v_add_co_u32 v12, s1, s10, v2
	s_delay_alu instid0(VALU_DEP_1) | instskip(SKIP_1) | instid1(VALU_DEP_1)
	v_add_co_ci_u32_e64 v13, null, s11, 0, s1
	v_add_co_u32 v14, s1, s12, v2
	v_add_co_ci_u32_e64 v15, null, s13, 0, s1
	s_waitcnt lgkmcnt(0)
	s_and_b32 s1, s0, 0xffff
	s_and_b32 s0, s2, exec_lo
	v_mad_u64_u32 v[4:5], null, s1, 12, v[2:3]
	s_cselect_b32 s5, s9, 0
	s_cselect_b32 s4, s8, 0x10000
	s_lshl_b32 s0, s1, 3
	s_lshl_b32 s2, s1, 2
	v_add_co_u32 v2, s0, s0, v2
	s_delay_alu instid0(VALU_DEP_2) | instskip(NEXT) | instid1(VALU_DEP_3)
	v_add_co_u32 v16, vcc_lo, s10, v4
	v_add_co_ci_u32_e32 v17, vcc_lo, s11, v5, vcc_lo
	v_add_co_u32 v18, vcc_lo, s12, v4
	v_add_lshl_u32 v4, v0, s1, 2
	v_add_co_ci_u32_e64 v3, null, 0, 0, s0
	v_add_co_ci_u32_e32 v19, vcc_lo, s13, v5, vcc_lo
	v_add_co_u32 v20, vcc_lo, s10, v2
	s_delay_alu instid0(VALU_DEP_4) | instskip(NEXT) | instid1(VALU_DEP_4)
	v_add_co_u32 v24, s0, s10, v4
	v_add_co_ci_u32_e32 v21, vcc_lo, s11, v3, vcc_lo
	v_add_co_u32 v22, vcc_lo, s12, v2
	v_add_co_ci_u32_e64 v25, null, s11, 0, s0
	v_add_co_u32 v26, s0, s12, v4
	v_add_co_ci_u32_e32 v23, vcc_lo, s13, v3, vcc_lo
	v_add_co_ci_u32_e64 v27, null, s13, 0, s0
	s_lshl_b32 s15, s1, 1
	s_mul_i32 s16, s1, 3
	s_ashr_i32 s17, s18, 31
	s_abs_i32 s12, s18
	s_lshl_b32 s13, s1, 4
	s_mov_b64 s[10:11], s[2:3]
	s_branch .LBB79_9
.LBB79_8:                               ;   in Loop: Header=BB79_9 Depth=1
	s_or_b32 exec_lo, exec_lo, s0
	v_add_co_u32 v12, vcc_lo, v12, s13
	v_add_co_ci_u32_e32 v13, vcc_lo, 0, v13, vcc_lo
	v_add_co_u32 v14, vcc_lo, v14, s13
	v_add_co_ci_u32_e32 v15, vcc_lo, 0, v15, vcc_lo
	;; [unrolled: 2-line block ×7, first 2 shown]
	v_cmp_ge_i64_e64 s0, s[10:11], s[8:9]
	v_cmp_lt_u64_e64 s3, 0xffff, s[10:11]
	v_add_co_u32 v24, vcc_lo, v24, s13
	v_add_co_ci_u32_e32 v25, vcc_lo, 0, v25, vcc_lo
	v_add_co_u32 v26, vcc_lo, v26, s13
	v_add_co_ci_u32_e32 v27, vcc_lo, 0, v27, vcc_lo
	s_or_b32 s0, s0, s3
	s_add_u32 s10, s10, s2
	s_addc_u32 s11, s11, 0
	s_and_b32 vcc_lo, exec_lo, s0
	s_cbranch_vccnz .LBB79_25
.LBB79_9:                               ; =>This Inner Loop Header: Depth=1
	v_cmp_gt_i64_e32 vcc_lo, s[8:9], v[0:1]
	v_cmp_gt_u64_e64 s0, 0x10000, v[0:1]
	s_waitcnt vmcnt(0)
	v_mov_b32_e32 v31, 0
	v_mov_b32_e32 v9, 0
	s_delay_alu instid0(VALU_DEP_3) | instskip(NEXT) | instid1(SALU_CYCLE_1)
	s_and_b32 s3, vcc_lo, s0
	s_and_saveexec_b32 s0, s3
	s_cbranch_execz .LBB79_11
; %bb.10:                               ;   in Loop: Header=BB79_9 Depth=1
	v_add_co_u32 v2, vcc_lo, v12, s6
	v_add_co_ci_u32_e32 v3, vcc_lo, s7, v13, vcc_lo
	v_add_co_u32 v4, vcc_lo, v14, s6
	v_add_co_ci_u32_e32 v5, vcc_lo, s7, v15, vcc_lo
	global_load_b32 v9, v[2:3], off
	global_load_b32 v31, v[4:5], off
.LBB79_11:                              ;   in Loop: Header=BB79_9 Depth=1
	s_or_b32 exec_lo, exec_lo, s0
	v_add_co_u32 v10, vcc_lo, s1, v0
	v_add_co_ci_u32_e32 v11, vcc_lo, 0, v1, vcc_lo
	v_mov_b32_e32 v28, 0
	v_mov_b32_e32 v30, 0
	;; [unrolled: 1-line block ×3, first 2 shown]
	s_delay_alu instid0(VALU_DEP_4) | instskip(SKIP_1) | instid1(VALU_DEP_1)
	v_cmp_gt_i64_e32 vcc_lo, s[8:9], v[10:11]
	v_cmp_gt_u64_e64 s0, 0x10000, v[10:11]
	s_and_b32 s3, vcc_lo, s0
	s_delay_alu instid0(SALU_CYCLE_1)
	s_and_saveexec_b32 s0, s3
	s_cbranch_execz .LBB79_13
; %bb.12:                               ;   in Loop: Header=BB79_9 Depth=1
	v_add_co_u32 v2, vcc_lo, v24, s6
	v_add_co_ci_u32_e32 v3, vcc_lo, s7, v25, vcc_lo
	v_add_co_u32 v4, vcc_lo, v26, s6
	v_add_co_ci_u32_e32 v5, vcc_lo, s7, v27, vcc_lo
	global_load_b32 v6, v[2:3], off
	global_load_b32 v30, v[4:5], off
.LBB79_13:                              ;   in Loop: Header=BB79_9 Depth=1
	s_or_b32 exec_lo, exec_lo, s0
	v_add_co_u32 v7, vcc_lo, s15, v0
	v_add_co_ci_u32_e32 v8, vcc_lo, 0, v1, vcc_lo
	v_mov_b32_e32 v3, 0
	s_delay_alu instid0(VALU_DEP_2) | instskip(SKIP_1) | instid1(VALU_DEP_1)
	v_cmp_gt_i64_e32 vcc_lo, s[8:9], v[7:8]
	v_cmp_gt_u64_e64 s0, 0x10000, v[7:8]
	s_and_b32 s3, vcc_lo, s0
	s_delay_alu instid0(SALU_CYCLE_1)
	s_and_saveexec_b32 s0, s3
	s_cbranch_execz .LBB79_15
; %bb.14:                               ;   in Loop: Header=BB79_9 Depth=1
	v_add_co_u32 v2, vcc_lo, v20, s6
	v_add_co_ci_u32_e32 v3, vcc_lo, s7, v21, vcc_lo
	v_add_co_u32 v4, vcc_lo, v22, s6
	v_add_co_ci_u32_e32 v5, vcc_lo, s7, v23, vcc_lo
	global_load_b32 v3, v[2:3], off
	global_load_b32 v28, v[4:5], off
.LBB79_15:                              ;   in Loop: Header=BB79_9 Depth=1
	s_or_b32 exec_lo, exec_lo, s0
	v_add_co_u32 v4, vcc_lo, s16, v0
	v_add_co_ci_u32_e32 v5, vcc_lo, 0, v1, vcc_lo
	v_dual_mov_b32 v29, 0 :: v_dual_mov_b32 v2, 0
	s_delay_alu instid0(VALU_DEP_2) | instskip(SKIP_1) | instid1(VALU_DEP_1)
	v_cmp_gt_i64_e32 vcc_lo, s[8:9], v[4:5]
	v_cmp_gt_u64_e64 s0, 0x10000, v[4:5]
	s_and_b32 s3, vcc_lo, s0
	s_delay_alu instid0(SALU_CYCLE_1)
	s_and_saveexec_b32 s0, s3
	s_cbranch_execnz .LBB79_20
; %bb.16:                               ;   in Loop: Header=BB79_9 Depth=1
	s_or_b32 exec_lo, exec_lo, s0
	s_delay_alu instid0(SALU_CYCLE_1)
	s_mov_b32 s0, exec_lo
	v_cmpx_gt_u64_e64 s[4:5], v[0:1]
	s_cbranch_execnz .LBB79_21
.LBB79_17:                              ;   in Loop: Header=BB79_9 Depth=1
	s_or_b32 exec_lo, exec_lo, s0
	s_delay_alu instid0(SALU_CYCLE_1)
	s_mov_b32 s0, exec_lo
	v_cmpx_gt_u64_e64 s[4:5], v[10:11]
	s_cbranch_execnz .LBB79_22
.LBB79_18:                              ;   in Loop: Header=BB79_9 Depth=1
	s_or_b32 exec_lo, exec_lo, s0
	s_delay_alu instid0(SALU_CYCLE_1)
	s_mov_b32 s0, exec_lo
	v_cmpx_gt_u64_e64 s[4:5], v[7:8]
	s_cbranch_execnz .LBB79_23
.LBB79_19:                              ;   in Loop: Header=BB79_9 Depth=1
	s_or_b32 exec_lo, exec_lo, s0
	s_delay_alu instid0(SALU_CYCLE_1)
	s_mov_b32 s0, exec_lo
	v_cmpx_gt_u64_e64 s[4:5], v[4:5]
	s_cbranch_execz .LBB79_8
	s_branch .LBB79_24
.LBB79_20:                              ;   in Loop: Header=BB79_9 Depth=1
	v_add_co_u32 v32, vcc_lo, v16, s6
	v_add_co_ci_u32_e32 v33, vcc_lo, s7, v17, vcc_lo
	v_add_co_u32 v34, vcc_lo, v18, s6
	v_add_co_ci_u32_e32 v35, vcc_lo, s7, v19, vcc_lo
	global_load_b32 v2, v[32:33], off
	global_load_b32 v29, v[34:35], off
	s_or_b32 exec_lo, exec_lo, s0
	s_delay_alu instid0(SALU_CYCLE_1)
	s_mov_b32 s0, exec_lo
	v_cmpx_gt_u64_e64 s[4:5], v[0:1]
	s_cbranch_execz .LBB79_17
.LBB79_21:                              ;   in Loop: Header=BB79_9 Depth=1
	s_waitcnt vmcnt(0)
	v_sub_nc_u32_e32 v32, 0, v31
	s_delay_alu instid0(VALU_DEP_1) | instskip(SKIP_1) | instid1(VALU_DEP_2)
	v_max_i32_e32 v32, v31, v32
	v_ashrrev_i32_e32 v31, 31, v31
	v_cvt_f32_u32_e32 v33, v32
	v_sub_nc_u32_e32 v34, 0, v32
	s_delay_alu instid0(VALU_DEP_3) | instskip(NEXT) | instid1(VALU_DEP_3)
	v_xor_b32_e32 v31, s17, v31
	v_rcp_iflag_f32_e32 v33, v33
	s_waitcnt_depctr 0xfff
	v_mul_f32_e32 v33, 0x4f7ffffe, v33
	s_delay_alu instid0(VALU_DEP_1) | instskip(NEXT) | instid1(VALU_DEP_1)
	v_cvt_u32_f32_e32 v33, v33
	v_mul_lo_u32 v34, v34, v33
	s_delay_alu instid0(VALU_DEP_1) | instskip(NEXT) | instid1(VALU_DEP_1)
	v_mul_hi_u32 v34, v33, v34
	v_add_nc_u32_e32 v33, v33, v34
	s_delay_alu instid0(VALU_DEP_1) | instskip(NEXT) | instid1(VALU_DEP_1)
	v_mul_hi_u32 v33, s12, v33
	v_mul_lo_u32 v34, v33, v32
	v_add_nc_u32_e32 v35, 1, v33
	s_delay_alu instid0(VALU_DEP_2) | instskip(NEXT) | instid1(VALU_DEP_1)
	v_sub_nc_u32_e32 v34, s12, v34
	v_sub_nc_u32_e32 v36, v34, v32
	v_cmp_ge_u32_e32 vcc_lo, v34, v32
	s_delay_alu instid0(VALU_DEP_2) | instskip(NEXT) | instid1(VALU_DEP_1)
	v_dual_cndmask_b32 v34, v34, v36 :: v_dual_cndmask_b32 v33, v33, v35
	v_cmp_ge_u32_e32 vcc_lo, v34, v32
	s_delay_alu instid0(VALU_DEP_2) | instskip(NEXT) | instid1(VALU_DEP_1)
	v_add_nc_u32_e32 v35, 1, v33
	v_cndmask_b32_e32 v32, v33, v35, vcc_lo
	s_delay_alu instid0(VALU_DEP_1) | instskip(NEXT) | instid1(VALU_DEP_1)
	v_xor_b32_e32 v32, v32, v31
	v_sub_nc_u32_e32 v33, v32, v31
	s_delay_alu instid0(VALU_DEP_1) | instskip(SKIP_4) | instid1(SALU_CYCLE_1)
	v_mad_u64_u32 v[31:32], null, v33, s14, v[9:10]
	v_add_co_u32 v32, vcc_lo, v12, s6
	v_add_co_ci_u32_e32 v33, vcc_lo, s7, v13, vcc_lo
	global_store_b32 v[32:33], v31, off
	s_or_b32 exec_lo, exec_lo, s0
	s_mov_b32 s0, exec_lo
	v_cmpx_gt_u64_e64 s[4:5], v[10:11]
	s_cbranch_execz .LBB79_18
.LBB79_22:                              ;   in Loop: Header=BB79_9 Depth=1
	s_waitcnt vmcnt(0)
	v_sub_nc_u32_e32 v9, 0, v30
	s_delay_alu instid0(VALU_DEP_1) | instskip(SKIP_1) | instid1(VALU_DEP_2)
	v_max_i32_e32 v9, v30, v9
	v_ashrrev_i32_e32 v30, 31, v30
	v_cvt_f32_u32_e32 v10, v9
	v_sub_nc_u32_e32 v11, 0, v9
	s_delay_alu instid0(VALU_DEP_3) | instskip(NEXT) | instid1(VALU_DEP_3)
	v_xor_b32_e32 v30, s17, v30
	v_rcp_iflag_f32_e32 v10, v10
	s_waitcnt_depctr 0xfff
	v_mul_f32_e32 v10, 0x4f7ffffe, v10
	s_delay_alu instid0(VALU_DEP_1) | instskip(NEXT) | instid1(VALU_DEP_1)
	v_cvt_u32_f32_e32 v10, v10
	v_mul_lo_u32 v11, v11, v10
	s_delay_alu instid0(VALU_DEP_1) | instskip(NEXT) | instid1(VALU_DEP_1)
	v_mul_hi_u32 v11, v10, v11
	v_add_nc_u32_e32 v10, v10, v11
	s_delay_alu instid0(VALU_DEP_1) | instskip(NEXT) | instid1(VALU_DEP_1)
	v_mul_hi_u32 v10, s12, v10
	v_mul_lo_u32 v11, v10, v9
	v_add_nc_u32_e32 v31, 1, v10
	s_delay_alu instid0(VALU_DEP_2) | instskip(NEXT) | instid1(VALU_DEP_1)
	v_sub_nc_u32_e32 v11, s12, v11
	v_sub_nc_u32_e32 v32, v11, v9
	v_cmp_ge_u32_e32 vcc_lo, v11, v9
	s_delay_alu instid0(VALU_DEP_2) | instskip(NEXT) | instid1(VALU_DEP_1)
	v_dual_cndmask_b32 v11, v11, v32 :: v_dual_cndmask_b32 v10, v10, v31
	v_cmp_ge_u32_e32 vcc_lo, v11, v9
	s_delay_alu instid0(VALU_DEP_2) | instskip(NEXT) | instid1(VALU_DEP_1)
	v_add_nc_u32_e32 v31, 1, v10
	v_cndmask_b32_e32 v9, v10, v31, vcc_lo
	s_delay_alu instid0(VALU_DEP_1) | instskip(NEXT) | instid1(VALU_DEP_1)
	v_xor_b32_e32 v9, v9, v30
	v_sub_nc_u32_e32 v11, v9, v30
	s_delay_alu instid0(VALU_DEP_1) | instskip(SKIP_4) | instid1(SALU_CYCLE_1)
	v_mad_u64_u32 v[9:10], null, v11, s14, v[6:7]
	v_add_co_u32 v10, vcc_lo, v24, s6
	v_add_co_ci_u32_e32 v11, vcc_lo, s7, v25, vcc_lo
	global_store_b32 v[10:11], v9, off
	s_or_b32 exec_lo, exec_lo, s0
	s_mov_b32 s0, exec_lo
	v_cmpx_gt_u64_e64 s[4:5], v[7:8]
	s_cbranch_execz .LBB79_19
.LBB79_23:                              ;   in Loop: Header=BB79_9 Depth=1
	s_waitcnt vmcnt(0)
	v_sub_nc_u32_e32 v6, 0, v28
	s_delay_alu instid0(VALU_DEP_1) | instskip(NEXT) | instid1(VALU_DEP_1)
	v_max_i32_e32 v6, v28, v6
	v_cvt_f32_u32_e32 v7, v6
	v_sub_nc_u32_e32 v8, 0, v6
	s_delay_alu instid0(VALU_DEP_2) | instskip(SKIP_2) | instid1(VALU_DEP_1)
	v_rcp_iflag_f32_e32 v7, v7
	s_waitcnt_depctr 0xfff
	v_mul_f32_e32 v7, 0x4f7ffffe, v7
	v_cvt_u32_f32_e32 v7, v7
	s_delay_alu instid0(VALU_DEP_1) | instskip(NEXT) | instid1(VALU_DEP_1)
	v_mul_lo_u32 v8, v8, v7
	v_mul_hi_u32 v8, v7, v8
	s_delay_alu instid0(VALU_DEP_1) | instskip(NEXT) | instid1(VALU_DEP_1)
	v_add_nc_u32_e32 v7, v7, v8
	v_mul_hi_u32 v7, s12, v7
	s_delay_alu instid0(VALU_DEP_1) | instskip(SKIP_1) | instid1(VALU_DEP_2)
	v_mul_lo_u32 v8, v7, v6
	v_add_nc_u32_e32 v9, 1, v7
	v_sub_nc_u32_e32 v8, s12, v8
	s_delay_alu instid0(VALU_DEP_1) | instskip(SKIP_1) | instid1(VALU_DEP_2)
	v_sub_nc_u32_e32 v10, v8, v6
	v_cmp_ge_u32_e32 vcc_lo, v8, v6
	v_dual_cndmask_b32 v7, v7, v9 :: v_dual_cndmask_b32 v8, v8, v10
	v_ashrrev_i32_e32 v9, 31, v28
	s_delay_alu instid0(VALU_DEP_2) | instskip(NEXT) | instid1(VALU_DEP_3)
	v_add_nc_u32_e32 v10, 1, v7
	v_cmp_ge_u32_e32 vcc_lo, v8, v6
	s_delay_alu instid0(VALU_DEP_3) | instskip(NEXT) | instid1(VALU_DEP_3)
	v_xor_b32_e32 v9, s17, v9
	v_cndmask_b32_e32 v6, v7, v10, vcc_lo
	s_delay_alu instid0(VALU_DEP_1) | instskip(NEXT) | instid1(VALU_DEP_1)
	v_xor_b32_e32 v6, v6, v9
	v_sub_nc_u32_e32 v8, v6, v9
	s_delay_alu instid0(VALU_DEP_1) | instskip(SKIP_4) | instid1(SALU_CYCLE_1)
	v_mad_u64_u32 v[6:7], null, v8, s14, v[3:4]
	v_add_co_u32 v7, vcc_lo, v20, s6
	v_add_co_ci_u32_e32 v8, vcc_lo, s7, v21, vcc_lo
	global_store_b32 v[7:8], v6, off
	s_or_b32 exec_lo, exec_lo, s0
	s_mov_b32 s0, exec_lo
	v_cmpx_gt_u64_e64 s[4:5], v[4:5]
	s_cbranch_execz .LBB79_8
.LBB79_24:                              ;   in Loop: Header=BB79_9 Depth=1
	s_waitcnt vmcnt(0)
	v_sub_nc_u32_e32 v3, 0, v29
	s_delay_alu instid0(VALU_DEP_1) | instskip(NEXT) | instid1(VALU_DEP_1)
	v_max_i32_e32 v3, v29, v3
	v_cvt_f32_u32_e32 v4, v3
	v_sub_nc_u32_e32 v5, 0, v3
	s_delay_alu instid0(VALU_DEP_2) | instskip(SKIP_2) | instid1(VALU_DEP_1)
	v_rcp_iflag_f32_e32 v4, v4
	s_waitcnt_depctr 0xfff
	v_mul_f32_e32 v4, 0x4f7ffffe, v4
	v_cvt_u32_f32_e32 v4, v4
	s_delay_alu instid0(VALU_DEP_1) | instskip(NEXT) | instid1(VALU_DEP_1)
	v_mul_lo_u32 v5, v5, v4
	v_mul_hi_u32 v5, v4, v5
	s_delay_alu instid0(VALU_DEP_1) | instskip(NEXT) | instid1(VALU_DEP_1)
	v_add_nc_u32_e32 v4, v4, v5
	v_mul_hi_u32 v4, s12, v4
	s_delay_alu instid0(VALU_DEP_1) | instskip(SKIP_1) | instid1(VALU_DEP_2)
	v_mul_lo_u32 v5, v4, v3
	v_add_nc_u32_e32 v6, 1, v4
	v_sub_nc_u32_e32 v5, s12, v5
	s_delay_alu instid0(VALU_DEP_1) | instskip(SKIP_1) | instid1(VALU_DEP_2)
	v_sub_nc_u32_e32 v7, v5, v3
	v_cmp_ge_u32_e32 vcc_lo, v5, v3
	v_dual_cndmask_b32 v4, v4, v6 :: v_dual_cndmask_b32 v5, v5, v7
	v_ashrrev_i32_e32 v6, 31, v29
	s_delay_alu instid0(VALU_DEP_2) | instskip(NEXT) | instid1(VALU_DEP_3)
	v_add_nc_u32_e32 v7, 1, v4
	v_cmp_ge_u32_e32 vcc_lo, v5, v3
	s_delay_alu instid0(VALU_DEP_3) | instskip(NEXT) | instid1(VALU_DEP_3)
	v_xor_b32_e32 v6, s17, v6
	v_cndmask_b32_e32 v3, v4, v7, vcc_lo
	s_delay_alu instid0(VALU_DEP_1) | instskip(NEXT) | instid1(VALU_DEP_1)
	v_xor_b32_e32 v3, v3, v6
	v_sub_nc_u32_e32 v5, v3, v6
	s_delay_alu instid0(VALU_DEP_1)
	v_mad_u64_u32 v[3:4], null, v5, s14, v[2:3]
	v_add_co_u32 v4, vcc_lo, v16, s6
	v_add_co_ci_u32_e32 v5, vcc_lo, s7, v17, vcc_lo
	global_store_b32 v[4:5], v3, off
	s_branch .LBB79_8
.LBB79_25:
	s_nop 0
	s_sendmsg sendmsg(MSG_DEALLOC_VGPRS)
	s_endpgm
	.section	.rodata,"a",@progbits
	.p2align	6, 0x0
	.amdhsa_kernel _ZN2at6native12_GLOBAL__N_125multi_tensor_apply_kernelINS1_18TensorListMetadataILi3EEENS1_32PointwiseOpScalar0dTensorFunctorIiLi3ELi2ELi0EEEJSt7dividesIiEiEEEvT_T0_DpT1_
		.amdhsa_group_segment_fixed_size 0
		.amdhsa_private_segment_fixed_size 0
		.amdhsa_kernarg_size 3408
		.amdhsa_user_sgpr_count 15
		.amdhsa_user_sgpr_dispatch_ptr 0
		.amdhsa_user_sgpr_queue_ptr 0
		.amdhsa_user_sgpr_kernarg_segment_ptr 1
		.amdhsa_user_sgpr_dispatch_id 0
		.amdhsa_user_sgpr_private_segment_size 0
		.amdhsa_wavefront_size32 1
		.amdhsa_uses_dynamic_stack 0
		.amdhsa_enable_private_segment 0
		.amdhsa_system_sgpr_workgroup_id_x 1
		.amdhsa_system_sgpr_workgroup_id_y 0
		.amdhsa_system_sgpr_workgroup_id_z 0
		.amdhsa_system_sgpr_workgroup_info 0
		.amdhsa_system_vgpr_workitem_id 0
		.amdhsa_next_free_vgpr 37
		.amdhsa_next_free_sgpr 26
		.amdhsa_reserve_vcc 1
		.amdhsa_float_round_mode_32 0
		.amdhsa_float_round_mode_16_64 0
		.amdhsa_float_denorm_mode_32 3
		.amdhsa_float_denorm_mode_16_64 3
		.amdhsa_dx10_clamp 1
		.amdhsa_ieee_mode 1
		.amdhsa_fp16_overflow 0
		.amdhsa_workgroup_processor_mode 1
		.amdhsa_memory_ordered 1
		.amdhsa_forward_progress 0
		.amdhsa_shared_vgpr_count 0
		.amdhsa_exception_fp_ieee_invalid_op 0
		.amdhsa_exception_fp_denorm_src 0
		.amdhsa_exception_fp_ieee_div_zero 0
		.amdhsa_exception_fp_ieee_overflow 0
		.amdhsa_exception_fp_ieee_underflow 0
		.amdhsa_exception_fp_ieee_inexact 0
		.amdhsa_exception_int_div_zero 0
	.end_amdhsa_kernel
	.section	.text._ZN2at6native12_GLOBAL__N_125multi_tensor_apply_kernelINS1_18TensorListMetadataILi3EEENS1_32PointwiseOpScalar0dTensorFunctorIiLi3ELi2ELi0EEEJSt7dividesIiEiEEEvT_T0_DpT1_,"axG",@progbits,_ZN2at6native12_GLOBAL__N_125multi_tensor_apply_kernelINS1_18TensorListMetadataILi3EEENS1_32PointwiseOpScalar0dTensorFunctorIiLi3ELi2ELi0EEEJSt7dividesIiEiEEEvT_T0_DpT1_,comdat
.Lfunc_end79:
	.size	_ZN2at6native12_GLOBAL__N_125multi_tensor_apply_kernelINS1_18TensorListMetadataILi3EEENS1_32PointwiseOpScalar0dTensorFunctorIiLi3ELi2ELi0EEEJSt7dividesIiEiEEEvT_T0_DpT1_, .Lfunc_end79-_ZN2at6native12_GLOBAL__N_125multi_tensor_apply_kernelINS1_18TensorListMetadataILi3EEENS1_32PointwiseOpScalar0dTensorFunctorIiLi3ELi2ELi0EEEJSt7dividesIiEiEEEvT_T0_DpT1_
                                        ; -- End function
	.section	.AMDGPU.csdata,"",@progbits
; Kernel info:
; codeLenInByte = 2924
; NumSgprs: 28
; NumVgprs: 37
; ScratchSize: 0
; MemoryBound: 0
; FloatMode: 240
; IeeeMode: 1
; LDSByteSize: 0 bytes/workgroup (compile time only)
; SGPRBlocks: 3
; VGPRBlocks: 4
; NumSGPRsForWavesPerEU: 28
; NumVGPRsForWavesPerEU: 37
; Occupancy: 16
; WaveLimiterHint : 0
; COMPUTE_PGM_RSRC2:SCRATCH_EN: 0
; COMPUTE_PGM_RSRC2:USER_SGPR: 15
; COMPUTE_PGM_RSRC2:TRAP_HANDLER: 0
; COMPUTE_PGM_RSRC2:TGID_X_EN: 1
; COMPUTE_PGM_RSRC2:TGID_Y_EN: 0
; COMPUTE_PGM_RSRC2:TGID_Z_EN: 0
; COMPUTE_PGM_RSRC2:TIDIG_COMP_CNT: 0
	.section	.text._ZN2at6native12_GLOBAL__N_125multi_tensor_apply_kernelINS1_18TensorListMetadataILi3EEENS1_32PointwiseOpScalar0dTensorFunctorIlLi3ELi2ELi0EEEJSt7dividesIlElEEEvT_T0_DpT1_,"axG",@progbits,_ZN2at6native12_GLOBAL__N_125multi_tensor_apply_kernelINS1_18TensorListMetadataILi3EEENS1_32PointwiseOpScalar0dTensorFunctorIlLi3ELi2ELi0EEEJSt7dividesIlElEEEvT_T0_DpT1_,comdat
	.globl	_ZN2at6native12_GLOBAL__N_125multi_tensor_apply_kernelINS1_18TensorListMetadataILi3EEENS1_32PointwiseOpScalar0dTensorFunctorIlLi3ELi2ELi0EEEJSt7dividesIlElEEEvT_T0_DpT1_ ; -- Begin function _ZN2at6native12_GLOBAL__N_125multi_tensor_apply_kernelINS1_18TensorListMetadataILi3EEENS1_32PointwiseOpScalar0dTensorFunctorIlLi3ELi2ELi0EEEJSt7dividesIlElEEEvT_T0_DpT1_
	.p2align	8
	.type	_ZN2at6native12_GLOBAL__N_125multi_tensor_apply_kernelINS1_18TensorListMetadataILi3EEENS1_32PointwiseOpScalar0dTensorFunctorIlLi3ELi2ELi0EEEJSt7dividesIlElEEEvT_T0_DpT1_,@function
_ZN2at6native12_GLOBAL__N_125multi_tensor_apply_kernelINS1_18TensorListMetadataILi3EEENS1_32PointwiseOpScalar0dTensorFunctorIlLi3ELi2ELi0EEEJSt7dividesIlElEEEvT_T0_DpT1_: ; @_ZN2at6native12_GLOBAL__N_125multi_tensor_apply_kernelINS1_18TensorListMetadataILi3EEENS1_32PointwiseOpScalar0dTensorFunctorIlLi3ELi2ELi0EEEJSt7dividesIlElEEEvT_T0_DpT1_
; %bb.0:
	v_mov_b32_e32 v1, s15
	s_add_u32 s2, s0, s15
	s_mul_hi_u32 s3, s15, 3
	s_mul_i32 s15, s15, 3
	s_addc_u32 s4, s1, 0
	global_load_u8 v1, v1, s[0:1] offset:1536
	s_load_b64 s[6:7], s[0:1], 0xc50
	s_add_u32 s2, s2, s15
	s_addc_u32 s3, s4, s3
	s_mov_b32 s23, 0
	s_load_b32 s8, s[2:3], 0x740
	s_mov_b32 s25, s23
	s_waitcnt lgkmcnt(0)
	s_ashr_i32 s9, s8, 31
	s_delay_alu instid0(SALU_CYCLE_1) | instskip(SKIP_2) | instid1(VALU_DEP_1)
	s_lshl_b64 s[4:5], s[8:9], 19
	s_waitcnt vmcnt(0)
	v_readfirstlane_b32 s2, v1
	s_lshl_b32 s2, s2, 3
	s_clause 0x3
	s_load_b64 s[14:15], s[0:1], s2 offset:0x0
	s_load_b64 s[10:11], s[0:1], s2 offset:0x180
	;; [unrolled: 1-line block ×4, first 2 shown]
	s_waitcnt lgkmcnt(0)
	s_add_u32 s3, s14, s4
	s_addc_u32 s18, s15, s5
	s_add_u32 s2, s10, s4
	s_and_b32 s22, s3, 31
	s_add_u32 s19, s16, s4
	s_addc_u32 s20, s17, s5
	s_or_b32 s2, s19, s2
	s_load_b64 s[10:11], s[10:11], 0x0
	s_and_b32 s2, s2, 31
	s_delay_alu instid0(SALU_CYCLE_1) | instskip(SKIP_2) | instid1(SALU_CYCLE_1)
	s_cmp_lg_u32 s2, 0
	s_cselect_b32 s2, -1, 0
	s_lshl_b64 s[8:9], s[8:9], 16
	s_sub_u32 s8, s12, s8
	s_subb_u32 s9, s13, s9
	s_and_b32 s24, s12, 3
	s_delay_alu instid0(SALU_CYCLE_1) | instskip(NEXT) | instid1(SALU_CYCLE_1)
	s_or_b64 s[12:13], s[22:23], s[24:25]
	s_cmp_lg_u64 s[12:13], 0
	s_cselect_b32 s12, -1, 0
	s_delay_alu instid0(SALU_CYCLE_1) | instskip(NEXT) | instid1(SALU_CYCLE_1)
	s_or_b32 s2, s2, s12
	s_and_not1_b32 vcc_lo, exec_lo, s2
	s_mov_b32 s2, -1
	s_cbranch_vccz .LBB80_21
; %bb.1:
	v_mov_b32_e32 v17, 0
	v_lshlrev_b32_e32 v1, 2, v0
	s_mov_b32 s21, exec_lo
	s_delay_alu instid0(VALU_DEP_2) | instskip(NEXT) | instid1(VALU_DEP_1)
	v_mov_b32_e32 v2, v17
	v_cmpx_gt_i64_e64 s[8:9], v[1:2]
	s_cbranch_execz .LBB80_20
; %bb.2:
	s_load_b32 s2, s[0:1], 0xc64
	v_dual_mov_b32 v20, v17 :: v_dual_lshlrev_b32 v25, 5, v0
	s_mov_b32 s22, 0
	s_waitcnt lgkmcnt(0)
	s_ashr_i32 s12, s11, 31
	s_and_b32 s2, s2, 0xffff
	s_delay_alu instid0(SALU_CYCLE_1)
	v_add_lshl_u32 v19, v0, s2, 2
	s_lshl_b32 s23, s2, 2
	s_lshl_b32 s24, s2, 5
	s_branch .LBB80_4
.LBB80_3:                               ;   in Loop: Header=BB80_4 Depth=1
	s_or_b32 exec_lo, exec_lo, s2
	v_cmp_le_i64_e32 vcc_lo, s[8:9], v[19:20]
	v_cmp_lt_u64_e64 s2, 0xffff, v[19:20]
	s_waitcnt vmcnt(1)
	v_mad_u64_u32 v[11:12], null, v15, s6, v[1:2]
	v_mul_lo_u32 v1, v13, s7
	v_mul_lo_u32 v2, v14, s6
	s_waitcnt vmcnt(0)
	v_mad_u64_u32 v[28:29], null, v13, s6, v[7:8]
	v_mul_lo_u32 v7, v23, s7
	v_mul_lo_u32 v8, v24, s6
	v_mad_u64_u32 v[26:27], null, v23, s6, v[5:6]
	v_mul_lo_u32 v18, v15, s7
	v_mul_lo_u32 v16, v16, s6
	;; [unrolled: 1-line block ×4, first 2 shown]
	v_mad_u64_u32 v[13:14], null, v9, s6, v[3:4]
	s_or_b32 s2, vcc_lo, s2
	s_add_u32 s3, s3, s24
	v_add_co_u32 v19, vcc_lo, v19, s23
	s_addc_u32 s18, s18, 0
	s_add_u32 s19, s19, s24
	v_add3_u32 v29, v2, v29, v1
	v_add3_u32 v27, v8, v27, v7
	v_add_co_ci_u32_e32 v20, vcc_lo, 0, v20, vcc_lo
	s_addc_u32 s20, s20, 0
	v_add3_u32 v12, v16, v12, v18
	v_add3_u32 v14, v6, v14, v5
	s_and_b32 s2, exec_lo, s2
	s_clause 0x1
	global_store_b128 v[21:22], v[26:29], off
	global_store_b128 v[21:22], v[11:14], off offset:16
	s_or_b32 s22, s2, s22
	s_delay_alu instid0(SALU_CYCLE_1)
	s_and_not1_b32 exec_lo, exec_lo, s22
	s_cbranch_execz .LBB80_20
.LBB80_4:                               ; =>This Inner Loop Header: Depth=1
	v_add_co_u32 v1, s2, s19, v25
	s_delay_alu instid0(VALU_DEP_1) | instskip(SKIP_1) | instid1(VALU_DEP_1)
	v_add_co_ci_u32_e64 v2, null, s20, 0, s2
	v_add_co_u32 v21, s2, s3, v25
	v_add_co_ci_u32_e64 v22, null, s18, 0, s2
	s_clause 0x1
	global_load_b128 v[13:16], v[1:2], off
	global_load_b128 v[9:12], v[1:2], off offset:16
	s_clause 0x1
	global_load_b128 v[1:4], v[21:22], off offset:16
	global_load_b128 v[5:8], v[21:22], off
                                        ; implicit-def: $vgpr23_vgpr24
	s_mov_b32 s2, exec_lo
	s_waitcnt vmcnt(3)
	v_or_b32_e32 v18, s11, v14
	s_delay_alu instid0(VALU_DEP_1)
	v_cmpx_ne_u64_e32 0, v[17:18]
	s_xor_b32 s25, exec_lo, s2
	s_cbranch_execz .LBB80_6
; %bb.5:                                ;   in Loop: Header=BB80_4 Depth=1
	v_ashrrev_i32_e32 v18, 31, v14
	s_add_u32 s26, s10, s12
	s_mov_b32 s13, s12
	s_addc_u32 s27, s11, s12
	s_delay_alu instid0(SALU_CYCLE_1) | instskip(SKIP_2) | instid1(VALU_DEP_2)
	s_xor_b64 s[26:27], s[26:27], s[12:13]
	v_add_co_u32 v13, vcc_lo, v13, v18
	v_add_co_ci_u32_e32 v14, vcc_lo, v14, v18, vcc_lo
	v_xor_b32_e32 v28, v13, v18
	s_delay_alu instid0(VALU_DEP_2) | instskip(NEXT) | instid1(VALU_DEP_2)
	v_xor_b32_e32 v29, v14, v18
	v_cvt_f32_u32_e32 v13, v28
	v_sub_co_u32 v30, vcc_lo, 0, v28
	s_delay_alu instid0(VALU_DEP_3) | instskip(SKIP_1) | instid1(VALU_DEP_2)
	v_cvt_f32_u32_e32 v14, v29
	v_sub_co_ci_u32_e32 v31, vcc_lo, 0, v29, vcc_lo
	v_fmac_f32_e32 v13, 0x4f800000, v14
	s_delay_alu instid0(VALU_DEP_1) | instskip(SKIP_2) | instid1(VALU_DEP_1)
	v_rcp_f32_e32 v13, v13
	s_waitcnt_depctr 0xfff
	v_mul_f32_e32 v13, 0x5f7ffffc, v13
	v_mul_f32_e32 v14, 0x2f800000, v13
	s_delay_alu instid0(VALU_DEP_1) | instskip(NEXT) | instid1(VALU_DEP_1)
	v_trunc_f32_e32 v14, v14
	v_fmac_f32_e32 v13, 0xcf800000, v14
	v_cvt_u32_f32_e32 v32, v14
	s_delay_alu instid0(VALU_DEP_2) | instskip(NEXT) | instid1(VALU_DEP_2)
	v_cvt_u32_f32_e32 v33, v13
	v_mul_lo_u32 v23, v30, v32
	s_delay_alu instid0(VALU_DEP_2) | instskip(SKIP_1) | instid1(VALU_DEP_1)
	v_mul_lo_u32 v24, v31, v33
	v_mad_u64_u32 v[13:14], null, v30, v33, 0
	v_add3_u32 v34, v14, v23, v24
	s_delay_alu instid0(VALU_DEP_2) | instskip(SKIP_1) | instid1(VALU_DEP_3)
	v_mul_hi_u32 v35, v33, v13
	v_mad_u64_u32 v[26:27], null, v32, v13, 0
	v_mad_u64_u32 v[23:24], null, v33, v34, 0
	;; [unrolled: 1-line block ×3, first 2 shown]
	s_delay_alu instid0(VALU_DEP_2) | instskip(NEXT) | instid1(VALU_DEP_3)
	v_add_co_u32 v23, vcc_lo, v35, v23
	v_add_co_ci_u32_e32 v24, vcc_lo, 0, v24, vcc_lo
	s_delay_alu instid0(VALU_DEP_2) | instskip(NEXT) | instid1(VALU_DEP_2)
	v_add_co_u32 v23, vcc_lo, v23, v26
	v_add_co_ci_u32_e32 v23, vcc_lo, v24, v27, vcc_lo
	v_add_co_ci_u32_e32 v14, vcc_lo, 0, v14, vcc_lo
	s_delay_alu instid0(VALU_DEP_2) | instskip(NEXT) | instid1(VALU_DEP_2)
	v_add_co_u32 v13, vcc_lo, v23, v13
	v_add_co_ci_u32_e32 v14, vcc_lo, 0, v14, vcc_lo
	s_delay_alu instid0(VALU_DEP_2) | instskip(NEXT) | instid1(VALU_DEP_2)
	v_add_co_u32 v33, vcc_lo, v33, v13
	v_add_co_ci_u32_e32 v32, vcc_lo, v32, v14, vcc_lo
	s_delay_alu instid0(VALU_DEP_2) | instskip(SKIP_1) | instid1(VALU_DEP_3)
	v_mul_lo_u32 v23, v31, v33
	v_mad_u64_u32 v[13:14], null, v30, v33, 0
	v_mul_lo_u32 v24, v30, v32
	s_delay_alu instid0(VALU_DEP_2) | instskip(SKIP_1) | instid1(VALU_DEP_3)
	v_mul_hi_u32 v31, v33, v13
	v_mad_u64_u32 v[26:27], null, v32, v13, 0
	v_add3_u32 v30, v14, v24, v23
	s_delay_alu instid0(VALU_DEP_1) | instskip(SKIP_1) | instid1(VALU_DEP_2)
	v_mad_u64_u32 v[23:24], null, v33, v30, 0
	v_mad_u64_u32 v[13:14], null, v32, v30, 0
	v_add_co_u32 v23, vcc_lo, v31, v23
	s_delay_alu instid0(VALU_DEP_3) | instskip(NEXT) | instid1(VALU_DEP_2)
	v_add_co_ci_u32_e32 v24, vcc_lo, 0, v24, vcc_lo
	v_add_co_u32 v23, vcc_lo, v23, v26
	s_delay_alu instid0(VALU_DEP_2) | instskip(SKIP_1) | instid1(VALU_DEP_2)
	v_add_co_ci_u32_e32 v23, vcc_lo, v24, v27, vcc_lo
	v_add_co_ci_u32_e32 v14, vcc_lo, 0, v14, vcc_lo
	v_add_co_u32 v13, vcc_lo, v23, v13
	s_delay_alu instid0(VALU_DEP_2) | instskip(NEXT) | instid1(VALU_DEP_2)
	v_add_co_ci_u32_e32 v14, vcc_lo, 0, v14, vcc_lo
	v_add_co_u32 v26, vcc_lo, v33, v13
	s_delay_alu instid0(VALU_DEP_2) | instskip(NEXT) | instid1(VALU_DEP_2)
	v_add_co_ci_u32_e32 v30, vcc_lo, v32, v14, vcc_lo
	v_mul_hi_u32 v31, s26, v26
	v_mad_u64_u32 v[23:24], null, s27, v26, 0
	s_delay_alu instid0(VALU_DEP_3) | instskip(SKIP_1) | instid1(VALU_DEP_2)
	v_mad_u64_u32 v[13:14], null, s26, v30, 0
	v_mad_u64_u32 v[26:27], null, s27, v30, 0
	v_add_co_u32 v13, vcc_lo, v31, v13
	s_delay_alu instid0(VALU_DEP_3) | instskip(NEXT) | instid1(VALU_DEP_2)
	v_add_co_ci_u32_e32 v14, vcc_lo, 0, v14, vcc_lo
	v_add_co_u32 v13, vcc_lo, v13, v23
	s_delay_alu instid0(VALU_DEP_2) | instskip(SKIP_1) | instid1(VALU_DEP_2)
	v_add_co_ci_u32_e32 v13, vcc_lo, v14, v24, vcc_lo
	v_add_co_ci_u32_e32 v14, vcc_lo, 0, v27, vcc_lo
	v_add_co_u32 v23, vcc_lo, v13, v26
	s_delay_alu instid0(VALU_DEP_2) | instskip(NEXT) | instid1(VALU_DEP_2)
	v_add_co_ci_u32_e32 v24, vcc_lo, 0, v14, vcc_lo
	v_mul_lo_u32 v26, v29, v23
	v_mad_u64_u32 v[13:14], null, v28, v23, 0
	s_delay_alu instid0(VALU_DEP_3) | instskip(NEXT) | instid1(VALU_DEP_2)
	v_mul_lo_u32 v27, v28, v24
	v_sub_co_u32 v13, vcc_lo, s26, v13
	s_delay_alu instid0(VALU_DEP_2) | instskip(NEXT) | instid1(VALU_DEP_1)
	v_add3_u32 v14, v14, v27, v26
	v_sub_nc_u32_e32 v26, s27, v14
	s_delay_alu instid0(VALU_DEP_1) | instskip(SKIP_1) | instid1(VALU_DEP_1)
	v_sub_co_ci_u32_e64 v26, s2, v26, v29, vcc_lo
	v_add_co_u32 v27, s2, v23, 2
	v_add_co_ci_u32_e64 v30, s2, 0, v24, s2
	v_sub_co_u32 v31, s2, v13, v28
	v_sub_co_ci_u32_e32 v14, vcc_lo, s27, v14, vcc_lo
	v_subrev_co_ci_u32_e64 v26, s2, 0, v26, s2
	s_delay_alu instid0(VALU_DEP_3) | instskip(NEXT) | instid1(VALU_DEP_3)
	v_cmp_ge_u32_e32 vcc_lo, v31, v28
	v_cmp_eq_u32_e64 s2, v14, v29
	v_cndmask_b32_e64 v31, 0, -1, vcc_lo
	s_delay_alu instid0(VALU_DEP_4)
	v_cmp_ge_u32_e32 vcc_lo, v26, v29
	v_cndmask_b32_e64 v32, 0, -1, vcc_lo
	v_cmp_ge_u32_e32 vcc_lo, v13, v28
	v_cndmask_b32_e64 v13, 0, -1, vcc_lo
	;; [unrolled: 2-line block ×3, first 2 shown]
	v_cmp_eq_u32_e32 vcc_lo, v26, v29
	s_delay_alu instid0(VALU_DEP_2) | instskip(SKIP_3) | instid1(VALU_DEP_3)
	v_cndmask_b32_e64 v13, v28, v13, s2
	v_cndmask_b32_e32 v26, v32, v31, vcc_lo
	v_add_co_u32 v31, vcc_lo, v23, 1
	v_add_co_ci_u32_e32 v32, vcc_lo, 0, v24, vcc_lo
	v_cmp_ne_u32_e32 vcc_lo, 0, v26
	s_delay_alu instid0(VALU_DEP_3) | instskip(NEXT) | instid1(VALU_DEP_3)
	v_cndmask_b32_e32 v26, v31, v27, vcc_lo
	v_cndmask_b32_e32 v14, v32, v30, vcc_lo
	v_cmp_ne_u32_e32 vcc_lo, 0, v13
	v_xor_b32_e32 v13, s12, v18
	s_delay_alu instid0(VALU_DEP_4) | instskip(NEXT) | instid1(VALU_DEP_4)
	v_cndmask_b32_e32 v18, v23, v26, vcc_lo
	v_cndmask_b32_e32 v14, v24, v14, vcc_lo
	s_delay_alu instid0(VALU_DEP_2) | instskip(NEXT) | instid1(VALU_DEP_2)
	v_xor_b32_e32 v18, v18, v13
	v_xor_b32_e32 v14, v14, v13
	s_delay_alu instid0(VALU_DEP_2) | instskip(NEXT) | instid1(VALU_DEP_2)
	v_sub_co_u32 v23, vcc_lo, v18, v13
	v_sub_co_ci_u32_e32 v24, vcc_lo, v14, v13, vcc_lo
.LBB80_6:                               ;   in Loop: Header=BB80_4 Depth=1
	s_and_not1_saveexec_b32 s2, s25
	s_cbranch_execz .LBB80_8
; %bb.7:                                ;   in Loop: Header=BB80_4 Depth=1
	v_cvt_f32_u32_e32 v14, v13
	v_sub_nc_u32_e32 v18, 0, v13
	s_delay_alu instid0(VALU_DEP_2) | instskip(SKIP_2) | instid1(VALU_DEP_1)
	v_rcp_iflag_f32_e32 v14, v14
	s_waitcnt_depctr 0xfff
	v_mul_f32_e32 v14, 0x4f7ffffe, v14
	v_cvt_u32_f32_e32 v14, v14
	s_delay_alu instid0(VALU_DEP_1) | instskip(NEXT) | instid1(VALU_DEP_1)
	v_mul_lo_u32 v18, v18, v14
	v_mul_hi_u32 v18, v14, v18
	s_delay_alu instid0(VALU_DEP_1) | instskip(NEXT) | instid1(VALU_DEP_1)
	v_add_nc_u32_e32 v14, v14, v18
	v_mul_hi_u32 v14, s10, v14
	s_delay_alu instid0(VALU_DEP_1) | instskip(NEXT) | instid1(VALU_DEP_1)
	v_mul_lo_u32 v18, v14, v13
	v_sub_nc_u32_e32 v18, s10, v18
	s_delay_alu instid0(VALU_DEP_1) | instskip(SKIP_1) | instid1(VALU_DEP_2)
	v_sub_nc_u32_e32 v24, v18, v13
	v_cmp_ge_u32_e32 vcc_lo, v18, v13
	v_dual_cndmask_b32 v18, v18, v24 :: v_dual_add_nc_u32 v23, 1, v14
	s_delay_alu instid0(VALU_DEP_1) | instskip(SKIP_1) | instid1(VALU_DEP_3)
	v_cndmask_b32_e32 v14, v14, v23, vcc_lo
	v_mov_b32_e32 v24, v17
	v_cmp_ge_u32_e32 vcc_lo, v18, v13
	s_delay_alu instid0(VALU_DEP_3) | instskip(NEXT) | instid1(VALU_DEP_1)
	v_add_nc_u32_e32 v23, 1, v14
	v_cndmask_b32_e32 v23, v14, v23, vcc_lo
.LBB80_8:                               ;   in Loop: Header=BB80_4 Depth=1
	s_or_b32 exec_lo, exec_lo, s2
	v_or_b32_e32 v18, s11, v16
                                        ; implicit-def: $vgpr13_vgpr14
	s_mov_b32 s2, exec_lo
	s_delay_alu instid0(VALU_DEP_1)
	v_cmpx_ne_u64_e32 0, v[17:18]
	s_xor_b32 s25, exec_lo, s2
	s_cbranch_execz .LBB80_10
; %bb.9:                                ;   in Loop: Header=BB80_4 Depth=1
	v_ashrrev_i32_e32 v18, 31, v16
	s_add_u32 s26, s10, s12
	s_mov_b32 s13, s12
	s_addc_u32 s27, s11, s12
	s_delay_alu instid0(SALU_CYCLE_1) | instskip(SKIP_2) | instid1(VALU_DEP_2)
	s_xor_b64 s[26:27], s[26:27], s[12:13]
	v_add_co_u32 v13, vcc_lo, v15, v18
	v_add_co_ci_u32_e32 v14, vcc_lo, v16, v18, vcc_lo
	v_xor_b32_e32 v30, v13, v18
	s_delay_alu instid0(VALU_DEP_2) | instskip(SKIP_1) | instid1(VALU_DEP_3)
	v_xor_b32_e32 v31, v14, v18
	v_xor_b32_e32 v18, s12, v18
	v_cvt_f32_u32_e32 v13, v30
	v_sub_co_u32 v16, vcc_lo, 0, v30
	s_delay_alu instid0(VALU_DEP_4) | instskip(SKIP_1) | instid1(VALU_DEP_2)
	v_cvt_f32_u32_e32 v14, v31
	v_sub_co_ci_u32_e32 v32, vcc_lo, 0, v31, vcc_lo
	v_fmac_f32_e32 v13, 0x4f800000, v14
	s_delay_alu instid0(VALU_DEP_1) | instskip(SKIP_2) | instid1(VALU_DEP_1)
	v_rcp_f32_e32 v13, v13
	s_waitcnt_depctr 0xfff
	v_mul_f32_e32 v13, 0x5f7ffffc, v13
	v_mul_f32_e32 v14, 0x2f800000, v13
	s_delay_alu instid0(VALU_DEP_1) | instskip(NEXT) | instid1(VALU_DEP_1)
	v_trunc_f32_e32 v14, v14
	v_fmac_f32_e32 v13, 0xcf800000, v14
	v_cvt_u32_f32_e32 v33, v14
	s_delay_alu instid0(VALU_DEP_2) | instskip(NEXT) | instid1(VALU_DEP_2)
	v_cvt_u32_f32_e32 v34, v13
	v_mul_lo_u32 v15, v16, v33
	s_delay_alu instid0(VALU_DEP_2) | instskip(SKIP_1) | instid1(VALU_DEP_1)
	v_mul_lo_u32 v26, v32, v34
	v_mad_u64_u32 v[13:14], null, v16, v34, 0
	v_add3_u32 v35, v14, v15, v26
	s_delay_alu instid0(VALU_DEP_2) | instskip(SKIP_1) | instid1(VALU_DEP_3)
	v_mul_hi_u32 v36, v34, v13
	v_mad_u64_u32 v[26:27], null, v33, v13, 0
	v_mad_u64_u32 v[14:15], null, v34, v35, 0
	v_mad_u64_u32 v[28:29], null, v33, v35, 0
	s_delay_alu instid0(VALU_DEP_2) | instskip(NEXT) | instid1(VALU_DEP_3)
	v_add_co_u32 v13, vcc_lo, v36, v14
	v_add_co_ci_u32_e32 v14, vcc_lo, 0, v15, vcc_lo
	s_delay_alu instid0(VALU_DEP_2) | instskip(NEXT) | instid1(VALU_DEP_2)
	v_add_co_u32 v13, vcc_lo, v13, v26
	v_add_co_ci_u32_e32 v13, vcc_lo, v14, v27, vcc_lo
	v_add_co_ci_u32_e32 v14, vcc_lo, 0, v29, vcc_lo
	s_delay_alu instid0(VALU_DEP_2) | instskip(NEXT) | instid1(VALU_DEP_2)
	v_add_co_u32 v13, vcc_lo, v13, v28
	v_add_co_ci_u32_e32 v14, vcc_lo, 0, v14, vcc_lo
	s_delay_alu instid0(VALU_DEP_2) | instskip(NEXT) | instid1(VALU_DEP_2)
	v_add_co_u32 v34, vcc_lo, v34, v13
	v_add_co_ci_u32_e32 v33, vcc_lo, v33, v14, vcc_lo
	s_delay_alu instid0(VALU_DEP_2) | instskip(SKIP_1) | instid1(VALU_DEP_3)
	v_mul_lo_u32 v15, v32, v34
	v_mad_u64_u32 v[13:14], null, v16, v34, 0
	v_mul_lo_u32 v16, v16, v33
	s_delay_alu instid0(VALU_DEP_2) | instskip(SKIP_1) | instid1(VALU_DEP_3)
	v_mul_hi_u32 v32, v34, v13
	v_mad_u64_u32 v[26:27], null, v33, v13, 0
	v_add3_u32 v16, v14, v16, v15
	s_delay_alu instid0(VALU_DEP_1) | instskip(SKIP_1) | instid1(VALU_DEP_2)
	v_mad_u64_u32 v[14:15], null, v34, v16, 0
	v_mad_u64_u32 v[28:29], null, v33, v16, 0
	v_add_co_u32 v13, vcc_lo, v32, v14
	s_delay_alu instid0(VALU_DEP_3) | instskip(NEXT) | instid1(VALU_DEP_2)
	v_add_co_ci_u32_e32 v14, vcc_lo, 0, v15, vcc_lo
	v_add_co_u32 v13, vcc_lo, v13, v26
	s_delay_alu instid0(VALU_DEP_2) | instskip(SKIP_1) | instid1(VALU_DEP_2)
	v_add_co_ci_u32_e32 v13, vcc_lo, v14, v27, vcc_lo
	v_add_co_ci_u32_e32 v14, vcc_lo, 0, v29, vcc_lo
	v_add_co_u32 v13, vcc_lo, v13, v28
	s_delay_alu instid0(VALU_DEP_2) | instskip(NEXT) | instid1(VALU_DEP_2)
	v_add_co_ci_u32_e32 v14, vcc_lo, 0, v14, vcc_lo
	v_add_co_u32 v26, vcc_lo, v34, v13
	s_delay_alu instid0(VALU_DEP_2) | instskip(NEXT) | instid1(VALU_DEP_2)
	v_add_co_ci_u32_e32 v28, vcc_lo, v33, v14, vcc_lo
	v_mul_hi_u32 v29, s26, v26
	v_mad_u64_u32 v[15:16], null, s27, v26, 0
	s_delay_alu instid0(VALU_DEP_3) | instskip(SKIP_1) | instid1(VALU_DEP_2)
	v_mad_u64_u32 v[13:14], null, s26, v28, 0
	v_mad_u64_u32 v[26:27], null, s27, v28, 0
	v_add_co_u32 v13, vcc_lo, v29, v13
	s_delay_alu instid0(VALU_DEP_3) | instskip(NEXT) | instid1(VALU_DEP_2)
	v_add_co_ci_u32_e32 v14, vcc_lo, 0, v14, vcc_lo
	v_add_co_u32 v13, vcc_lo, v13, v15
	s_delay_alu instid0(VALU_DEP_2) | instskip(SKIP_1) | instid1(VALU_DEP_2)
	v_add_co_ci_u32_e32 v13, vcc_lo, v14, v16, vcc_lo
	v_add_co_ci_u32_e32 v14, vcc_lo, 0, v27, vcc_lo
	v_add_co_u32 v15, vcc_lo, v13, v26
	s_delay_alu instid0(VALU_DEP_2) | instskip(NEXT) | instid1(VALU_DEP_2)
	v_add_co_ci_u32_e32 v16, vcc_lo, 0, v14, vcc_lo
	v_mul_lo_u32 v26, v31, v15
	v_mad_u64_u32 v[13:14], null, v30, v15, 0
	s_delay_alu instid0(VALU_DEP_3) | instskip(NEXT) | instid1(VALU_DEP_2)
	v_mul_lo_u32 v27, v30, v16
	v_sub_co_u32 v13, vcc_lo, s26, v13
	s_delay_alu instid0(VALU_DEP_2) | instskip(NEXT) | instid1(VALU_DEP_1)
	v_add3_u32 v14, v14, v27, v26
	v_sub_nc_u32_e32 v26, s27, v14
	s_delay_alu instid0(VALU_DEP_1) | instskip(SKIP_1) | instid1(VALU_DEP_1)
	v_sub_co_ci_u32_e64 v26, s2, v26, v31, vcc_lo
	v_add_co_u32 v27, s2, v15, 2
	v_add_co_ci_u32_e64 v28, s2, 0, v16, s2
	v_sub_co_u32 v29, s2, v13, v30
	v_sub_co_ci_u32_e32 v14, vcc_lo, s27, v14, vcc_lo
	v_subrev_co_ci_u32_e64 v26, s2, 0, v26, s2
	s_delay_alu instid0(VALU_DEP_3) | instskip(NEXT) | instid1(VALU_DEP_3)
	v_cmp_ge_u32_e32 vcc_lo, v29, v30
	v_cmp_eq_u32_e64 s2, v14, v31
	v_cndmask_b32_e64 v29, 0, -1, vcc_lo
	s_delay_alu instid0(VALU_DEP_4)
	v_cmp_ge_u32_e32 vcc_lo, v26, v31
	v_cndmask_b32_e64 v32, 0, -1, vcc_lo
	v_cmp_ge_u32_e32 vcc_lo, v13, v30
	v_cndmask_b32_e64 v13, 0, -1, vcc_lo
	;; [unrolled: 2-line block ×3, first 2 shown]
	v_cmp_eq_u32_e32 vcc_lo, v26, v31
	s_delay_alu instid0(VALU_DEP_2) | instskip(SKIP_3) | instid1(VALU_DEP_3)
	v_cndmask_b32_e64 v13, v30, v13, s2
	v_cndmask_b32_e32 v26, v32, v29, vcc_lo
	v_add_co_u32 v29, vcc_lo, v15, 1
	v_add_co_ci_u32_e32 v32, vcc_lo, 0, v16, vcc_lo
	v_cmp_ne_u32_e32 vcc_lo, 0, v26
	s_delay_alu instid0(VALU_DEP_3) | instskip(NEXT) | instid1(VALU_DEP_3)
	v_cndmask_b32_e32 v26, v29, v27, vcc_lo
	v_cndmask_b32_e32 v14, v32, v28, vcc_lo
	v_cmp_ne_u32_e32 vcc_lo, 0, v13
	s_delay_alu instid0(VALU_DEP_2) | instskip(NEXT) | instid1(VALU_DEP_4)
	v_cndmask_b32_e32 v13, v16, v14, vcc_lo
	v_cndmask_b32_e32 v14, v15, v26, vcc_lo
	s_delay_alu instid0(VALU_DEP_2) | instskip(NEXT) | instid1(VALU_DEP_2)
	v_xor_b32_e32 v15, v13, v18
	v_xor_b32_e32 v14, v14, v18
	s_delay_alu instid0(VALU_DEP_1) | instskip(NEXT) | instid1(VALU_DEP_3)
	v_sub_co_u32 v13, vcc_lo, v14, v18
	v_sub_co_ci_u32_e32 v14, vcc_lo, v15, v18, vcc_lo
                                        ; implicit-def: $vgpr15_vgpr16
.LBB80_10:                              ;   in Loop: Header=BB80_4 Depth=1
	s_and_not1_saveexec_b32 s2, s25
	s_cbranch_execz .LBB80_12
; %bb.11:                               ;   in Loop: Header=BB80_4 Depth=1
	v_cvt_f32_u32_e32 v13, v15
	v_sub_nc_u32_e32 v14, 0, v15
	s_delay_alu instid0(VALU_DEP_2) | instskip(SKIP_2) | instid1(VALU_DEP_1)
	v_rcp_iflag_f32_e32 v13, v13
	s_waitcnt_depctr 0xfff
	v_mul_f32_e32 v13, 0x4f7ffffe, v13
	v_cvt_u32_f32_e32 v13, v13
	s_delay_alu instid0(VALU_DEP_1) | instskip(NEXT) | instid1(VALU_DEP_1)
	v_mul_lo_u32 v14, v14, v13
	v_mul_hi_u32 v14, v13, v14
	s_delay_alu instid0(VALU_DEP_1) | instskip(NEXT) | instid1(VALU_DEP_1)
	v_add_nc_u32_e32 v13, v13, v14
	v_mul_hi_u32 v13, s10, v13
	s_delay_alu instid0(VALU_DEP_1) | instskip(SKIP_1) | instid1(VALU_DEP_2)
	v_mul_lo_u32 v14, v13, v15
	v_add_nc_u32_e32 v16, 1, v13
	v_sub_nc_u32_e32 v14, s10, v14
	s_delay_alu instid0(VALU_DEP_1) | instskip(SKIP_1) | instid1(VALU_DEP_2)
	v_sub_nc_u32_e32 v18, v14, v15
	v_cmp_ge_u32_e32 vcc_lo, v14, v15
	v_dual_cndmask_b32 v14, v14, v18 :: v_dual_cndmask_b32 v13, v13, v16
	s_delay_alu instid0(VALU_DEP_1) | instskip(NEXT) | instid1(VALU_DEP_2)
	v_cmp_ge_u32_e32 vcc_lo, v14, v15
	v_add_nc_u32_e32 v16, 1, v13
	v_mov_b32_e32 v14, v17
	s_delay_alu instid0(VALU_DEP_2)
	v_cndmask_b32_e32 v13, v13, v16, vcc_lo
.LBB80_12:                              ;   in Loop: Header=BB80_4 Depth=1
	s_or_b32 exec_lo, exec_lo, s2
	s_waitcnt vmcnt(2)
	v_or_b32_e32 v18, s11, v10
                                        ; implicit-def: $vgpr15_vgpr16
	s_mov_b32 s2, exec_lo
	s_delay_alu instid0(VALU_DEP_1)
	v_cmpx_ne_u64_e32 0, v[17:18]
	s_xor_b32 s25, exec_lo, s2
	s_cbranch_execz .LBB80_14
; %bb.13:                               ;   in Loop: Header=BB80_4 Depth=1
	v_ashrrev_i32_e32 v18, 31, v10
	s_add_u32 s26, s10, s12
	s_mov_b32 s13, s12
	s_addc_u32 s27, s11, s12
	s_delay_alu instid0(SALU_CYCLE_1) | instskip(SKIP_2) | instid1(VALU_DEP_2)
	s_xor_b64 s[26:27], s[26:27], s[12:13]
	v_add_co_u32 v9, vcc_lo, v9, v18
	v_add_co_ci_u32_e32 v10, vcc_lo, v10, v18, vcc_lo
	v_xor_b32_e32 v28, v9, v18
	s_delay_alu instid0(VALU_DEP_2) | instskip(NEXT) | instid1(VALU_DEP_2)
	v_xor_b32_e32 v29, v10, v18
	v_cvt_f32_u32_e32 v9, v28
	v_sub_co_u32 v30, vcc_lo, 0, v28
	s_delay_alu instid0(VALU_DEP_3) | instskip(SKIP_1) | instid1(VALU_DEP_2)
	v_cvt_f32_u32_e32 v10, v29
	v_sub_co_ci_u32_e32 v31, vcc_lo, 0, v29, vcc_lo
	v_fmac_f32_e32 v9, 0x4f800000, v10
	s_delay_alu instid0(VALU_DEP_1) | instskip(SKIP_2) | instid1(VALU_DEP_1)
	v_rcp_f32_e32 v9, v9
	s_waitcnt_depctr 0xfff
	v_mul_f32_e32 v9, 0x5f7ffffc, v9
	v_mul_f32_e32 v10, 0x2f800000, v9
	s_delay_alu instid0(VALU_DEP_1) | instskip(NEXT) | instid1(VALU_DEP_1)
	v_trunc_f32_e32 v10, v10
	v_fmac_f32_e32 v9, 0xcf800000, v10
	v_cvt_u32_f32_e32 v32, v10
	s_delay_alu instid0(VALU_DEP_2) | instskip(NEXT) | instid1(VALU_DEP_2)
	v_cvt_u32_f32_e32 v33, v9
	v_mul_lo_u32 v15, v30, v32
	s_delay_alu instid0(VALU_DEP_2) | instskip(SKIP_1) | instid1(VALU_DEP_1)
	v_mul_lo_u32 v16, v31, v33
	v_mad_u64_u32 v[9:10], null, v30, v33, 0
	v_add3_u32 v34, v10, v15, v16
	s_delay_alu instid0(VALU_DEP_2) | instskip(SKIP_1) | instid1(VALU_DEP_3)
	v_mul_hi_u32 v35, v33, v9
	v_mad_u64_u32 v[26:27], null, v32, v9, 0
	v_mad_u64_u32 v[15:16], null, v33, v34, 0
	;; [unrolled: 1-line block ×3, first 2 shown]
	s_delay_alu instid0(VALU_DEP_2) | instskip(NEXT) | instid1(VALU_DEP_3)
	v_add_co_u32 v15, vcc_lo, v35, v15
	v_add_co_ci_u32_e32 v16, vcc_lo, 0, v16, vcc_lo
	s_delay_alu instid0(VALU_DEP_2) | instskip(NEXT) | instid1(VALU_DEP_2)
	v_add_co_u32 v15, vcc_lo, v15, v26
	v_add_co_ci_u32_e32 v15, vcc_lo, v16, v27, vcc_lo
	v_add_co_ci_u32_e32 v10, vcc_lo, 0, v10, vcc_lo
	s_delay_alu instid0(VALU_DEP_2) | instskip(NEXT) | instid1(VALU_DEP_2)
	v_add_co_u32 v9, vcc_lo, v15, v9
	v_add_co_ci_u32_e32 v10, vcc_lo, 0, v10, vcc_lo
	s_delay_alu instid0(VALU_DEP_2) | instskip(NEXT) | instid1(VALU_DEP_2)
	v_add_co_u32 v33, vcc_lo, v33, v9
	v_add_co_ci_u32_e32 v32, vcc_lo, v32, v10, vcc_lo
	s_delay_alu instid0(VALU_DEP_2) | instskip(SKIP_1) | instid1(VALU_DEP_3)
	v_mul_lo_u32 v15, v31, v33
	v_mad_u64_u32 v[9:10], null, v30, v33, 0
	v_mul_lo_u32 v16, v30, v32
	s_delay_alu instid0(VALU_DEP_2) | instskip(SKIP_1) | instid1(VALU_DEP_3)
	v_mul_hi_u32 v31, v33, v9
	v_mad_u64_u32 v[26:27], null, v32, v9, 0
	v_add3_u32 v30, v10, v16, v15
	s_delay_alu instid0(VALU_DEP_1) | instskip(SKIP_1) | instid1(VALU_DEP_2)
	v_mad_u64_u32 v[15:16], null, v33, v30, 0
	v_mad_u64_u32 v[9:10], null, v32, v30, 0
	v_add_co_u32 v15, vcc_lo, v31, v15
	s_delay_alu instid0(VALU_DEP_3) | instskip(NEXT) | instid1(VALU_DEP_2)
	v_add_co_ci_u32_e32 v16, vcc_lo, 0, v16, vcc_lo
	v_add_co_u32 v15, vcc_lo, v15, v26
	s_delay_alu instid0(VALU_DEP_2) | instskip(SKIP_1) | instid1(VALU_DEP_2)
	v_add_co_ci_u32_e32 v15, vcc_lo, v16, v27, vcc_lo
	v_add_co_ci_u32_e32 v10, vcc_lo, 0, v10, vcc_lo
	v_add_co_u32 v9, vcc_lo, v15, v9
	s_delay_alu instid0(VALU_DEP_2) | instskip(NEXT) | instid1(VALU_DEP_2)
	v_add_co_ci_u32_e32 v10, vcc_lo, 0, v10, vcc_lo
	v_add_co_u32 v26, vcc_lo, v33, v9
	s_delay_alu instid0(VALU_DEP_2) | instskip(NEXT) | instid1(VALU_DEP_2)
	v_add_co_ci_u32_e32 v30, vcc_lo, v32, v10, vcc_lo
	v_mul_hi_u32 v31, s26, v26
	v_mad_u64_u32 v[15:16], null, s27, v26, 0
	s_delay_alu instid0(VALU_DEP_3) | instskip(SKIP_1) | instid1(VALU_DEP_2)
	v_mad_u64_u32 v[9:10], null, s26, v30, 0
	v_mad_u64_u32 v[26:27], null, s27, v30, 0
	v_add_co_u32 v9, vcc_lo, v31, v9
	s_delay_alu instid0(VALU_DEP_3) | instskip(NEXT) | instid1(VALU_DEP_2)
	v_add_co_ci_u32_e32 v10, vcc_lo, 0, v10, vcc_lo
	v_add_co_u32 v9, vcc_lo, v9, v15
	s_delay_alu instid0(VALU_DEP_2) | instskip(SKIP_1) | instid1(VALU_DEP_2)
	v_add_co_ci_u32_e32 v9, vcc_lo, v10, v16, vcc_lo
	v_add_co_ci_u32_e32 v10, vcc_lo, 0, v27, vcc_lo
	v_add_co_u32 v15, vcc_lo, v9, v26
	s_delay_alu instid0(VALU_DEP_2) | instskip(NEXT) | instid1(VALU_DEP_2)
	v_add_co_ci_u32_e32 v16, vcc_lo, 0, v10, vcc_lo
	v_mul_lo_u32 v26, v29, v15
	v_mad_u64_u32 v[9:10], null, v28, v15, 0
	s_delay_alu instid0(VALU_DEP_3) | instskip(NEXT) | instid1(VALU_DEP_2)
	v_mul_lo_u32 v27, v28, v16
	v_sub_co_u32 v9, vcc_lo, s26, v9
	s_delay_alu instid0(VALU_DEP_2) | instskip(NEXT) | instid1(VALU_DEP_1)
	v_add3_u32 v10, v10, v27, v26
	v_sub_nc_u32_e32 v26, s27, v10
	s_delay_alu instid0(VALU_DEP_1) | instskip(SKIP_1) | instid1(VALU_DEP_1)
	v_sub_co_ci_u32_e64 v26, s2, v26, v29, vcc_lo
	v_add_co_u32 v27, s2, v15, 2
	v_add_co_ci_u32_e64 v30, s2, 0, v16, s2
	v_sub_co_u32 v31, s2, v9, v28
	v_sub_co_ci_u32_e32 v10, vcc_lo, s27, v10, vcc_lo
	v_subrev_co_ci_u32_e64 v26, s2, 0, v26, s2
	s_delay_alu instid0(VALU_DEP_3) | instskip(NEXT) | instid1(VALU_DEP_3)
	v_cmp_ge_u32_e32 vcc_lo, v31, v28
	v_cmp_eq_u32_e64 s2, v10, v29
	v_cndmask_b32_e64 v31, 0, -1, vcc_lo
	s_delay_alu instid0(VALU_DEP_4)
	v_cmp_ge_u32_e32 vcc_lo, v26, v29
	v_cndmask_b32_e64 v32, 0, -1, vcc_lo
	v_cmp_ge_u32_e32 vcc_lo, v9, v28
	v_cndmask_b32_e64 v9, 0, -1, vcc_lo
	;; [unrolled: 2-line block ×3, first 2 shown]
	v_cmp_eq_u32_e32 vcc_lo, v26, v29
	s_delay_alu instid0(VALU_DEP_2) | instskip(SKIP_3) | instid1(VALU_DEP_3)
	v_cndmask_b32_e64 v9, v28, v9, s2
	v_cndmask_b32_e32 v26, v32, v31, vcc_lo
	v_add_co_u32 v31, vcc_lo, v15, 1
	v_add_co_ci_u32_e32 v32, vcc_lo, 0, v16, vcc_lo
	v_cmp_ne_u32_e32 vcc_lo, 0, v26
	s_delay_alu instid0(VALU_DEP_3) | instskip(NEXT) | instid1(VALU_DEP_3)
	v_cndmask_b32_e32 v26, v31, v27, vcc_lo
	v_cndmask_b32_e32 v10, v32, v30, vcc_lo
	v_cmp_ne_u32_e32 vcc_lo, 0, v9
	v_xor_b32_e32 v9, s12, v18
	s_delay_alu instid0(VALU_DEP_4) | instskip(NEXT) | instid1(VALU_DEP_4)
	v_cndmask_b32_e32 v15, v15, v26, vcc_lo
	v_cndmask_b32_e32 v10, v16, v10, vcc_lo
	s_delay_alu instid0(VALU_DEP_2) | instskip(NEXT) | instid1(VALU_DEP_2)
	v_xor_b32_e32 v15, v15, v9
	v_xor_b32_e32 v10, v10, v9
	s_delay_alu instid0(VALU_DEP_2) | instskip(NEXT) | instid1(VALU_DEP_2)
	v_sub_co_u32 v15, vcc_lo, v15, v9
	v_sub_co_ci_u32_e32 v16, vcc_lo, v10, v9, vcc_lo
.LBB80_14:                              ;   in Loop: Header=BB80_4 Depth=1
	s_and_not1_saveexec_b32 s2, s25
	s_cbranch_execz .LBB80_16
; %bb.15:                               ;   in Loop: Header=BB80_4 Depth=1
	v_cvt_f32_u32_e32 v10, v9
	v_sub_nc_u32_e32 v15, 0, v9
	s_delay_alu instid0(VALU_DEP_2) | instskip(SKIP_2) | instid1(VALU_DEP_1)
	v_rcp_iflag_f32_e32 v10, v10
	s_waitcnt_depctr 0xfff
	v_mul_f32_e32 v10, 0x4f7ffffe, v10
	v_cvt_u32_f32_e32 v10, v10
	s_delay_alu instid0(VALU_DEP_1) | instskip(NEXT) | instid1(VALU_DEP_1)
	v_mul_lo_u32 v15, v15, v10
	v_mul_hi_u32 v15, v10, v15
	s_delay_alu instid0(VALU_DEP_1) | instskip(NEXT) | instid1(VALU_DEP_1)
	v_add_nc_u32_e32 v10, v10, v15
	v_mul_hi_u32 v10, s10, v10
	s_delay_alu instid0(VALU_DEP_1) | instskip(SKIP_1) | instid1(VALU_DEP_2)
	v_mul_lo_u32 v15, v10, v9
	v_add_nc_u32_e32 v16, 1, v10
	v_sub_nc_u32_e32 v15, s10, v15
	s_delay_alu instid0(VALU_DEP_1) | instskip(SKIP_1) | instid1(VALU_DEP_2)
	v_sub_nc_u32_e32 v18, v15, v9
	v_cmp_ge_u32_e32 vcc_lo, v15, v9
	v_dual_cndmask_b32 v15, v15, v18 :: v_dual_cndmask_b32 v10, v10, v16
	s_delay_alu instid0(VALU_DEP_1) | instskip(NEXT) | instid1(VALU_DEP_2)
	v_cmp_ge_u32_e32 vcc_lo, v15, v9
	v_add_nc_u32_e32 v16, 1, v10
	s_delay_alu instid0(VALU_DEP_1)
	v_dual_cndmask_b32 v15, v10, v16 :: v_dual_mov_b32 v16, v17
.LBB80_16:                              ;   in Loop: Header=BB80_4 Depth=1
	s_or_b32 exec_lo, exec_lo, s2
	v_or_b32_e32 v18, s11, v12
                                        ; implicit-def: $vgpr9_vgpr10
	s_mov_b32 s2, exec_lo
	s_delay_alu instid0(VALU_DEP_1)
	v_cmpx_ne_u64_e32 0, v[17:18]
	s_xor_b32 s25, exec_lo, s2
	s_cbranch_execz .LBB80_18
; %bb.17:                               ;   in Loop: Header=BB80_4 Depth=1
	v_ashrrev_i32_e32 v18, 31, v12
	s_add_u32 s26, s10, s12
	s_mov_b32 s13, s12
	s_addc_u32 s27, s11, s12
	s_delay_alu instid0(SALU_CYCLE_1) | instskip(SKIP_2) | instid1(VALU_DEP_2)
	s_xor_b64 s[26:27], s[26:27], s[12:13]
	v_add_co_u32 v9, vcc_lo, v11, v18
	v_add_co_ci_u32_e32 v10, vcc_lo, v12, v18, vcc_lo
	v_xor_b32_e32 v30, v9, v18
	s_delay_alu instid0(VALU_DEP_2) | instskip(SKIP_1) | instid1(VALU_DEP_3)
	v_xor_b32_e32 v31, v10, v18
	v_xor_b32_e32 v18, s12, v18
	v_cvt_f32_u32_e32 v9, v30
	v_sub_co_u32 v12, vcc_lo, 0, v30
	s_delay_alu instid0(VALU_DEP_4) | instskip(SKIP_1) | instid1(VALU_DEP_2)
	v_cvt_f32_u32_e32 v10, v31
	v_sub_co_ci_u32_e32 v32, vcc_lo, 0, v31, vcc_lo
	v_fmac_f32_e32 v9, 0x4f800000, v10
	s_delay_alu instid0(VALU_DEP_1) | instskip(SKIP_2) | instid1(VALU_DEP_1)
	v_rcp_f32_e32 v9, v9
	s_waitcnt_depctr 0xfff
	v_mul_f32_e32 v9, 0x5f7ffffc, v9
	v_mul_f32_e32 v10, 0x2f800000, v9
	s_delay_alu instid0(VALU_DEP_1) | instskip(NEXT) | instid1(VALU_DEP_1)
	v_trunc_f32_e32 v10, v10
	v_fmac_f32_e32 v9, 0xcf800000, v10
	v_cvt_u32_f32_e32 v33, v10
	s_delay_alu instid0(VALU_DEP_2) | instskip(NEXT) | instid1(VALU_DEP_2)
	v_cvt_u32_f32_e32 v34, v9
	v_mul_lo_u32 v11, v12, v33
	s_delay_alu instid0(VALU_DEP_2) | instskip(SKIP_1) | instid1(VALU_DEP_1)
	v_mul_lo_u32 v26, v32, v34
	v_mad_u64_u32 v[9:10], null, v12, v34, 0
	v_add3_u32 v35, v10, v11, v26
	s_delay_alu instid0(VALU_DEP_2) | instskip(SKIP_1) | instid1(VALU_DEP_3)
	v_mul_hi_u32 v36, v34, v9
	v_mad_u64_u32 v[26:27], null, v33, v9, 0
	v_mad_u64_u32 v[10:11], null, v34, v35, 0
	;; [unrolled: 1-line block ×3, first 2 shown]
	s_delay_alu instid0(VALU_DEP_2) | instskip(NEXT) | instid1(VALU_DEP_3)
	v_add_co_u32 v9, vcc_lo, v36, v10
	v_add_co_ci_u32_e32 v10, vcc_lo, 0, v11, vcc_lo
	s_delay_alu instid0(VALU_DEP_2) | instskip(NEXT) | instid1(VALU_DEP_2)
	v_add_co_u32 v9, vcc_lo, v9, v26
	v_add_co_ci_u32_e32 v9, vcc_lo, v10, v27, vcc_lo
	v_add_co_ci_u32_e32 v10, vcc_lo, 0, v29, vcc_lo
	s_delay_alu instid0(VALU_DEP_2) | instskip(NEXT) | instid1(VALU_DEP_2)
	v_add_co_u32 v9, vcc_lo, v9, v28
	v_add_co_ci_u32_e32 v10, vcc_lo, 0, v10, vcc_lo
	s_delay_alu instid0(VALU_DEP_2) | instskip(NEXT) | instid1(VALU_DEP_2)
	v_add_co_u32 v34, vcc_lo, v34, v9
	v_add_co_ci_u32_e32 v33, vcc_lo, v33, v10, vcc_lo
	s_delay_alu instid0(VALU_DEP_2) | instskip(SKIP_1) | instid1(VALU_DEP_3)
	v_mul_lo_u32 v11, v32, v34
	v_mad_u64_u32 v[9:10], null, v12, v34, 0
	v_mul_lo_u32 v12, v12, v33
	s_delay_alu instid0(VALU_DEP_2) | instskip(SKIP_1) | instid1(VALU_DEP_3)
	v_mul_hi_u32 v32, v34, v9
	v_mad_u64_u32 v[26:27], null, v33, v9, 0
	v_add3_u32 v12, v10, v12, v11
	s_delay_alu instid0(VALU_DEP_1) | instskip(SKIP_1) | instid1(VALU_DEP_2)
	v_mad_u64_u32 v[10:11], null, v34, v12, 0
	v_mad_u64_u32 v[28:29], null, v33, v12, 0
	v_add_co_u32 v9, vcc_lo, v32, v10
	s_delay_alu instid0(VALU_DEP_3) | instskip(NEXT) | instid1(VALU_DEP_2)
	v_add_co_ci_u32_e32 v10, vcc_lo, 0, v11, vcc_lo
	v_add_co_u32 v9, vcc_lo, v9, v26
	s_delay_alu instid0(VALU_DEP_2) | instskip(SKIP_1) | instid1(VALU_DEP_2)
	v_add_co_ci_u32_e32 v9, vcc_lo, v10, v27, vcc_lo
	v_add_co_ci_u32_e32 v10, vcc_lo, 0, v29, vcc_lo
	v_add_co_u32 v9, vcc_lo, v9, v28
	s_delay_alu instid0(VALU_DEP_2) | instskip(NEXT) | instid1(VALU_DEP_2)
	v_add_co_ci_u32_e32 v10, vcc_lo, 0, v10, vcc_lo
	v_add_co_u32 v26, vcc_lo, v34, v9
	s_delay_alu instid0(VALU_DEP_2) | instskip(NEXT) | instid1(VALU_DEP_2)
	v_add_co_ci_u32_e32 v28, vcc_lo, v33, v10, vcc_lo
	v_mul_hi_u32 v29, s26, v26
	v_mad_u64_u32 v[11:12], null, s27, v26, 0
	s_delay_alu instid0(VALU_DEP_3) | instskip(SKIP_1) | instid1(VALU_DEP_2)
	v_mad_u64_u32 v[9:10], null, s26, v28, 0
	v_mad_u64_u32 v[26:27], null, s27, v28, 0
	v_add_co_u32 v9, vcc_lo, v29, v9
	s_delay_alu instid0(VALU_DEP_3) | instskip(NEXT) | instid1(VALU_DEP_2)
	v_add_co_ci_u32_e32 v10, vcc_lo, 0, v10, vcc_lo
	v_add_co_u32 v9, vcc_lo, v9, v11
	s_delay_alu instid0(VALU_DEP_2) | instskip(SKIP_1) | instid1(VALU_DEP_2)
	v_add_co_ci_u32_e32 v9, vcc_lo, v10, v12, vcc_lo
	v_add_co_ci_u32_e32 v10, vcc_lo, 0, v27, vcc_lo
	v_add_co_u32 v11, vcc_lo, v9, v26
	s_delay_alu instid0(VALU_DEP_2) | instskip(NEXT) | instid1(VALU_DEP_2)
	v_add_co_ci_u32_e32 v12, vcc_lo, 0, v10, vcc_lo
	v_mul_lo_u32 v26, v31, v11
	v_mad_u64_u32 v[9:10], null, v30, v11, 0
	s_delay_alu instid0(VALU_DEP_3) | instskip(NEXT) | instid1(VALU_DEP_2)
	v_mul_lo_u32 v27, v30, v12
	v_sub_co_u32 v9, vcc_lo, s26, v9
	s_delay_alu instid0(VALU_DEP_2) | instskip(NEXT) | instid1(VALU_DEP_1)
	v_add3_u32 v10, v10, v27, v26
	v_sub_nc_u32_e32 v26, s27, v10
	s_delay_alu instid0(VALU_DEP_1) | instskip(SKIP_1) | instid1(VALU_DEP_1)
	v_sub_co_ci_u32_e64 v26, s2, v26, v31, vcc_lo
	v_add_co_u32 v27, s2, v11, 2
	v_add_co_ci_u32_e64 v28, s2, 0, v12, s2
	v_sub_co_u32 v29, s2, v9, v30
	v_sub_co_ci_u32_e32 v10, vcc_lo, s27, v10, vcc_lo
	v_subrev_co_ci_u32_e64 v26, s2, 0, v26, s2
	s_delay_alu instid0(VALU_DEP_3) | instskip(NEXT) | instid1(VALU_DEP_3)
	v_cmp_ge_u32_e32 vcc_lo, v29, v30
	v_cmp_eq_u32_e64 s2, v10, v31
	v_cndmask_b32_e64 v29, 0, -1, vcc_lo
	s_delay_alu instid0(VALU_DEP_4)
	v_cmp_ge_u32_e32 vcc_lo, v26, v31
	v_cndmask_b32_e64 v32, 0, -1, vcc_lo
	v_cmp_ge_u32_e32 vcc_lo, v9, v30
	v_cndmask_b32_e64 v9, 0, -1, vcc_lo
	;; [unrolled: 2-line block ×3, first 2 shown]
	v_cmp_eq_u32_e32 vcc_lo, v26, v31
	s_delay_alu instid0(VALU_DEP_2) | instskip(SKIP_3) | instid1(VALU_DEP_3)
	v_cndmask_b32_e64 v9, v30, v9, s2
	v_cndmask_b32_e32 v26, v32, v29, vcc_lo
	v_add_co_u32 v29, vcc_lo, v11, 1
	v_add_co_ci_u32_e32 v32, vcc_lo, 0, v12, vcc_lo
	v_cmp_ne_u32_e32 vcc_lo, 0, v26
	s_delay_alu instid0(VALU_DEP_3) | instskip(NEXT) | instid1(VALU_DEP_3)
	v_cndmask_b32_e32 v26, v29, v27, vcc_lo
	v_cndmask_b32_e32 v10, v32, v28, vcc_lo
	v_cmp_ne_u32_e32 vcc_lo, 0, v9
	s_delay_alu instid0(VALU_DEP_2) | instskip(NEXT) | instid1(VALU_DEP_4)
	v_cndmask_b32_e32 v9, v12, v10, vcc_lo
	v_cndmask_b32_e32 v10, v11, v26, vcc_lo
	s_delay_alu instid0(VALU_DEP_2) | instskip(NEXT) | instid1(VALU_DEP_2)
	v_xor_b32_e32 v11, v9, v18
	v_xor_b32_e32 v10, v10, v18
	s_delay_alu instid0(VALU_DEP_1) | instskip(NEXT) | instid1(VALU_DEP_3)
	v_sub_co_u32 v9, vcc_lo, v10, v18
	v_sub_co_ci_u32_e32 v10, vcc_lo, v11, v18, vcc_lo
                                        ; implicit-def: $vgpr11_vgpr12
.LBB80_18:                              ;   in Loop: Header=BB80_4 Depth=1
	s_and_not1_saveexec_b32 s2, s25
	s_cbranch_execz .LBB80_3
; %bb.19:                               ;   in Loop: Header=BB80_4 Depth=1
	v_cvt_f32_u32_e32 v9, v11
	v_sub_nc_u32_e32 v10, 0, v11
	s_delay_alu instid0(VALU_DEP_2) | instskip(SKIP_2) | instid1(VALU_DEP_1)
	v_rcp_iflag_f32_e32 v9, v9
	s_waitcnt_depctr 0xfff
	v_mul_f32_e32 v9, 0x4f7ffffe, v9
	v_cvt_u32_f32_e32 v9, v9
	s_delay_alu instid0(VALU_DEP_1) | instskip(NEXT) | instid1(VALU_DEP_1)
	v_mul_lo_u32 v10, v10, v9
	v_mul_hi_u32 v10, v9, v10
	s_delay_alu instid0(VALU_DEP_1) | instskip(NEXT) | instid1(VALU_DEP_1)
	v_add_nc_u32_e32 v9, v9, v10
	v_mul_hi_u32 v9, s10, v9
	s_delay_alu instid0(VALU_DEP_1) | instskip(SKIP_1) | instid1(VALU_DEP_2)
	v_mul_lo_u32 v10, v9, v11
	v_add_nc_u32_e32 v12, 1, v9
	v_sub_nc_u32_e32 v10, s10, v10
	s_delay_alu instid0(VALU_DEP_1) | instskip(SKIP_1) | instid1(VALU_DEP_2)
	v_sub_nc_u32_e32 v18, v10, v11
	v_cmp_ge_u32_e32 vcc_lo, v10, v11
	v_dual_cndmask_b32 v10, v10, v18 :: v_dual_cndmask_b32 v9, v9, v12
	s_delay_alu instid0(VALU_DEP_1) | instskip(NEXT) | instid1(VALU_DEP_2)
	v_cmp_ge_u32_e32 vcc_lo, v10, v11
	v_add_nc_u32_e32 v12, 1, v9
	v_mov_b32_e32 v10, v17
	s_delay_alu instid0(VALU_DEP_2)
	v_cndmask_b32_e32 v9, v9, v12, vcc_lo
	s_branch .LBB80_3
.LBB80_20:
	s_or_b32 exec_lo, exec_lo, s21
	s_mov_b32 s2, 0
.LBB80_21:
	s_delay_alu instid0(SALU_CYCLE_1)
	s_and_not1_b32 vcc_lo, exec_lo, s2
	s_cbranch_vccnz .LBB80_57
; %bb.22:
	v_cmp_lt_i64_e64 s2, s[8:9], 1
	s_delay_alu instid0(VALU_DEP_1)
	s_and_b32 vcc_lo, exec_lo, s2
	s_cbranch_vccnz .LBB80_57
; %bb.23:
	s_load_b32 s0, s[0:1], 0xc64
	v_dual_mov_b32 v2, 0 :: v_dual_lshlrev_b32 v3, 3, v0
	v_cmp_gt_u64_e64 s2, 0x10000, s[8:9]
	s_mov_b32 s3, 0
	s_delay_alu instid0(VALU_DEP_2) | instskip(NEXT) | instid1(VALU_DEP_3)
	v_mov_b32_e32 v4, v2
	v_add_co_u32 v28, s1, s14, v3
	s_delay_alu instid0(VALU_DEP_1) | instskip(SKIP_1) | instid1(VALU_DEP_1)
	v_add_co_ci_u32_e64 v29, null, s15, 0, s1
	v_add_co_u32 v30, s1, s16, v3
	v_add_co_ci_u32_e64 v31, null, s17, 0, s1
	v_mov_b32_e32 v1, v2
	s_waitcnt lgkmcnt(0)
	s_and_b32 s1, s0, 0xffff
	s_and_b32 s0, s2, exec_lo
	v_mad_u64_u32 v[5:6], null, s1, 24, v[3:4]
	s_cselect_b32 s13, s9, 0
	s_cselect_b32 s12, s8, 0x10000
	s_lshl_b32 s0, s1, 4
	s_lshl_b32 s2, s1, 2
	v_add_co_u32 v3, s0, s0, v3
	s_delay_alu instid0(VALU_DEP_2) | instskip(NEXT) | instid1(VALU_DEP_3)
	v_add_co_u32 v32, vcc_lo, s14, v5
	v_add_co_ci_u32_e32 v33, vcc_lo, s15, v6, vcc_lo
	v_add_co_u32 v34, vcc_lo, s16, v5
	v_add_lshl_u32 v5, v0, s1, 3
	v_add_co_ci_u32_e64 v4, null, 0, 0, s0
	v_add_co_ci_u32_e32 v35, vcc_lo, s17, v6, vcc_lo
	v_add_co_u32 v36, vcc_lo, s14, v3
	s_delay_alu instid0(VALU_DEP_4) | instskip(NEXT) | instid1(VALU_DEP_4)
	v_add_co_u32 v40, s0, s14, v5
	v_add_co_ci_u32_e32 v37, vcc_lo, s15, v4, vcc_lo
	v_add_co_u32 v38, vcc_lo, s16, v3
	v_add_co_ci_u32_e64 v41, null, s15, 0, s0
	v_add_co_u32 v42, s0, s16, v5
	v_add_co_ci_u32_e32 v39, vcc_lo, s17, v4, vcc_lo
	v_add_co_ci_u32_e64 v43, null, s17, 0, s0
	s_lshl_b32 s18, s1, 1
	s_mul_i32 s19, s1, 3
	s_lshl_b32 s20, s1, 5
	s_ashr_i32 s14, s11, 31
	s_mov_b64 s[16:17], s[2:3]
	s_branch .LBB80_25
.LBB80_24:                              ;   in Loop: Header=BB80_25 Depth=1
	s_or_b32 exec_lo, exec_lo, s0
	v_add_co_u32 v28, vcc_lo, v28, s20
	v_add_co_ci_u32_e32 v29, vcc_lo, 0, v29, vcc_lo
	v_add_co_u32 v30, vcc_lo, v30, s20
	v_add_co_ci_u32_e32 v31, vcc_lo, 0, v31, vcc_lo
	;; [unrolled: 2-line block ×7, first 2 shown]
	v_cmp_ge_i64_e64 s0, s[16:17], s[8:9]
	v_cmp_lt_u64_e64 s3, 0xffff, s[16:17]
	v_add_co_u32 v40, vcc_lo, v40, s20
	v_add_co_ci_u32_e32 v41, vcc_lo, 0, v41, vcc_lo
	v_add_co_u32 v42, vcc_lo, v42, s20
	v_add_co_ci_u32_e32 v43, vcc_lo, 0, v43, vcc_lo
	s_or_b32 s0, s0, s3
	s_add_u32 s16, s16, s2
	s_addc_u32 s17, s17, 0
	s_and_b32 vcc_lo, exec_lo, s0
	s_cbranch_vccnz .LBB80_57
.LBB80_25:                              ; =>This Inner Loop Header: Depth=1
	v_mov_b32_e32 v24, 0
	v_mov_b32_e32 v25, 0
	v_cmp_gt_i64_e32 vcc_lo, s[8:9], v[0:1]
	v_cmp_gt_u64_e64 s0, 0x10000, v[0:1]
	s_delay_alu instid0(VALU_DEP_4) | instskip(NEXT) | instid1(VALU_DEP_4)
	v_mov_b32_e32 v18, v24
	v_dual_mov_b32 v4, v24 :: v_dual_mov_b32 v5, v25
	v_mov_b32_e32 v19, v25
	s_delay_alu instid0(VALU_DEP_4) | instskip(NEXT) | instid1(SALU_CYCLE_1)
	s_and_b32 s3, vcc_lo, s0
	s_and_saveexec_b32 s0, s3
	s_cbranch_execz .LBB80_27
; %bb.26:                               ;   in Loop: Header=BB80_25 Depth=1
	v_add_co_u32 v3, vcc_lo, v28, s4
	v_add_co_ci_u32_e32 v4, vcc_lo, s5, v29, vcc_lo
	v_add_co_u32 v6, vcc_lo, v30, s4
	v_add_co_ci_u32_e32 v7, vcc_lo, s5, v31, vcc_lo
	global_load_b64 v[4:5], v[3:4], off
	global_load_b64 v[18:19], v[6:7], off
.LBB80_27:                              ;   in Loop: Header=BB80_25 Depth=1
	s_or_b32 exec_lo, exec_lo, s0
	v_add_co_u32 v6, vcc_lo, s1, v0
	v_add_co_ci_u32_e32 v7, vcc_lo, 0, v1, vcc_lo
	v_dual_mov_b32 v8, v24 :: v_dual_mov_b32 v9, v25
	s_delay_alu instid0(VALU_DEP_2) | instskip(SKIP_1) | instid1(VALU_DEP_1)
	v_cmp_gt_i64_e32 vcc_lo, s[8:9], v[6:7]
	v_cmp_gt_u64_e64 s0, 0x10000, v[6:7]
	s_and_b32 s3, vcc_lo, s0
	s_delay_alu instid0(SALU_CYCLE_1)
	s_and_saveexec_b32 s0, s3
	s_cbranch_execz .LBB80_29
; %bb.28:                               ;   in Loop: Header=BB80_25 Depth=1
	v_add_co_u32 v8, vcc_lo, v40, s4
	v_add_co_ci_u32_e32 v9, vcc_lo, s5, v41, vcc_lo
	v_add_co_u32 v10, vcc_lo, v42, s4
	v_add_co_ci_u32_e32 v11, vcc_lo, s5, v43, vcc_lo
	global_load_b64 v[8:9], v[8:9], off
	global_load_b64 v[24:25], v[10:11], off
.LBB80_29:                              ;   in Loop: Header=BB80_25 Depth=1
	s_or_b32 exec_lo, exec_lo, s0
	v_add_co_u32 v10, vcc_lo, s18, v0
	v_add_co_ci_u32_e32 v11, vcc_lo, 0, v1, vcc_lo
	v_mov_b32_e32 v22, 0
	v_mov_b32_e32 v23, 0
	s_delay_alu instid0(VALU_DEP_2) | instskip(NEXT) | instid1(VALU_DEP_4)
	v_mov_b32_e32 v12, v22
	v_cmp_gt_i64_e32 vcc_lo, s[8:9], v[10:11]
	v_cmp_gt_u64_e64 s0, 0x10000, v[10:11]
	s_delay_alu instid0(VALU_DEP_4) | instskip(SKIP_1) | instid1(VALU_DEP_3)
	v_mov_b32_e32 v13, v23
	v_dual_mov_b32 v27, v23 :: v_dual_mov_b32 v26, v22
	s_and_b32 s3, vcc_lo, s0
	s_delay_alu instid0(SALU_CYCLE_1)
	s_and_saveexec_b32 s0, s3
	s_cbranch_execz .LBB80_31
; %bb.30:                               ;   in Loop: Header=BB80_25 Depth=1
	v_add_co_u32 v12, vcc_lo, v36, s4
	v_add_co_ci_u32_e32 v13, vcc_lo, s5, v37, vcc_lo
	v_add_co_u32 v14, vcc_lo, v38, s4
	v_add_co_ci_u32_e32 v15, vcc_lo, s5, v39, vcc_lo
	global_load_b64 v[12:13], v[12:13], off
	global_load_b64 v[26:27], v[14:15], off
.LBB80_31:                              ;   in Loop: Header=BB80_25 Depth=1
	s_or_b32 exec_lo, exec_lo, s0
	v_add_co_u32 v14, vcc_lo, s19, v0
	v_add_co_ci_u32_e32 v15, vcc_lo, 0, v1, vcc_lo
	v_dual_mov_b32 v16, v22 :: v_dual_mov_b32 v17, v23
	s_delay_alu instid0(VALU_DEP_2) | instskip(SKIP_1) | instid1(VALU_DEP_1)
	v_cmp_gt_i64_e32 vcc_lo, s[8:9], v[14:15]
	v_cmp_gt_u64_e64 s0, 0x10000, v[14:15]
	s_and_b32 s3, vcc_lo, s0
	s_delay_alu instid0(SALU_CYCLE_1)
	s_and_saveexec_b32 s0, s3
	s_cbranch_execz .LBB80_33
; %bb.32:                               ;   in Loop: Header=BB80_25 Depth=1
	v_add_co_u32 v16, vcc_lo, v32, s4
	v_add_co_ci_u32_e32 v17, vcc_lo, s5, v33, vcc_lo
	v_add_co_u32 v20, vcc_lo, v34, s4
	v_add_co_ci_u32_e32 v21, vcc_lo, s5, v35, vcc_lo
	global_load_b64 v[16:17], v[16:17], off
	global_load_b64 v[22:23], v[20:21], off
.LBB80_33:                              ;   in Loop: Header=BB80_25 Depth=1
	s_or_b32 exec_lo, exec_lo, s0
	s_waitcnt vmcnt(0)
	v_or_b32_e32 v3, s11, v25
                                        ; implicit-def: $vgpr20_vgpr21
	s_mov_b32 s0, exec_lo
	s_delay_alu instid0(VALU_DEP_1)
	v_cmpx_ne_u64_e32 0, v[2:3]
	s_xor_b32 s3, exec_lo, s0
	s_cbranch_execz .LBB80_35
; %bb.34:                               ;   in Loop: Header=BB80_25 Depth=1
	v_ashrrev_i32_e32 v3, 31, v25
	s_add_u32 s22, s10, s14
	s_mov_b32 s15, s14
	s_addc_u32 s23, s11, s14
	s_delay_alu instid0(SALU_CYCLE_1) | instskip(SKIP_2) | instid1(VALU_DEP_2)
	s_xor_b64 s[22:23], s[22:23], s[14:15]
	v_add_co_u32 v20, vcc_lo, v24, v3
	v_add_co_ci_u32_e32 v21, vcc_lo, v25, v3, vcc_lo
	v_xor_b32_e32 v46, v20, v3
	s_delay_alu instid0(VALU_DEP_2) | instskip(SKIP_1) | instid1(VALU_DEP_3)
	v_xor_b32_e32 v47, v21, v3
	v_xor_b32_e32 v3, s14, v3
	v_cvt_f32_u32_e32 v20, v46
	v_sub_co_u32 v48, vcc_lo, 0, v46
	s_delay_alu instid0(VALU_DEP_4) | instskip(SKIP_1) | instid1(VALU_DEP_2)
	v_cvt_f32_u32_e32 v21, v47
	v_sub_co_ci_u32_e32 v49, vcc_lo, 0, v47, vcc_lo
	v_fmac_f32_e32 v20, 0x4f800000, v21
	s_delay_alu instid0(VALU_DEP_1) | instskip(SKIP_2) | instid1(VALU_DEP_1)
	v_rcp_f32_e32 v20, v20
	s_waitcnt_depctr 0xfff
	v_mul_f32_e32 v20, 0x5f7ffffc, v20
	v_mul_f32_e32 v21, 0x2f800000, v20
	s_delay_alu instid0(VALU_DEP_1) | instskip(NEXT) | instid1(VALU_DEP_1)
	v_trunc_f32_e32 v21, v21
	v_fmac_f32_e32 v20, 0xcf800000, v21
	v_cvt_u32_f32_e32 v50, v21
	s_delay_alu instid0(VALU_DEP_2) | instskip(NEXT) | instid1(VALU_DEP_2)
	v_cvt_u32_f32_e32 v51, v20
	v_mul_lo_u32 v24, v48, v50
	s_delay_alu instid0(VALU_DEP_2) | instskip(SKIP_1) | instid1(VALU_DEP_1)
	v_mul_lo_u32 v25, v49, v51
	v_mad_u64_u32 v[20:21], null, v48, v51, 0
	v_add3_u32 v52, v21, v24, v25
	s_delay_alu instid0(VALU_DEP_2) | instskip(SKIP_1) | instid1(VALU_DEP_3)
	v_mul_hi_u32 v53, v51, v20
	v_mad_u64_u32 v[44:45], null, v50, v20, 0
	v_mad_u64_u32 v[24:25], null, v51, v52, 0
	v_mad_u64_u32 v[20:21], null, v50, v52, 0
	s_delay_alu instid0(VALU_DEP_2) | instskip(NEXT) | instid1(VALU_DEP_3)
	v_add_co_u32 v24, vcc_lo, v53, v24
	v_add_co_ci_u32_e32 v25, vcc_lo, 0, v25, vcc_lo
	s_delay_alu instid0(VALU_DEP_2) | instskip(NEXT) | instid1(VALU_DEP_2)
	v_add_co_u32 v24, vcc_lo, v24, v44
	v_add_co_ci_u32_e32 v24, vcc_lo, v25, v45, vcc_lo
	v_add_co_ci_u32_e32 v21, vcc_lo, 0, v21, vcc_lo
	s_delay_alu instid0(VALU_DEP_2) | instskip(NEXT) | instid1(VALU_DEP_2)
	v_add_co_u32 v20, vcc_lo, v24, v20
	v_add_co_ci_u32_e32 v21, vcc_lo, 0, v21, vcc_lo
	s_delay_alu instid0(VALU_DEP_2) | instskip(NEXT) | instid1(VALU_DEP_2)
	v_add_co_u32 v51, vcc_lo, v51, v20
	v_add_co_ci_u32_e32 v50, vcc_lo, v50, v21, vcc_lo
	s_delay_alu instid0(VALU_DEP_2) | instskip(SKIP_1) | instid1(VALU_DEP_3)
	v_mul_lo_u32 v24, v49, v51
	v_mad_u64_u32 v[20:21], null, v48, v51, 0
	v_mul_lo_u32 v25, v48, v50
	s_delay_alu instid0(VALU_DEP_2) | instskip(SKIP_1) | instid1(VALU_DEP_3)
	v_mul_hi_u32 v49, v51, v20
	v_mad_u64_u32 v[44:45], null, v50, v20, 0
	v_add3_u32 v48, v21, v25, v24
	s_delay_alu instid0(VALU_DEP_1) | instskip(SKIP_1) | instid1(VALU_DEP_2)
	v_mad_u64_u32 v[24:25], null, v51, v48, 0
	v_mad_u64_u32 v[20:21], null, v50, v48, 0
	v_add_co_u32 v24, vcc_lo, v49, v24
	s_delay_alu instid0(VALU_DEP_3) | instskip(NEXT) | instid1(VALU_DEP_2)
	v_add_co_ci_u32_e32 v25, vcc_lo, 0, v25, vcc_lo
	v_add_co_u32 v24, vcc_lo, v24, v44
	s_delay_alu instid0(VALU_DEP_2) | instskip(SKIP_1) | instid1(VALU_DEP_2)
	v_add_co_ci_u32_e32 v24, vcc_lo, v25, v45, vcc_lo
	v_add_co_ci_u32_e32 v21, vcc_lo, 0, v21, vcc_lo
	v_add_co_u32 v20, vcc_lo, v24, v20
	s_delay_alu instid0(VALU_DEP_2) | instskip(NEXT) | instid1(VALU_DEP_2)
	v_add_co_ci_u32_e32 v21, vcc_lo, 0, v21, vcc_lo
	v_add_co_u32 v44, vcc_lo, v51, v20
	s_delay_alu instid0(VALU_DEP_2) | instskip(NEXT) | instid1(VALU_DEP_2)
	v_add_co_ci_u32_e32 v48, vcc_lo, v50, v21, vcc_lo
	v_mul_hi_u32 v49, s22, v44
	v_mad_u64_u32 v[24:25], null, s23, v44, 0
	s_delay_alu instid0(VALU_DEP_3) | instskip(SKIP_1) | instid1(VALU_DEP_2)
	v_mad_u64_u32 v[20:21], null, s22, v48, 0
	v_mad_u64_u32 v[44:45], null, s23, v48, 0
	v_add_co_u32 v20, vcc_lo, v49, v20
	s_delay_alu instid0(VALU_DEP_3) | instskip(NEXT) | instid1(VALU_DEP_2)
	v_add_co_ci_u32_e32 v21, vcc_lo, 0, v21, vcc_lo
	v_add_co_u32 v20, vcc_lo, v20, v24
	s_delay_alu instid0(VALU_DEP_2) | instskip(SKIP_1) | instid1(VALU_DEP_2)
	v_add_co_ci_u32_e32 v20, vcc_lo, v21, v25, vcc_lo
	v_add_co_ci_u32_e32 v21, vcc_lo, 0, v45, vcc_lo
	v_add_co_u32 v24, vcc_lo, v20, v44
	s_delay_alu instid0(VALU_DEP_2) | instskip(NEXT) | instid1(VALU_DEP_2)
	v_add_co_ci_u32_e32 v25, vcc_lo, 0, v21, vcc_lo
	v_mul_lo_u32 v44, v47, v24
	v_mad_u64_u32 v[20:21], null, v46, v24, 0
	s_delay_alu instid0(VALU_DEP_3) | instskip(NEXT) | instid1(VALU_DEP_2)
	v_mul_lo_u32 v45, v46, v25
	v_sub_co_u32 v20, vcc_lo, s22, v20
	s_delay_alu instid0(VALU_DEP_2) | instskip(NEXT) | instid1(VALU_DEP_1)
	v_add3_u32 v21, v21, v45, v44
	v_sub_nc_u32_e32 v44, s23, v21
	s_delay_alu instid0(VALU_DEP_1) | instskip(SKIP_1) | instid1(VALU_DEP_1)
	v_sub_co_ci_u32_e64 v44, s0, v44, v47, vcc_lo
	v_add_co_u32 v45, s0, v24, 2
	v_add_co_ci_u32_e64 v48, s0, 0, v25, s0
	v_sub_co_u32 v49, s0, v20, v46
	v_sub_co_ci_u32_e32 v21, vcc_lo, s23, v21, vcc_lo
	v_subrev_co_ci_u32_e64 v44, s0, 0, v44, s0
	s_delay_alu instid0(VALU_DEP_3) | instskip(NEXT) | instid1(VALU_DEP_3)
	v_cmp_ge_u32_e32 vcc_lo, v49, v46
	v_cmp_eq_u32_e64 s0, v21, v47
	v_cndmask_b32_e64 v49, 0, -1, vcc_lo
	s_delay_alu instid0(VALU_DEP_4)
	v_cmp_ge_u32_e32 vcc_lo, v44, v47
	v_cndmask_b32_e64 v50, 0, -1, vcc_lo
	v_cmp_ge_u32_e32 vcc_lo, v20, v46
	v_cndmask_b32_e64 v20, 0, -1, vcc_lo
	;; [unrolled: 2-line block ×3, first 2 shown]
	v_cmp_eq_u32_e32 vcc_lo, v44, v47
	s_delay_alu instid0(VALU_DEP_2) | instskip(SKIP_3) | instid1(VALU_DEP_3)
	v_cndmask_b32_e64 v20, v46, v20, s0
	v_cndmask_b32_e32 v44, v50, v49, vcc_lo
	v_add_co_u32 v49, vcc_lo, v24, 1
	v_add_co_ci_u32_e32 v50, vcc_lo, 0, v25, vcc_lo
	v_cmp_ne_u32_e32 vcc_lo, 0, v44
	s_delay_alu instid0(VALU_DEP_2) | instskip(SKIP_1) | instid1(VALU_DEP_2)
	v_dual_cndmask_b32 v21, v50, v48 :: v_dual_cndmask_b32 v44, v49, v45
	v_cmp_ne_u32_e32 vcc_lo, 0, v20
	v_dual_cndmask_b32 v20, v25, v21 :: v_dual_cndmask_b32 v21, v24, v44
	s_delay_alu instid0(VALU_DEP_1) | instskip(NEXT) | instid1(VALU_DEP_2)
	v_xor_b32_e32 v24, v20, v3
	v_xor_b32_e32 v21, v21, v3
	s_delay_alu instid0(VALU_DEP_1) | instskip(NEXT) | instid1(VALU_DEP_3)
	v_sub_co_u32 v20, vcc_lo, v21, v3
	v_sub_co_ci_u32_e32 v21, vcc_lo, v24, v3, vcc_lo
                                        ; implicit-def: $vgpr24_vgpr25
.LBB80_35:                              ;   in Loop: Header=BB80_25 Depth=1
	s_and_not1_saveexec_b32 s0, s3
	s_cbranch_execz .LBB80_37
; %bb.36:                               ;   in Loop: Header=BB80_25 Depth=1
	v_cvt_f32_u32_e32 v3, v24
	v_sub_nc_u32_e32 v20, 0, v24
	s_delay_alu instid0(VALU_DEP_2) | instskip(SKIP_2) | instid1(VALU_DEP_1)
	v_rcp_iflag_f32_e32 v3, v3
	s_waitcnt_depctr 0xfff
	v_mul_f32_e32 v3, 0x4f7ffffe, v3
	v_cvt_u32_f32_e32 v3, v3
	s_delay_alu instid0(VALU_DEP_1) | instskip(NEXT) | instid1(VALU_DEP_1)
	v_mul_lo_u32 v20, v20, v3
	v_mul_hi_u32 v20, v3, v20
	s_delay_alu instid0(VALU_DEP_1) | instskip(NEXT) | instid1(VALU_DEP_1)
	v_add_nc_u32_e32 v3, v3, v20
	v_mul_hi_u32 v3, s10, v3
	s_delay_alu instid0(VALU_DEP_1) | instskip(SKIP_1) | instid1(VALU_DEP_2)
	v_mul_lo_u32 v20, v3, v24
	v_add_nc_u32_e32 v21, 1, v3
	v_sub_nc_u32_e32 v20, s10, v20
	s_delay_alu instid0(VALU_DEP_1) | instskip(SKIP_1) | instid1(VALU_DEP_2)
	v_sub_nc_u32_e32 v25, v20, v24
	v_cmp_ge_u32_e32 vcc_lo, v20, v24
	v_cndmask_b32_e32 v20, v20, v25, vcc_lo
	v_cndmask_b32_e32 v3, v3, v21, vcc_lo
	s_delay_alu instid0(VALU_DEP_2) | instskip(NEXT) | instid1(VALU_DEP_2)
	v_cmp_ge_u32_e32 vcc_lo, v20, v24
	v_add_nc_u32_e32 v21, 1, v3
	s_delay_alu instid0(VALU_DEP_1)
	v_dual_cndmask_b32 v20, v3, v21 :: v_dual_mov_b32 v21, v2
.LBB80_37:                              ;   in Loop: Header=BB80_25 Depth=1
	s_or_b32 exec_lo, exec_lo, s0
	v_or_b32_e32 v3, s11, v27
                                        ; implicit-def: $vgpr24_vgpr25
	s_mov_b32 s0, exec_lo
	s_delay_alu instid0(VALU_DEP_1)
	v_cmpx_ne_u64_e32 0, v[2:3]
	s_xor_b32 s3, exec_lo, s0
	s_cbranch_execz .LBB80_39
; %bb.38:                               ;   in Loop: Header=BB80_25 Depth=1
	v_ashrrev_i32_e32 v3, 31, v27
	s_add_u32 s22, s10, s14
	s_mov_b32 s15, s14
	s_addc_u32 s23, s11, s14
	s_delay_alu instid0(SALU_CYCLE_1) | instskip(SKIP_2) | instid1(VALU_DEP_2)
	s_xor_b64 s[22:23], s[22:23], s[14:15]
	v_add_co_u32 v24, vcc_lo, v26, v3
	v_add_co_ci_u32_e32 v25, vcc_lo, v27, v3, vcc_lo
	v_xor_b32_e32 v48, v24, v3
	s_delay_alu instid0(VALU_DEP_2) | instskip(SKIP_1) | instid1(VALU_DEP_3)
	v_xor_b32_e32 v49, v25, v3
	v_xor_b32_e32 v3, s14, v3
	v_cvt_f32_u32_e32 v24, v48
	v_sub_co_u32 v27, vcc_lo, 0, v48
	s_delay_alu instid0(VALU_DEP_4) | instskip(SKIP_1) | instid1(VALU_DEP_2)
	v_cvt_f32_u32_e32 v25, v49
	v_sub_co_ci_u32_e32 v50, vcc_lo, 0, v49, vcc_lo
	v_fmac_f32_e32 v24, 0x4f800000, v25
	s_delay_alu instid0(VALU_DEP_1) | instskip(SKIP_2) | instid1(VALU_DEP_1)
	v_rcp_f32_e32 v24, v24
	s_waitcnt_depctr 0xfff
	v_mul_f32_e32 v24, 0x5f7ffffc, v24
	v_mul_f32_e32 v25, 0x2f800000, v24
	s_delay_alu instid0(VALU_DEP_1) | instskip(NEXT) | instid1(VALU_DEP_1)
	v_trunc_f32_e32 v25, v25
	v_fmac_f32_e32 v24, 0xcf800000, v25
	v_cvt_u32_f32_e32 v51, v25
	s_delay_alu instid0(VALU_DEP_2) | instskip(NEXT) | instid1(VALU_DEP_2)
	v_cvt_u32_f32_e32 v52, v24
	v_mul_lo_u32 v26, v27, v51
	s_delay_alu instid0(VALU_DEP_2) | instskip(SKIP_1) | instid1(VALU_DEP_1)
	v_mul_lo_u32 v44, v50, v52
	v_mad_u64_u32 v[24:25], null, v27, v52, 0
	v_add3_u32 v53, v25, v26, v44
	s_delay_alu instid0(VALU_DEP_2) | instskip(SKIP_1) | instid1(VALU_DEP_3)
	v_mul_hi_u32 v54, v52, v24
	v_mad_u64_u32 v[44:45], null, v51, v24, 0
	v_mad_u64_u32 v[25:26], null, v52, v53, 0
	;; [unrolled: 1-line block ×3, first 2 shown]
	s_delay_alu instid0(VALU_DEP_2) | instskip(NEXT) | instid1(VALU_DEP_3)
	v_add_co_u32 v24, vcc_lo, v54, v25
	v_add_co_ci_u32_e32 v25, vcc_lo, 0, v26, vcc_lo
	s_delay_alu instid0(VALU_DEP_2) | instskip(NEXT) | instid1(VALU_DEP_2)
	v_add_co_u32 v24, vcc_lo, v24, v44
	v_add_co_ci_u32_e32 v24, vcc_lo, v25, v45, vcc_lo
	v_add_co_ci_u32_e32 v25, vcc_lo, 0, v47, vcc_lo
	s_delay_alu instid0(VALU_DEP_2) | instskip(NEXT) | instid1(VALU_DEP_2)
	v_add_co_u32 v24, vcc_lo, v24, v46
	v_add_co_ci_u32_e32 v25, vcc_lo, 0, v25, vcc_lo
	s_delay_alu instid0(VALU_DEP_2) | instskip(NEXT) | instid1(VALU_DEP_2)
	v_add_co_u32 v52, vcc_lo, v52, v24
	v_add_co_ci_u32_e32 v51, vcc_lo, v51, v25, vcc_lo
	s_delay_alu instid0(VALU_DEP_2) | instskip(SKIP_1) | instid1(VALU_DEP_3)
	v_mul_lo_u32 v26, v50, v52
	v_mad_u64_u32 v[24:25], null, v27, v52, 0
	v_mul_lo_u32 v27, v27, v51
	s_delay_alu instid0(VALU_DEP_2) | instskip(SKIP_1) | instid1(VALU_DEP_3)
	v_mul_hi_u32 v50, v52, v24
	v_mad_u64_u32 v[44:45], null, v51, v24, 0
	v_add3_u32 v27, v25, v27, v26
	s_delay_alu instid0(VALU_DEP_1) | instskip(SKIP_1) | instid1(VALU_DEP_2)
	v_mad_u64_u32 v[25:26], null, v52, v27, 0
	v_mad_u64_u32 v[46:47], null, v51, v27, 0
	v_add_co_u32 v24, vcc_lo, v50, v25
	s_delay_alu instid0(VALU_DEP_3) | instskip(NEXT) | instid1(VALU_DEP_2)
	v_add_co_ci_u32_e32 v25, vcc_lo, 0, v26, vcc_lo
	v_add_co_u32 v24, vcc_lo, v24, v44
	s_delay_alu instid0(VALU_DEP_2) | instskip(SKIP_1) | instid1(VALU_DEP_2)
	v_add_co_ci_u32_e32 v24, vcc_lo, v25, v45, vcc_lo
	v_add_co_ci_u32_e32 v25, vcc_lo, 0, v47, vcc_lo
	v_add_co_u32 v24, vcc_lo, v24, v46
	s_delay_alu instid0(VALU_DEP_2) | instskip(NEXT) | instid1(VALU_DEP_2)
	v_add_co_ci_u32_e32 v25, vcc_lo, 0, v25, vcc_lo
	v_add_co_u32 v44, vcc_lo, v52, v24
	s_delay_alu instid0(VALU_DEP_2) | instskip(NEXT) | instid1(VALU_DEP_2)
	v_add_co_ci_u32_e32 v46, vcc_lo, v51, v25, vcc_lo
	v_mul_hi_u32 v47, s22, v44
	v_mad_u64_u32 v[26:27], null, s23, v44, 0
	s_delay_alu instid0(VALU_DEP_3) | instskip(SKIP_1) | instid1(VALU_DEP_2)
	v_mad_u64_u32 v[24:25], null, s22, v46, 0
	v_mad_u64_u32 v[44:45], null, s23, v46, 0
	v_add_co_u32 v24, vcc_lo, v47, v24
	s_delay_alu instid0(VALU_DEP_3) | instskip(NEXT) | instid1(VALU_DEP_2)
	v_add_co_ci_u32_e32 v25, vcc_lo, 0, v25, vcc_lo
	v_add_co_u32 v24, vcc_lo, v24, v26
	s_delay_alu instid0(VALU_DEP_2) | instskip(SKIP_1) | instid1(VALU_DEP_2)
	v_add_co_ci_u32_e32 v24, vcc_lo, v25, v27, vcc_lo
	v_add_co_ci_u32_e32 v25, vcc_lo, 0, v45, vcc_lo
	v_add_co_u32 v26, vcc_lo, v24, v44
	s_delay_alu instid0(VALU_DEP_2) | instskip(NEXT) | instid1(VALU_DEP_2)
	v_add_co_ci_u32_e32 v27, vcc_lo, 0, v25, vcc_lo
	v_mul_lo_u32 v44, v49, v26
	v_mad_u64_u32 v[24:25], null, v48, v26, 0
	s_delay_alu instid0(VALU_DEP_3) | instskip(NEXT) | instid1(VALU_DEP_2)
	v_mul_lo_u32 v45, v48, v27
	v_sub_co_u32 v24, vcc_lo, s22, v24
	s_delay_alu instid0(VALU_DEP_2) | instskip(NEXT) | instid1(VALU_DEP_1)
	v_add3_u32 v25, v25, v45, v44
	v_sub_nc_u32_e32 v44, s23, v25
	s_delay_alu instid0(VALU_DEP_1) | instskip(SKIP_1) | instid1(VALU_DEP_1)
	v_sub_co_ci_u32_e64 v44, s0, v44, v49, vcc_lo
	v_add_co_u32 v45, s0, v26, 2
	v_add_co_ci_u32_e64 v46, s0, 0, v27, s0
	v_sub_co_u32 v47, s0, v24, v48
	v_sub_co_ci_u32_e32 v25, vcc_lo, s23, v25, vcc_lo
	v_subrev_co_ci_u32_e64 v44, s0, 0, v44, s0
	s_delay_alu instid0(VALU_DEP_3) | instskip(NEXT) | instid1(VALU_DEP_3)
	v_cmp_ge_u32_e32 vcc_lo, v47, v48
	v_cmp_eq_u32_e64 s0, v25, v49
	v_cndmask_b32_e64 v47, 0, -1, vcc_lo
	s_delay_alu instid0(VALU_DEP_4)
	v_cmp_ge_u32_e32 vcc_lo, v44, v49
	v_cndmask_b32_e64 v50, 0, -1, vcc_lo
	v_cmp_ge_u32_e32 vcc_lo, v24, v48
	v_cndmask_b32_e64 v24, 0, -1, vcc_lo
	;; [unrolled: 2-line block ×3, first 2 shown]
	v_cmp_eq_u32_e32 vcc_lo, v44, v49
	s_delay_alu instid0(VALU_DEP_2) | instskip(SKIP_3) | instid1(VALU_DEP_3)
	v_cndmask_b32_e64 v24, v48, v24, s0
	v_cndmask_b32_e32 v44, v50, v47, vcc_lo
	v_add_co_u32 v47, vcc_lo, v26, 1
	v_add_co_ci_u32_e32 v50, vcc_lo, 0, v27, vcc_lo
	v_cmp_ne_u32_e32 vcc_lo, 0, v44
	s_delay_alu instid0(VALU_DEP_2) | instskip(SKIP_1) | instid1(VALU_DEP_2)
	v_dual_cndmask_b32 v25, v50, v46 :: v_dual_cndmask_b32 v44, v47, v45
	v_cmp_ne_u32_e32 vcc_lo, 0, v24
	v_dual_cndmask_b32 v24, v27, v25 :: v_dual_cndmask_b32 v25, v26, v44
	s_delay_alu instid0(VALU_DEP_1) | instskip(NEXT) | instid1(VALU_DEP_2)
	v_xor_b32_e32 v26, v24, v3
	v_xor_b32_e32 v25, v25, v3
	s_delay_alu instid0(VALU_DEP_1) | instskip(NEXT) | instid1(VALU_DEP_3)
	v_sub_co_u32 v24, vcc_lo, v25, v3
	v_sub_co_ci_u32_e32 v25, vcc_lo, v26, v3, vcc_lo
                                        ; implicit-def: $vgpr26_vgpr27
.LBB80_39:                              ;   in Loop: Header=BB80_25 Depth=1
	s_and_not1_saveexec_b32 s0, s3
	s_cbranch_execz .LBB80_41
; %bb.40:                               ;   in Loop: Header=BB80_25 Depth=1
	v_cvt_f32_u32_e32 v3, v26
	v_sub_nc_u32_e32 v24, 0, v26
	s_delay_alu instid0(VALU_DEP_2) | instskip(SKIP_2) | instid1(VALU_DEP_1)
	v_rcp_iflag_f32_e32 v3, v3
	s_waitcnt_depctr 0xfff
	v_mul_f32_e32 v3, 0x4f7ffffe, v3
	v_cvt_u32_f32_e32 v3, v3
	s_delay_alu instid0(VALU_DEP_1) | instskip(NEXT) | instid1(VALU_DEP_1)
	v_mul_lo_u32 v24, v24, v3
	v_mul_hi_u32 v24, v3, v24
	s_delay_alu instid0(VALU_DEP_1) | instskip(NEXT) | instid1(VALU_DEP_1)
	v_add_nc_u32_e32 v3, v3, v24
	v_mul_hi_u32 v3, s10, v3
	s_delay_alu instid0(VALU_DEP_1) | instskip(SKIP_1) | instid1(VALU_DEP_2)
	v_mul_lo_u32 v24, v3, v26
	v_add_nc_u32_e32 v25, 1, v3
	v_sub_nc_u32_e32 v24, s10, v24
	s_delay_alu instid0(VALU_DEP_1) | instskip(SKIP_1) | instid1(VALU_DEP_2)
	v_sub_nc_u32_e32 v27, v24, v26
	v_cmp_ge_u32_e32 vcc_lo, v24, v26
	v_dual_cndmask_b32 v24, v24, v27 :: v_dual_cndmask_b32 v3, v3, v25
	s_delay_alu instid0(VALU_DEP_1) | instskip(NEXT) | instid1(VALU_DEP_2)
	v_cmp_ge_u32_e32 vcc_lo, v24, v26
	v_add_nc_u32_e32 v25, 1, v3
	s_delay_alu instid0(VALU_DEP_1)
	v_dual_cndmask_b32 v24, v3, v25 :: v_dual_mov_b32 v25, v2
.LBB80_41:                              ;   in Loop: Header=BB80_25 Depth=1
	s_or_b32 exec_lo, exec_lo, s0
	v_or_b32_e32 v3, s11, v23
                                        ; implicit-def: $vgpr26_vgpr27
	s_mov_b32 s0, exec_lo
	s_delay_alu instid0(VALU_DEP_1)
	v_cmpx_ne_u64_e32 0, v[2:3]
	s_xor_b32 s3, exec_lo, s0
	s_cbranch_execnz .LBB80_47
; %bb.42:                               ;   in Loop: Header=BB80_25 Depth=1
	s_and_not1_saveexec_b32 s0, s3
	s_cbranch_execnz .LBB80_48
.LBB80_43:                              ;   in Loop: Header=BB80_25 Depth=1
	s_or_b32 exec_lo, exec_lo, s0
	s_delay_alu instid0(SALU_CYCLE_1)
	s_mov_b32 s3, exec_lo
	v_cmpx_gt_u64_e64 s[12:13], v[0:1]
	s_cbranch_execnz .LBB80_49
.LBB80_44:                              ;   in Loop: Header=BB80_25 Depth=1
	s_or_b32 exec_lo, exec_lo, s3
	s_delay_alu instid0(SALU_CYCLE_1)
	s_mov_b32 s0, exec_lo
	v_cmpx_gt_u64_e64 s[12:13], v[6:7]
	s_cbranch_execnz .LBB80_54
.LBB80_45:                              ;   in Loop: Header=BB80_25 Depth=1
	s_or_b32 exec_lo, exec_lo, s0
	s_delay_alu instid0(SALU_CYCLE_1)
	s_mov_b32 s0, exec_lo
	v_cmpx_gt_u64_e64 s[12:13], v[10:11]
	s_cbranch_execnz .LBB80_55
.LBB80_46:                              ;   in Loop: Header=BB80_25 Depth=1
	s_or_b32 exec_lo, exec_lo, s0
	s_delay_alu instid0(SALU_CYCLE_1)
	s_mov_b32 s0, exec_lo
	v_cmpx_gt_u64_e64 s[12:13], v[14:15]
	s_cbranch_execz .LBB80_24
	s_branch .LBB80_56
.LBB80_47:                              ;   in Loop: Header=BB80_25 Depth=1
	v_ashrrev_i32_e32 v3, 31, v23
	s_add_u32 s22, s10, s14
	s_mov_b32 s15, s14
	s_addc_u32 s23, s11, s14
	s_delay_alu instid0(SALU_CYCLE_1) | instskip(SKIP_2) | instid1(VALU_DEP_2)
	s_xor_b64 s[22:23], s[22:23], s[14:15]
	v_add_co_u32 v22, vcc_lo, v22, v3
	v_add_co_ci_u32_e32 v23, vcc_lo, v23, v3, vcc_lo
	v_xor_b32_e32 v46, v22, v3
	s_delay_alu instid0(VALU_DEP_2) | instskip(SKIP_1) | instid1(VALU_DEP_3)
	v_xor_b32_e32 v47, v23, v3
	v_xor_b32_e32 v3, s14, v3
	v_cvt_f32_u32_e32 v22, v46
	v_sub_co_u32 v48, vcc_lo, 0, v46
	s_delay_alu instid0(VALU_DEP_4) | instskip(SKIP_1) | instid1(VALU_DEP_2)
	v_cvt_f32_u32_e32 v23, v47
	v_sub_co_ci_u32_e32 v49, vcc_lo, 0, v47, vcc_lo
	v_fmac_f32_e32 v22, 0x4f800000, v23
	s_delay_alu instid0(VALU_DEP_1) | instskip(SKIP_2) | instid1(VALU_DEP_1)
	v_rcp_f32_e32 v22, v22
	s_waitcnt_depctr 0xfff
	v_mul_f32_e32 v22, 0x5f7ffffc, v22
	v_mul_f32_e32 v23, 0x2f800000, v22
	s_delay_alu instid0(VALU_DEP_1) | instskip(NEXT) | instid1(VALU_DEP_1)
	v_trunc_f32_e32 v23, v23
	v_fmac_f32_e32 v22, 0xcf800000, v23
	v_cvt_u32_f32_e32 v50, v23
	s_delay_alu instid0(VALU_DEP_2) | instskip(NEXT) | instid1(VALU_DEP_2)
	v_cvt_u32_f32_e32 v51, v22
	v_mul_lo_u32 v26, v48, v50
	s_delay_alu instid0(VALU_DEP_2) | instskip(SKIP_1) | instid1(VALU_DEP_1)
	v_mul_lo_u32 v27, v49, v51
	v_mad_u64_u32 v[22:23], null, v48, v51, 0
	v_add3_u32 v52, v23, v26, v27
	s_delay_alu instid0(VALU_DEP_2) | instskip(SKIP_1) | instid1(VALU_DEP_3)
	v_mul_hi_u32 v53, v51, v22
	v_mad_u64_u32 v[44:45], null, v50, v22, 0
	v_mad_u64_u32 v[26:27], null, v51, v52, 0
	;; [unrolled: 1-line block ×3, first 2 shown]
	s_delay_alu instid0(VALU_DEP_2) | instskip(NEXT) | instid1(VALU_DEP_3)
	v_add_co_u32 v26, vcc_lo, v53, v26
	v_add_co_ci_u32_e32 v27, vcc_lo, 0, v27, vcc_lo
	s_delay_alu instid0(VALU_DEP_2) | instskip(NEXT) | instid1(VALU_DEP_2)
	v_add_co_u32 v26, vcc_lo, v26, v44
	v_add_co_ci_u32_e32 v26, vcc_lo, v27, v45, vcc_lo
	v_add_co_ci_u32_e32 v23, vcc_lo, 0, v23, vcc_lo
	s_delay_alu instid0(VALU_DEP_2) | instskip(NEXT) | instid1(VALU_DEP_2)
	v_add_co_u32 v22, vcc_lo, v26, v22
	v_add_co_ci_u32_e32 v23, vcc_lo, 0, v23, vcc_lo
	s_delay_alu instid0(VALU_DEP_2) | instskip(NEXT) | instid1(VALU_DEP_2)
	v_add_co_u32 v51, vcc_lo, v51, v22
	v_add_co_ci_u32_e32 v50, vcc_lo, v50, v23, vcc_lo
	s_delay_alu instid0(VALU_DEP_2) | instskip(SKIP_1) | instid1(VALU_DEP_3)
	v_mul_lo_u32 v26, v49, v51
	v_mad_u64_u32 v[22:23], null, v48, v51, 0
	v_mul_lo_u32 v27, v48, v50
	s_delay_alu instid0(VALU_DEP_2) | instskip(SKIP_1) | instid1(VALU_DEP_3)
	v_mul_hi_u32 v49, v51, v22
	v_mad_u64_u32 v[44:45], null, v50, v22, 0
	v_add3_u32 v48, v23, v27, v26
	s_delay_alu instid0(VALU_DEP_1) | instskip(SKIP_1) | instid1(VALU_DEP_2)
	v_mad_u64_u32 v[26:27], null, v51, v48, 0
	v_mad_u64_u32 v[22:23], null, v50, v48, 0
	v_add_co_u32 v26, vcc_lo, v49, v26
	s_delay_alu instid0(VALU_DEP_3) | instskip(NEXT) | instid1(VALU_DEP_2)
	v_add_co_ci_u32_e32 v27, vcc_lo, 0, v27, vcc_lo
	v_add_co_u32 v26, vcc_lo, v26, v44
	s_delay_alu instid0(VALU_DEP_2) | instskip(SKIP_1) | instid1(VALU_DEP_2)
	v_add_co_ci_u32_e32 v26, vcc_lo, v27, v45, vcc_lo
	v_add_co_ci_u32_e32 v23, vcc_lo, 0, v23, vcc_lo
	v_add_co_u32 v22, vcc_lo, v26, v22
	s_delay_alu instid0(VALU_DEP_2) | instskip(NEXT) | instid1(VALU_DEP_2)
	v_add_co_ci_u32_e32 v23, vcc_lo, 0, v23, vcc_lo
	v_add_co_u32 v44, vcc_lo, v51, v22
	s_delay_alu instid0(VALU_DEP_2) | instskip(NEXT) | instid1(VALU_DEP_2)
	v_add_co_ci_u32_e32 v48, vcc_lo, v50, v23, vcc_lo
	v_mul_hi_u32 v49, s22, v44
	v_mad_u64_u32 v[26:27], null, s23, v44, 0
	s_delay_alu instid0(VALU_DEP_3) | instskip(SKIP_1) | instid1(VALU_DEP_2)
	v_mad_u64_u32 v[22:23], null, s22, v48, 0
	v_mad_u64_u32 v[44:45], null, s23, v48, 0
	v_add_co_u32 v22, vcc_lo, v49, v22
	s_delay_alu instid0(VALU_DEP_3) | instskip(NEXT) | instid1(VALU_DEP_2)
	v_add_co_ci_u32_e32 v23, vcc_lo, 0, v23, vcc_lo
	v_add_co_u32 v22, vcc_lo, v22, v26
	s_delay_alu instid0(VALU_DEP_2) | instskip(SKIP_1) | instid1(VALU_DEP_2)
	v_add_co_ci_u32_e32 v22, vcc_lo, v23, v27, vcc_lo
	v_add_co_ci_u32_e32 v23, vcc_lo, 0, v45, vcc_lo
	v_add_co_u32 v26, vcc_lo, v22, v44
	s_delay_alu instid0(VALU_DEP_2) | instskip(NEXT) | instid1(VALU_DEP_2)
	v_add_co_ci_u32_e32 v27, vcc_lo, 0, v23, vcc_lo
	v_mul_lo_u32 v44, v47, v26
	v_mad_u64_u32 v[22:23], null, v46, v26, 0
	s_delay_alu instid0(VALU_DEP_3) | instskip(NEXT) | instid1(VALU_DEP_2)
	v_mul_lo_u32 v45, v46, v27
	v_sub_co_u32 v22, vcc_lo, s22, v22
	s_delay_alu instid0(VALU_DEP_2) | instskip(NEXT) | instid1(VALU_DEP_1)
	v_add3_u32 v23, v23, v45, v44
	v_sub_nc_u32_e32 v44, s23, v23
	s_delay_alu instid0(VALU_DEP_1) | instskip(SKIP_1) | instid1(VALU_DEP_1)
	v_sub_co_ci_u32_e64 v44, s0, v44, v47, vcc_lo
	v_add_co_u32 v45, s0, v26, 2
	v_add_co_ci_u32_e64 v48, s0, 0, v27, s0
	v_sub_co_u32 v49, s0, v22, v46
	v_sub_co_ci_u32_e32 v23, vcc_lo, s23, v23, vcc_lo
	v_subrev_co_ci_u32_e64 v44, s0, 0, v44, s0
	s_delay_alu instid0(VALU_DEP_3) | instskip(NEXT) | instid1(VALU_DEP_3)
	v_cmp_ge_u32_e32 vcc_lo, v49, v46
	v_cmp_eq_u32_e64 s0, v23, v47
	v_cndmask_b32_e64 v49, 0, -1, vcc_lo
	s_delay_alu instid0(VALU_DEP_4)
	v_cmp_ge_u32_e32 vcc_lo, v44, v47
	v_cndmask_b32_e64 v50, 0, -1, vcc_lo
	v_cmp_ge_u32_e32 vcc_lo, v22, v46
	v_cndmask_b32_e64 v22, 0, -1, vcc_lo
	;; [unrolled: 2-line block ×3, first 2 shown]
	v_cmp_eq_u32_e32 vcc_lo, v44, v47
	s_delay_alu instid0(VALU_DEP_2) | instskip(SKIP_3) | instid1(VALU_DEP_3)
	v_cndmask_b32_e64 v22, v46, v22, s0
	v_cndmask_b32_e32 v44, v50, v49, vcc_lo
	v_add_co_u32 v49, vcc_lo, v26, 1
	v_add_co_ci_u32_e32 v50, vcc_lo, 0, v27, vcc_lo
	v_cmp_ne_u32_e32 vcc_lo, 0, v44
	s_delay_alu instid0(VALU_DEP_2) | instskip(SKIP_1) | instid1(VALU_DEP_2)
	v_dual_cndmask_b32 v23, v50, v48 :: v_dual_cndmask_b32 v44, v49, v45
	v_cmp_ne_u32_e32 vcc_lo, 0, v22
	v_dual_cndmask_b32 v22, v27, v23 :: v_dual_cndmask_b32 v23, v26, v44
	s_delay_alu instid0(VALU_DEP_1) | instskip(NEXT) | instid1(VALU_DEP_2)
	v_xor_b32_e32 v22, v22, v3
	v_xor_b32_e32 v23, v23, v3
	s_delay_alu instid0(VALU_DEP_1) | instskip(NEXT) | instid1(VALU_DEP_3)
	v_sub_co_u32 v26, vcc_lo, v23, v3
	v_sub_co_ci_u32_e32 v27, vcc_lo, v22, v3, vcc_lo
                                        ; implicit-def: $vgpr22_vgpr23
	s_and_not1_saveexec_b32 s0, s3
	s_cbranch_execz .LBB80_43
.LBB80_48:                              ;   in Loop: Header=BB80_25 Depth=1
	v_cvt_f32_u32_e32 v3, v22
	v_sub_nc_u32_e32 v23, 0, v22
	s_delay_alu instid0(VALU_DEP_2) | instskip(SKIP_2) | instid1(VALU_DEP_1)
	v_rcp_iflag_f32_e32 v3, v3
	s_waitcnt_depctr 0xfff
	v_mul_f32_e32 v3, 0x4f7ffffe, v3
	v_cvt_u32_f32_e32 v3, v3
	s_delay_alu instid0(VALU_DEP_1) | instskip(NEXT) | instid1(VALU_DEP_1)
	v_mul_lo_u32 v23, v23, v3
	v_mul_hi_u32 v23, v3, v23
	s_delay_alu instid0(VALU_DEP_1) | instskip(NEXT) | instid1(VALU_DEP_1)
	v_add_nc_u32_e32 v3, v3, v23
	v_mul_hi_u32 v3, s10, v3
	s_delay_alu instid0(VALU_DEP_1) | instskip(SKIP_1) | instid1(VALU_DEP_2)
	v_mul_lo_u32 v23, v3, v22
	v_add_nc_u32_e32 v26, 1, v3
	v_sub_nc_u32_e32 v23, s10, v23
	s_delay_alu instid0(VALU_DEP_1) | instskip(SKIP_1) | instid1(VALU_DEP_2)
	v_sub_nc_u32_e32 v27, v23, v22
	v_cmp_ge_u32_e32 vcc_lo, v23, v22
	v_cndmask_b32_e32 v23, v23, v27, vcc_lo
	v_mov_b32_e32 v27, v2
	v_cndmask_b32_e32 v3, v3, v26, vcc_lo
	s_delay_alu instid0(VALU_DEP_3) | instskip(NEXT) | instid1(VALU_DEP_2)
	v_cmp_ge_u32_e32 vcc_lo, v23, v22
	v_add_nc_u32_e32 v26, 1, v3
	s_delay_alu instid0(VALU_DEP_1) | instskip(SKIP_1) | instid1(SALU_CYCLE_1)
	v_cndmask_b32_e32 v26, v3, v26, vcc_lo
	s_or_b32 exec_lo, exec_lo, s0
	s_mov_b32 s3, exec_lo
	v_cmpx_gt_u64_e64 s[12:13], v[0:1]
	s_cbranch_execz .LBB80_44
.LBB80_49:                              ;   in Loop: Header=BB80_25 Depth=1
	v_or_b32_e32 v3, s11, v19
                                        ; implicit-def: $vgpr22_vgpr23
	s_mov_b32 s0, exec_lo
	s_delay_alu instid0(VALU_DEP_1)
	v_cmpx_ne_u64_e32 0, v[2:3]
	s_xor_b32 s21, exec_lo, s0
	s_cbranch_execz .LBB80_51
; %bb.50:                               ;   in Loop: Header=BB80_25 Depth=1
	v_ashrrev_i32_e32 v3, 31, v19
	s_add_u32 s22, s10, s14
	s_mov_b32 s15, s14
	s_addc_u32 s23, s11, s14
	s_delay_alu instid0(SALU_CYCLE_1) | instskip(SKIP_2) | instid1(VALU_DEP_2)
	s_xor_b64 s[22:23], s[22:23], s[14:15]
	v_add_co_u32 v18, vcc_lo, v18, v3
	v_add_co_ci_u32_e32 v19, vcc_lo, v19, v3, vcc_lo
	v_xor_b32_e32 v46, v18, v3
	s_delay_alu instid0(VALU_DEP_2) | instskip(SKIP_1) | instid1(VALU_DEP_3)
	v_xor_b32_e32 v47, v19, v3
	v_xor_b32_e32 v3, s14, v3
	v_cvt_f32_u32_e32 v18, v46
	v_sub_co_u32 v48, vcc_lo, 0, v46
	s_delay_alu instid0(VALU_DEP_4) | instskip(SKIP_1) | instid1(VALU_DEP_2)
	v_cvt_f32_u32_e32 v19, v47
	v_sub_co_ci_u32_e32 v49, vcc_lo, 0, v47, vcc_lo
	v_fmac_f32_e32 v18, 0x4f800000, v19
	s_delay_alu instid0(VALU_DEP_1) | instskip(SKIP_2) | instid1(VALU_DEP_1)
	v_rcp_f32_e32 v18, v18
	s_waitcnt_depctr 0xfff
	v_mul_f32_e32 v18, 0x5f7ffffc, v18
	v_mul_f32_e32 v19, 0x2f800000, v18
	s_delay_alu instid0(VALU_DEP_1) | instskip(NEXT) | instid1(VALU_DEP_1)
	v_trunc_f32_e32 v19, v19
	v_fmac_f32_e32 v18, 0xcf800000, v19
	v_cvt_u32_f32_e32 v50, v19
	s_delay_alu instid0(VALU_DEP_2) | instskip(NEXT) | instid1(VALU_DEP_2)
	v_cvt_u32_f32_e32 v51, v18
	v_mul_lo_u32 v22, v48, v50
	s_delay_alu instid0(VALU_DEP_2) | instskip(SKIP_1) | instid1(VALU_DEP_1)
	v_mul_lo_u32 v23, v49, v51
	v_mad_u64_u32 v[18:19], null, v48, v51, 0
	v_add3_u32 v52, v19, v22, v23
	s_delay_alu instid0(VALU_DEP_2) | instskip(SKIP_1) | instid1(VALU_DEP_3)
	v_mul_hi_u32 v53, v51, v18
	v_mad_u64_u32 v[44:45], null, v50, v18, 0
	v_mad_u64_u32 v[22:23], null, v51, v52, 0
	;; [unrolled: 1-line block ×3, first 2 shown]
	s_delay_alu instid0(VALU_DEP_2) | instskip(NEXT) | instid1(VALU_DEP_3)
	v_add_co_u32 v22, vcc_lo, v53, v22
	v_add_co_ci_u32_e32 v23, vcc_lo, 0, v23, vcc_lo
	s_delay_alu instid0(VALU_DEP_2) | instskip(NEXT) | instid1(VALU_DEP_2)
	v_add_co_u32 v22, vcc_lo, v22, v44
	v_add_co_ci_u32_e32 v22, vcc_lo, v23, v45, vcc_lo
	v_add_co_ci_u32_e32 v19, vcc_lo, 0, v19, vcc_lo
	s_delay_alu instid0(VALU_DEP_2) | instskip(NEXT) | instid1(VALU_DEP_2)
	v_add_co_u32 v18, vcc_lo, v22, v18
	v_add_co_ci_u32_e32 v19, vcc_lo, 0, v19, vcc_lo
	s_delay_alu instid0(VALU_DEP_2) | instskip(NEXT) | instid1(VALU_DEP_2)
	v_add_co_u32 v51, vcc_lo, v51, v18
	v_add_co_ci_u32_e32 v50, vcc_lo, v50, v19, vcc_lo
	s_delay_alu instid0(VALU_DEP_2) | instskip(SKIP_1) | instid1(VALU_DEP_3)
	v_mul_lo_u32 v22, v49, v51
	v_mad_u64_u32 v[18:19], null, v48, v51, 0
	v_mul_lo_u32 v23, v48, v50
	s_delay_alu instid0(VALU_DEP_2) | instskip(SKIP_1) | instid1(VALU_DEP_3)
	v_mul_hi_u32 v49, v51, v18
	v_mad_u64_u32 v[44:45], null, v50, v18, 0
	v_add3_u32 v48, v19, v23, v22
	s_delay_alu instid0(VALU_DEP_1) | instskip(SKIP_1) | instid1(VALU_DEP_2)
	v_mad_u64_u32 v[22:23], null, v51, v48, 0
	v_mad_u64_u32 v[18:19], null, v50, v48, 0
	v_add_co_u32 v22, vcc_lo, v49, v22
	s_delay_alu instid0(VALU_DEP_3) | instskip(NEXT) | instid1(VALU_DEP_2)
	v_add_co_ci_u32_e32 v23, vcc_lo, 0, v23, vcc_lo
	v_add_co_u32 v22, vcc_lo, v22, v44
	s_delay_alu instid0(VALU_DEP_2) | instskip(SKIP_1) | instid1(VALU_DEP_2)
	v_add_co_ci_u32_e32 v22, vcc_lo, v23, v45, vcc_lo
	v_add_co_ci_u32_e32 v19, vcc_lo, 0, v19, vcc_lo
	v_add_co_u32 v18, vcc_lo, v22, v18
	s_delay_alu instid0(VALU_DEP_2) | instskip(NEXT) | instid1(VALU_DEP_2)
	v_add_co_ci_u32_e32 v19, vcc_lo, 0, v19, vcc_lo
	v_add_co_u32 v44, vcc_lo, v51, v18
	s_delay_alu instid0(VALU_DEP_2) | instskip(NEXT) | instid1(VALU_DEP_2)
	v_add_co_ci_u32_e32 v48, vcc_lo, v50, v19, vcc_lo
	v_mul_hi_u32 v49, s22, v44
	v_mad_u64_u32 v[22:23], null, s23, v44, 0
	s_delay_alu instid0(VALU_DEP_3) | instskip(SKIP_1) | instid1(VALU_DEP_2)
	v_mad_u64_u32 v[18:19], null, s22, v48, 0
	v_mad_u64_u32 v[44:45], null, s23, v48, 0
	v_add_co_u32 v18, vcc_lo, v49, v18
	s_delay_alu instid0(VALU_DEP_3) | instskip(NEXT) | instid1(VALU_DEP_2)
	v_add_co_ci_u32_e32 v19, vcc_lo, 0, v19, vcc_lo
	v_add_co_u32 v18, vcc_lo, v18, v22
	s_delay_alu instid0(VALU_DEP_2) | instskip(SKIP_1) | instid1(VALU_DEP_2)
	v_add_co_ci_u32_e32 v18, vcc_lo, v19, v23, vcc_lo
	v_add_co_ci_u32_e32 v19, vcc_lo, 0, v45, vcc_lo
	v_add_co_u32 v22, vcc_lo, v18, v44
	s_delay_alu instid0(VALU_DEP_2) | instskip(NEXT) | instid1(VALU_DEP_2)
	v_add_co_ci_u32_e32 v23, vcc_lo, 0, v19, vcc_lo
	v_mul_lo_u32 v44, v47, v22
	v_mad_u64_u32 v[18:19], null, v46, v22, 0
	s_delay_alu instid0(VALU_DEP_3) | instskip(NEXT) | instid1(VALU_DEP_2)
	v_mul_lo_u32 v45, v46, v23
	v_sub_co_u32 v18, vcc_lo, s22, v18
	s_delay_alu instid0(VALU_DEP_2) | instskip(NEXT) | instid1(VALU_DEP_1)
	v_add3_u32 v19, v19, v45, v44
	v_sub_nc_u32_e32 v44, s23, v19
	s_delay_alu instid0(VALU_DEP_1) | instskip(SKIP_1) | instid1(VALU_DEP_1)
	v_sub_co_ci_u32_e64 v44, s0, v44, v47, vcc_lo
	v_add_co_u32 v45, s0, v22, 2
	v_add_co_ci_u32_e64 v48, s0, 0, v23, s0
	v_sub_co_u32 v49, s0, v18, v46
	v_sub_co_ci_u32_e32 v19, vcc_lo, s23, v19, vcc_lo
	v_subrev_co_ci_u32_e64 v44, s0, 0, v44, s0
	s_delay_alu instid0(VALU_DEP_3) | instskip(NEXT) | instid1(VALU_DEP_3)
	v_cmp_ge_u32_e32 vcc_lo, v49, v46
	v_cmp_eq_u32_e64 s0, v19, v47
	v_cndmask_b32_e64 v49, 0, -1, vcc_lo
	s_delay_alu instid0(VALU_DEP_4)
	v_cmp_ge_u32_e32 vcc_lo, v44, v47
	v_cndmask_b32_e64 v50, 0, -1, vcc_lo
	v_cmp_ge_u32_e32 vcc_lo, v18, v46
	v_cndmask_b32_e64 v18, 0, -1, vcc_lo
	;; [unrolled: 2-line block ×3, first 2 shown]
	v_cmp_eq_u32_e32 vcc_lo, v44, v47
	s_delay_alu instid0(VALU_DEP_2) | instskip(SKIP_3) | instid1(VALU_DEP_3)
	v_cndmask_b32_e64 v18, v46, v18, s0
	v_cndmask_b32_e32 v44, v50, v49, vcc_lo
	v_add_co_u32 v49, vcc_lo, v22, 1
	v_add_co_ci_u32_e32 v50, vcc_lo, 0, v23, vcc_lo
	v_cmp_ne_u32_e32 vcc_lo, 0, v44
	s_delay_alu instid0(VALU_DEP_2) | instskip(SKIP_1) | instid1(VALU_DEP_2)
	v_dual_cndmask_b32 v19, v50, v48 :: v_dual_cndmask_b32 v44, v49, v45
	v_cmp_ne_u32_e32 vcc_lo, 0, v18
	v_dual_cndmask_b32 v18, v23, v19 :: v_dual_cndmask_b32 v19, v22, v44
	s_delay_alu instid0(VALU_DEP_1) | instskip(NEXT) | instid1(VALU_DEP_2)
	v_xor_b32_e32 v18, v18, v3
	v_xor_b32_e32 v19, v19, v3
	s_delay_alu instid0(VALU_DEP_1) | instskip(NEXT) | instid1(VALU_DEP_3)
	v_sub_co_u32 v22, vcc_lo, v19, v3
	v_sub_co_ci_u32_e32 v23, vcc_lo, v18, v3, vcc_lo
                                        ; implicit-def: $vgpr18_vgpr19
.LBB80_51:                              ;   in Loop: Header=BB80_25 Depth=1
	s_and_not1_saveexec_b32 s0, s21
	s_cbranch_execz .LBB80_53
; %bb.52:                               ;   in Loop: Header=BB80_25 Depth=1
	v_cvt_f32_u32_e32 v3, v18
	v_sub_nc_u32_e32 v19, 0, v18
	s_delay_alu instid0(VALU_DEP_2) | instskip(SKIP_2) | instid1(VALU_DEP_1)
	v_rcp_iflag_f32_e32 v3, v3
	s_waitcnt_depctr 0xfff
	v_mul_f32_e32 v3, 0x4f7ffffe, v3
	v_cvt_u32_f32_e32 v3, v3
	s_delay_alu instid0(VALU_DEP_1) | instskip(NEXT) | instid1(VALU_DEP_1)
	v_mul_lo_u32 v19, v19, v3
	v_mul_hi_u32 v19, v3, v19
	s_delay_alu instid0(VALU_DEP_1) | instskip(NEXT) | instid1(VALU_DEP_1)
	v_add_nc_u32_e32 v3, v3, v19
	v_mul_hi_u32 v3, s10, v3
	s_delay_alu instid0(VALU_DEP_1) | instskip(SKIP_1) | instid1(VALU_DEP_2)
	v_mul_lo_u32 v19, v3, v18
	v_add_nc_u32_e32 v22, 1, v3
	v_sub_nc_u32_e32 v19, s10, v19
	s_delay_alu instid0(VALU_DEP_1) | instskip(SKIP_1) | instid1(VALU_DEP_2)
	v_sub_nc_u32_e32 v23, v19, v18
	v_cmp_ge_u32_e32 vcc_lo, v19, v18
	v_cndmask_b32_e32 v19, v19, v23, vcc_lo
	v_mov_b32_e32 v23, v2
	v_cndmask_b32_e32 v3, v3, v22, vcc_lo
	s_delay_alu instid0(VALU_DEP_3) | instskip(NEXT) | instid1(VALU_DEP_2)
	v_cmp_ge_u32_e32 vcc_lo, v19, v18
	v_add_nc_u32_e32 v22, 1, v3
	s_delay_alu instid0(VALU_DEP_1)
	v_cndmask_b32_e32 v22, v3, v22, vcc_lo
.LBB80_53:                              ;   in Loop: Header=BB80_25 Depth=1
	s_or_b32 exec_lo, exec_lo, s0
	s_delay_alu instid0(VALU_DEP_1) | instskip(SKIP_4) | instid1(VALU_DEP_3)
	v_mad_u64_u32 v[18:19], null, v22, s6, v[4:5]
	v_mul_lo_u32 v5, v22, s7
	v_mul_lo_u32 v22, v23, s6
	v_add_co_u32 v3, vcc_lo, v28, s4
	v_add_co_ci_u32_e32 v4, vcc_lo, s5, v29, vcc_lo
	v_add3_u32 v19, v22, v19, v5
	global_store_b64 v[3:4], v[18:19], off
	s_or_b32 exec_lo, exec_lo, s3
	s_delay_alu instid0(SALU_CYCLE_1)
	s_mov_b32 s0, exec_lo
	v_cmpx_gt_u64_e64 s[12:13], v[6:7]
	s_cbranch_execz .LBB80_45
.LBB80_54:                              ;   in Loop: Header=BB80_25 Depth=1
	v_mad_u64_u32 v[3:4], null, v20, s6, v[8:9]
	v_mul_lo_u32 v5, v20, s7
	v_mul_lo_u32 v6, v21, s6
	s_delay_alu instid0(VALU_DEP_1) | instskip(SKIP_4) | instid1(SALU_CYCLE_1)
	v_add3_u32 v4, v6, v4, v5
	v_add_co_u32 v5, vcc_lo, v40, s4
	v_add_co_ci_u32_e32 v6, vcc_lo, s5, v41, vcc_lo
	global_store_b64 v[5:6], v[3:4], off
	s_or_b32 exec_lo, exec_lo, s0
	s_mov_b32 s0, exec_lo
	v_cmpx_gt_u64_e64 s[12:13], v[10:11]
	s_cbranch_execz .LBB80_46
.LBB80_55:                              ;   in Loop: Header=BB80_25 Depth=1
	v_mad_u64_u32 v[3:4], null, v24, s6, v[12:13]
	v_mul_lo_u32 v5, v24, s7
	v_mul_lo_u32 v6, v25, s6
	s_delay_alu instid0(VALU_DEP_1) | instskip(SKIP_4) | instid1(SALU_CYCLE_1)
	v_add3_u32 v4, v6, v4, v5
	v_add_co_u32 v5, vcc_lo, v36, s4
	v_add_co_ci_u32_e32 v6, vcc_lo, s5, v37, vcc_lo
	global_store_b64 v[5:6], v[3:4], off
	s_or_b32 exec_lo, exec_lo, s0
	s_mov_b32 s0, exec_lo
	v_cmpx_gt_u64_e64 s[12:13], v[14:15]
	s_cbranch_execz .LBB80_24
.LBB80_56:                              ;   in Loop: Header=BB80_25 Depth=1
	v_mad_u64_u32 v[3:4], null, v26, s6, v[16:17]
	v_mul_lo_u32 v5, v26, s7
	v_mul_lo_u32 v6, v27, s6
	s_delay_alu instid0(VALU_DEP_1)
	v_add3_u32 v4, v6, v4, v5
	v_add_co_u32 v5, vcc_lo, v32, s4
	v_add_co_ci_u32_e32 v6, vcc_lo, s5, v33, vcc_lo
	global_store_b64 v[5:6], v[3:4], off
	s_branch .LBB80_24
.LBB80_57:
	s_nop 0
	s_sendmsg sendmsg(MSG_DEALLOC_VGPRS)
	s_endpgm
	.section	.rodata,"a",@progbits
	.p2align	6, 0x0
	.amdhsa_kernel _ZN2at6native12_GLOBAL__N_125multi_tensor_apply_kernelINS1_18TensorListMetadataILi3EEENS1_32PointwiseOpScalar0dTensorFunctorIlLi3ELi2ELi0EEEJSt7dividesIlElEEEvT_T0_DpT1_
		.amdhsa_group_segment_fixed_size 0
		.amdhsa_private_segment_fixed_size 0
		.amdhsa_kernarg_size 3416
		.amdhsa_user_sgpr_count 15
		.amdhsa_user_sgpr_dispatch_ptr 0
		.amdhsa_user_sgpr_queue_ptr 0
		.amdhsa_user_sgpr_kernarg_segment_ptr 1
		.amdhsa_user_sgpr_dispatch_id 0
		.amdhsa_user_sgpr_private_segment_size 0
		.amdhsa_wavefront_size32 1
		.amdhsa_uses_dynamic_stack 0
		.amdhsa_enable_private_segment 0
		.amdhsa_system_sgpr_workgroup_id_x 1
		.amdhsa_system_sgpr_workgroup_id_y 0
		.amdhsa_system_sgpr_workgroup_id_z 0
		.amdhsa_system_sgpr_workgroup_info 0
		.amdhsa_system_vgpr_workitem_id 0
		.amdhsa_next_free_vgpr 55
		.amdhsa_next_free_sgpr 28
		.amdhsa_reserve_vcc 1
		.amdhsa_float_round_mode_32 0
		.amdhsa_float_round_mode_16_64 0
		.amdhsa_float_denorm_mode_32 3
		.amdhsa_float_denorm_mode_16_64 3
		.amdhsa_dx10_clamp 1
		.amdhsa_ieee_mode 1
		.amdhsa_fp16_overflow 0
		.amdhsa_workgroup_processor_mode 1
		.amdhsa_memory_ordered 1
		.amdhsa_forward_progress 0
		.amdhsa_shared_vgpr_count 0
		.amdhsa_exception_fp_ieee_invalid_op 0
		.amdhsa_exception_fp_denorm_src 0
		.amdhsa_exception_fp_ieee_div_zero 0
		.amdhsa_exception_fp_ieee_overflow 0
		.amdhsa_exception_fp_ieee_underflow 0
		.amdhsa_exception_fp_ieee_inexact 0
		.amdhsa_exception_int_div_zero 0
	.end_amdhsa_kernel
	.section	.text._ZN2at6native12_GLOBAL__N_125multi_tensor_apply_kernelINS1_18TensorListMetadataILi3EEENS1_32PointwiseOpScalar0dTensorFunctorIlLi3ELi2ELi0EEEJSt7dividesIlElEEEvT_T0_DpT1_,"axG",@progbits,_ZN2at6native12_GLOBAL__N_125multi_tensor_apply_kernelINS1_18TensorListMetadataILi3EEENS1_32PointwiseOpScalar0dTensorFunctorIlLi3ELi2ELi0EEEJSt7dividesIlElEEEvT_T0_DpT1_,comdat
.Lfunc_end80:
	.size	_ZN2at6native12_GLOBAL__N_125multi_tensor_apply_kernelINS1_18TensorListMetadataILi3EEENS1_32PointwiseOpScalar0dTensorFunctorIlLi3ELi2ELi0EEEJSt7dividesIlElEEEvT_T0_DpT1_, .Lfunc_end80-_ZN2at6native12_GLOBAL__N_125multi_tensor_apply_kernelINS1_18TensorListMetadataILi3EEENS1_32PointwiseOpScalar0dTensorFunctorIlLi3ELi2ELi0EEEJSt7dividesIlElEEEvT_T0_DpT1_
                                        ; -- End function
	.section	.AMDGPU.csdata,"",@progbits
; Kernel info:
; codeLenInByte = 9416
; NumSgprs: 30
; NumVgprs: 55
; ScratchSize: 0
; MemoryBound: 0
; FloatMode: 240
; IeeeMode: 1
; LDSByteSize: 0 bytes/workgroup (compile time only)
; SGPRBlocks: 3
; VGPRBlocks: 6
; NumSGPRsForWavesPerEU: 30
; NumVGPRsForWavesPerEU: 55
; Occupancy: 16
; WaveLimiterHint : 0
; COMPUTE_PGM_RSRC2:SCRATCH_EN: 0
; COMPUTE_PGM_RSRC2:USER_SGPR: 15
; COMPUTE_PGM_RSRC2:TRAP_HANDLER: 0
; COMPUTE_PGM_RSRC2:TGID_X_EN: 1
; COMPUTE_PGM_RSRC2:TGID_Y_EN: 0
; COMPUTE_PGM_RSRC2:TGID_Z_EN: 0
; COMPUTE_PGM_RSRC2:TIDIG_COMP_CNT: 0
	.section	.text._ZN2at6native12_GLOBAL__N_125multi_tensor_apply_kernelINS1_18TensorListMetadataILi3EEENS1_32PointwiseOpScalar0dTensorFunctorIsLi3ELi2ELi0EEEJSt7dividesIsEsEEEvT_T0_DpT1_,"axG",@progbits,_ZN2at6native12_GLOBAL__N_125multi_tensor_apply_kernelINS1_18TensorListMetadataILi3EEENS1_32PointwiseOpScalar0dTensorFunctorIsLi3ELi2ELi0EEEJSt7dividesIsEsEEEvT_T0_DpT1_,comdat
	.globl	_ZN2at6native12_GLOBAL__N_125multi_tensor_apply_kernelINS1_18TensorListMetadataILi3EEENS1_32PointwiseOpScalar0dTensorFunctorIsLi3ELi2ELi0EEEJSt7dividesIsEsEEEvT_T0_DpT1_ ; -- Begin function _ZN2at6native12_GLOBAL__N_125multi_tensor_apply_kernelINS1_18TensorListMetadataILi3EEENS1_32PointwiseOpScalar0dTensorFunctorIsLi3ELi2ELi0EEEJSt7dividesIsEsEEEvT_T0_DpT1_
	.p2align	8
	.type	_ZN2at6native12_GLOBAL__N_125multi_tensor_apply_kernelINS1_18TensorListMetadataILi3EEENS1_32PointwiseOpScalar0dTensorFunctorIsLi3ELi2ELi0EEEJSt7dividesIsEsEEEvT_T0_DpT1_,@function
_ZN2at6native12_GLOBAL__N_125multi_tensor_apply_kernelINS1_18TensorListMetadataILi3EEENS1_32PointwiseOpScalar0dTensorFunctorIsLi3ELi2ELi0EEEJSt7dividesIsEsEEEvT_T0_DpT1_: ; @_ZN2at6native12_GLOBAL__N_125multi_tensor_apply_kernelINS1_18TensorListMetadataILi3EEENS1_32PointwiseOpScalar0dTensorFunctorIsLi3ELi2ELi0EEEJSt7dividesIsEsEEEvT_T0_DpT1_
; %bb.0:
	v_dual_mov_b32 v1, s15 :: v_dual_mov_b32 v2, 0
	s_mul_i32 s5, s15, 3
	s_mul_hi_u32 s6, s15, 3
	s_load_b32 s2, s[0:1], 0xc48
	global_load_u8 v1, v1, s[0:1] offset:1536
	s_waitcnt lgkmcnt(0)
	s_lshr_b32 s14, s2, 16
	s_add_u32 s2, s0, s15
	s_addc_u32 s3, s1, 0
	s_add_u32 s2, s2, s5
	s_addc_u32 s3, s3, s6
	s_waitcnt vmcnt(0)
	v_readfirstlane_b32 s4, v1
	s_delay_alu instid0(VALU_DEP_1)
	s_lshl_b32 s6, s4, 3
	s_clause 0x1
	s_load_b64 s[4:5], s[0:1], s6 offset:0x180
	s_load_b64 s[10:11], s[0:1], s6 offset:0x300
	s_waitcnt lgkmcnt(0)
	global_load_i16 v12, v2, s[4:5]
	s_clause 0x2
	s_load_b32 s2, s[2:3], 0x740
	s_load_b64 s[12:13], s[0:1], s6 offset:0x0
	s_load_b64 s[16:17], s[0:1], s6 offset:0x480
	s_waitcnt lgkmcnt(0)
	s_ashr_i32 s3, s2, 31
	s_delay_alu instid0(SALU_CYCLE_1) | instskip(NEXT) | instid1(SALU_CYCLE_1)
	s_lshl_b64 s[6:7], s[2:3], 17
	s_add_u32 s4, s4, s6
	s_delay_alu instid0(SALU_CYCLE_1) | instskip(NEXT) | instid1(SALU_CYCLE_1)
	s_or_b32 s4, s10, s4
	s_and_b32 s5, s4, 7
	s_and_b32 s4, s12, 7
	s_cmp_lg_u32 s5, 0
	s_mov_b32 s5, 0
	s_cselect_b32 s15, -1, 0
	s_lshl_b64 s[2:3], s[2:3], 16
	s_delay_alu instid0(SALU_CYCLE_1) | instskip(SKIP_3) | instid1(SALU_CYCLE_1)
	s_sub_u32 s8, s16, s2
	s_subb_u32 s9, s17, s3
	s_and_b32 s2, s16, 3
	s_mov_b32 s3, s5
	s_or_b64 s[2:3], s[4:5], s[2:3]
	s_delay_alu instid0(SALU_CYCLE_1) | instskip(SKIP_1) | instid1(SALU_CYCLE_1)
	s_cmp_lg_u64 s[2:3], 0
	s_cselect_b32 s2, -1, 0
	s_or_b32 s2, s15, s2
	s_delay_alu instid0(SALU_CYCLE_1)
	s_and_not1_b32 vcc_lo, exec_lo, s2
	s_mov_b32 s2, -1
	s_cbranch_vccz .LBB81_5
; %bb.1:
	v_lshlrev_b32_e32 v1, 2, v0
	s_mov_b32 s5, exec_lo
	s_delay_alu instid0(VALU_DEP_1)
	v_cmpx_gt_i64_e64 s[8:9], v[1:2]
	s_cbranch_execz .LBB81_4
; %bb.2:
	s_load_b32 s2, s[0:1], 0xc5c
	v_dual_mov_b32 v2, 0 :: v_dual_lshlrev_b32 v1, 3, v0
	s_waitcnt vmcnt(0)
	v_cvt_f32_i32_e32 v3, v12
	s_mov_b32 s15, 0
	s_delay_alu instid0(VALU_DEP_2) | instskip(NEXT) | instid1(VALU_DEP_1)
	v_add_co_u32 v4, s3, s6, v1
	v_add_co_ci_u32_e64 v5, null, s7, 0, s3
	s_waitcnt lgkmcnt(0)
	s_and_b32 s2, s2, 0xffff
	s_delay_alu instid0(SALU_CYCLE_1)
	v_add_lshl_u32 v1, v0, s2, 2
	s_lshl_b32 s16, s2, 3
	s_lshl_b32 s17, s2, 2
.LBB81_3:                               ; =>This Inner Loop Header: Depth=1
	v_add_co_u32 v6, vcc_lo, s10, v4
	v_add_co_ci_u32_e32 v7, vcc_lo, s11, v5, vcc_lo
	v_add_co_u32 v8, vcc_lo, s12, v4
	v_add_co_ci_u32_e32 v9, vcc_lo, s13, v5, vcc_lo
	v_cmp_le_i64_e32 vcc_lo, s[8:9], v[1:2]
	global_load_b64 v[6:7], v[6:7], off
	global_load_b64 v[10:11], v[8:9], off
	v_cmp_lt_u64_e64 s2, 0xffff, v[1:2]
	v_add_co_u32 v4, s3, v4, s16
	s_delay_alu instid0(VALU_DEP_1) | instskip(SKIP_1) | instid1(VALU_DEP_4)
	v_add_co_ci_u32_e64 v5, s3, 0, v5, s3
	v_add_co_u32 v1, s3, v1, s17
	s_or_b32 s2, vcc_lo, s2
	v_add_co_ci_u32_e64 v2, s3, 0, v2, s3
	s_and_b32 s2, exec_lo, s2
	s_delay_alu instid0(SALU_CYCLE_1)
	s_or_b32 s15, s2, s15
	s_waitcnt vmcnt(1)
	v_ashrrev_i32_e32 v15, 16, v6
	v_bfe_i32 v13, v6, 0, 16
	v_alignbit_b32 v6, v7, v6, 16
	v_ashrrev_i32_e32 v7, 16, v7
	s_waitcnt vmcnt(0)
	v_lshrrev_b32_e32 v14, 16, v10
	v_xor_b32_e32 v18, v12, v15
	v_cvt_f32_i32_e32 v15, v15
	v_xor_b32_e32 v17, v12, v13
	v_cvt_f32_i32_e32 v13, v13
	v_ashrrev_i32_e32 v6, 16, v6
	v_xor_b32_e32 v19, v12, v7
	v_rcp_iflag_f32_e32 v21, v15
	v_ashrrev_i32_e32 v17, 30, v17
	v_rcp_iflag_f32_e32 v20, v13
	v_xor_b32_e32 v22, v12, v6
	v_cvt_f32_i32_e32 v6, v6
	v_cvt_f32_i32_e32 v7, v7
	v_or_b32_e32 v17, 1, v17
	v_ashrrev_i32_e32 v18, 30, v18
	v_ashrrev_i32_e32 v19, 30, v19
	v_rcp_iflag_f32_e32 v24, v6
	v_mul_f32_e32 v21, v3, v21
	v_rcp_iflag_f32_e32 v23, v7
	v_or_b32_e32 v18, 1, v18
	v_ashrrev_i32_e32 v22, 30, v22
	v_or_b32_e32 v19, 1, v19
	v_trunc_f32_e32 v21, v21
	v_lshrrev_b32_e32 v16, 16, v11
	s_delay_alu instid0(VALU_DEP_4) | instskip(NEXT) | instid1(VALU_DEP_3)
	v_or_b32_e32 v22, 1, v22
	v_fma_f32 v26, -v21, v15, v3
	v_cvt_i32_f32_e32 v21, v21
	v_mul_f32_e32 v20, v3, v20
	s_delay_alu instid0(VALU_DEP_1) | instskip(NEXT) | instid1(VALU_DEP_1)
	v_trunc_f32_e32 v20, v20
	v_fma_f32 v25, -v20, v13, v3
	v_cvt_i32_f32_e32 v20, v20
	s_delay_alu instid0(VALU_DEP_2) | instskip(NEXT) | instid1(VALU_DEP_1)
	v_cmp_ge_f32_e64 s4, |v25|, |v13|
	v_cndmask_b32_e64 v13, 0, v17, s4
	v_mul_f32_e32 v24, v3, v24
	v_cmp_ge_f32_e64 s4, |v26|, |v15|
	s_delay_alu instid0(VALU_DEP_3) | instskip(NEXT) | instid1(VALU_DEP_3)
	v_add_nc_u32_e32 v13, v20, v13
	v_trunc_f32_e32 v24, v24
	s_delay_alu instid0(VALU_DEP_3) | instskip(NEXT) | instid1(VALU_DEP_3)
	v_cndmask_b32_e64 v15, 0, v18, s4
	v_mad_u16 v10, v13, s14, v10
	v_mul_f32_e32 v23, v3, v23
	s_delay_alu instid0(VALU_DEP_4) | instskip(SKIP_4) | instid1(VALU_DEP_3)
	v_fma_f32 v17, -v24, v6, v3
	v_cvt_i32_f32_e32 v18, v24
	v_add_nc_u32_e32 v15, v21, v15
	v_and_b32_e32 v10, 0xffff, v10
	v_trunc_f32_e32 v23, v23
	v_mad_u16 v13, v15, s14, v14
	s_delay_alu instid0(VALU_DEP_2) | instskip(SKIP_1) | instid1(VALU_DEP_2)
	v_fma_f32 v27, -v23, v7, v3
	v_cvt_i32_f32_e32 v23, v23
	v_cmp_ge_f32_e64 s4, |v27|, |v7|
	s_delay_alu instid0(VALU_DEP_1) | instskip(SKIP_1) | instid1(VALU_DEP_2)
	v_cndmask_b32_e64 v7, 0, v19, s4
	v_cmp_ge_f32_e64 s4, |v17|, |v6|
	v_add_nc_u32_e32 v7, v23, v7
	s_delay_alu instid0(VALU_DEP_2) | instskip(NEXT) | instid1(VALU_DEP_2)
	v_cndmask_b32_e64 v6, 0, v22, s4
	v_mad_u16 v7, v7, s14, v16
	s_delay_alu instid0(VALU_DEP_2) | instskip(NEXT) | instid1(VALU_DEP_2)
	v_add_nc_u32_e32 v6, v18, v6
	v_lshlrev_b32_e32 v7, 16, v7
	s_delay_alu instid0(VALU_DEP_2) | instskip(SKIP_1) | instid1(VALU_DEP_2)
	v_mad_u16 v6, v6, s14, v11
	v_lshlrev_b32_e32 v11, 16, v13
	v_and_b32_e32 v6, 0xffff, v6
	s_delay_alu instid0(VALU_DEP_2) | instskip(NEXT) | instid1(VALU_DEP_2)
	v_or_b32_e32 v10, v11, v10
	v_or3_b32 v7, 0, v6, v7
	s_delay_alu instid0(VALU_DEP_2)
	v_or3_b32 v6, v10, 0, 0
	global_store_b64 v[8:9], v[6:7], off
	s_and_not1_b32 exec_lo, exec_lo, s15
	s_cbranch_execnz .LBB81_3
.LBB81_4:
	s_or_b32 exec_lo, exec_lo, s5
	s_mov_b32 s2, 0
.LBB81_5:
	s_delay_alu instid0(SALU_CYCLE_1)
	s_and_not1_b32 vcc_lo, exec_lo, s2
	s_cbranch_vccnz .LBB81_25
; %bb.6:
	v_cmp_lt_i64_e64 s2, s[8:9], 1
	s_delay_alu instid0(VALU_DEP_1)
	s_and_b32 vcc_lo, exec_lo, s2
	s_cbranch_vccnz .LBB81_25
; %bb.7:
	s_load_b32 s0, s[0:1], 0xc5c
	v_dual_mov_b32 v1, 0 :: v_dual_lshlrev_b32 v2, 1, v0
	v_cmp_gt_u64_e64 s2, 0x10000, s[8:9]
	s_waitcnt vmcnt(0)
	v_cvt_f32_i32_e32 v13, v12
	s_mov_b32 s3, 0
	v_mov_b32_e32 v3, v1
	v_add_co_u32 v14, s1, s12, v2
	s_delay_alu instid0(VALU_DEP_1) | instskip(SKIP_1) | instid1(VALU_DEP_1)
	v_add_co_ci_u32_e64 v15, null, s13, 0, s1
	v_add_co_u32 v16, s1, s10, v2
	v_add_co_ci_u32_e64 v17, null, s11, 0, s1
	s_waitcnt lgkmcnt(0)
	s_and_b32 s1, s0, 0xffff
	s_and_b32 s0, s2, exec_lo
	v_mad_u64_u32 v[4:5], null, s1, 6, v[2:3]
	s_cselect_b32 s5, s9, 0
	s_cselect_b32 s4, s8, 0x10000
	s_lshl_b32 s2, s1, 2
	s_lshl_b32 s15, s1, 1
	v_add_co_u32 v2, s0, s2, v2
	s_delay_alu instid0(VALU_DEP_2) | instskip(NEXT) | instid1(VALU_DEP_3)
	v_add_co_u32 v18, vcc_lo, s12, v4
	v_add_co_ci_u32_e32 v19, vcc_lo, s13, v5, vcc_lo
	v_add_co_u32 v20, vcc_lo, s10, v4
	v_add_lshl_u32 v4, v0, s1, 1
	v_add_co_ci_u32_e64 v3, null, 0, 0, s0
	v_add_co_ci_u32_e32 v21, vcc_lo, s11, v5, vcc_lo
	v_add_co_u32 v22, vcc_lo, s12, v2
	s_delay_alu instid0(VALU_DEP_4) | instskip(NEXT) | instid1(VALU_DEP_4)
	v_add_co_u32 v26, s0, s12, v4
	v_add_co_ci_u32_e32 v23, vcc_lo, s13, v3, vcc_lo
	v_add_co_u32 v24, vcc_lo, s10, v2
	v_add_co_ci_u32_e64 v27, null, s13, 0, s0
	v_add_co_u32 v28, s0, s10, v4
	v_add_co_ci_u32_e32 v25, vcc_lo, s11, v3, vcc_lo
	v_add_co_ci_u32_e64 v29, null, s11, 0, s0
	s_mul_i32 s12, s1, 3
	s_lshl_b32 s13, s1, 3
	s_mov_b64 s[10:11], s[2:3]
	s_branch .LBB81_9
.LBB81_8:                               ;   in Loop: Header=BB81_9 Depth=1
	s_or_b32 exec_lo, exec_lo, s0
	v_add_co_u32 v14, vcc_lo, v14, s13
	v_add_co_ci_u32_e32 v15, vcc_lo, 0, v15, vcc_lo
	v_add_co_u32 v16, vcc_lo, v16, s13
	v_add_co_ci_u32_e32 v17, vcc_lo, 0, v17, vcc_lo
	;; [unrolled: 2-line block ×7, first 2 shown]
	v_cmp_ge_i64_e64 s0, s[10:11], s[8:9]
	v_cmp_lt_u64_e64 s16, 0xffff, s[10:11]
	v_add_co_u32 v26, vcc_lo, v26, s13
	v_add_co_ci_u32_e32 v27, vcc_lo, 0, v27, vcc_lo
	v_add_co_u32 v28, vcc_lo, v28, s13
	v_add_co_ci_u32_e32 v29, vcc_lo, 0, v29, vcc_lo
	s_or_b32 s0, s0, s16
	s_add_u32 s10, s10, s2
	s_addc_u32 s11, s11, 0
	s_and_b32 vcc_lo, exec_lo, s0
	s_cbranch_vccnz .LBB81_25
.LBB81_9:                               ; =>This Inner Loop Header: Depth=1
	v_mov_b32_e32 v4, 0
	v_mov_b32_e32 v5, 0
	v_cmp_gt_i64_e32 vcc_lo, s[8:9], v[0:1]
	v_cmp_gt_u64_e64 s0, 0x10000, v[0:1]
	s_delay_alu instid0(VALU_DEP_3) | instskip(NEXT) | instid1(VALU_DEP_2)
	v_dual_mov_b32 v2, v4 :: v_dual_mov_b32 v3, v5
	s_and_b32 s16, vcc_lo, s0
	s_delay_alu instid0(SALU_CYCLE_1)
	s_and_saveexec_b32 s0, s16
	s_cbranch_execz .LBB81_11
; %bb.10:                               ;   in Loop: Header=BB81_9 Depth=1
	v_add_co_u32 v2, vcc_lo, v14, s6
	v_add_co_ci_u32_e32 v3, vcc_lo, s7, v15, vcc_lo
	v_add_co_u32 v4, vcc_lo, v16, s6
	v_add_co_ci_u32_e32 v5, vcc_lo, s7, v17, vcc_lo
	global_load_u16 v2, v[2:3], off
	global_load_u16 v4, v[4:5], off
	v_mov_b32_e32 v3, s3
	s_waitcnt vmcnt(1)
	v_dual_mov_b32 v5, s3 :: v_dual_and_b32 v2, 0xffff, v2
	s_waitcnt vmcnt(0)
	v_and_b32_e32 v4, 0xffff, v4
.LBB81_11:                              ;   in Loop: Header=BB81_9 Depth=1
	s_or_b32 exec_lo, exec_lo, s0
	v_add_co_u32 v6, vcc_lo, s1, v0
	v_add_co_ci_u32_e32 v7, vcc_lo, 0, v1, vcc_lo
	s_delay_alu instid0(VALU_DEP_1) | instskip(SKIP_1) | instid1(VALU_DEP_1)
	v_cmp_gt_i64_e32 vcc_lo, s[8:9], v[6:7]
	v_cmp_gt_u64_e64 s0, 0x10000, v[6:7]
	s_and_b32 s16, vcc_lo, s0
	s_delay_alu instid0(SALU_CYCLE_1)
	s_and_saveexec_b32 s0, s16
	s_cbranch_execz .LBB81_13
; %bb.12:                               ;   in Loop: Header=BB81_9 Depth=1
	v_add_co_u32 v8, vcc_lo, v26, s6
	v_add_co_ci_u32_e32 v9, vcc_lo, s7, v27, vcc_lo
	v_add_co_u32 v10, vcc_lo, v28, s6
	v_add_co_ci_u32_e32 v11, vcc_lo, s7, v29, vcc_lo
	global_load_u16 v8, v[8:9], off
	global_load_u16 v9, v[10:11], off
	s_waitcnt vmcnt(1)
	v_lshl_or_b32 v2, v8, 16, v2
	s_waitcnt vmcnt(0)
	v_lshl_or_b32 v4, v9, 16, v4
.LBB81_13:                              ;   in Loop: Header=BB81_9 Depth=1
	s_or_b32 exec_lo, exec_lo, s0
	v_add_co_u32 v8, vcc_lo, s15, v0
	v_add_co_ci_u32_e32 v9, vcc_lo, 0, v1, vcc_lo
	s_delay_alu instid0(VALU_DEP_1) | instskip(SKIP_1) | instid1(VALU_DEP_1)
	v_cmp_gt_i64_e32 vcc_lo, s[8:9], v[8:9]
	v_cmp_gt_u64_e64 s0, 0x10000, v[8:9]
	s_and_b32 s16, vcc_lo, s0
	s_delay_alu instid0(SALU_CYCLE_1)
	s_and_saveexec_b32 s0, s16
	s_cbranch_execz .LBB81_15
; %bb.14:                               ;   in Loop: Header=BB81_9 Depth=1
	v_add_co_u32 v10, vcc_lo, v22, s6
	v_add_co_ci_u32_e32 v11, vcc_lo, s7, v23, vcc_lo
	v_add_co_u32 v30, vcc_lo, v24, s6
	v_add_co_ci_u32_e32 v31, vcc_lo, s7, v25, vcc_lo
	global_load_u16 v10, v[10:11], off
	global_load_u16 v11, v[30:31], off
	s_waitcnt vmcnt(1)
	v_or_b32_e32 v3, v10, v3
	s_waitcnt vmcnt(0)
	v_or_b32_e32 v5, v11, v5
.LBB81_15:                              ;   in Loop: Header=BB81_9 Depth=1
	s_or_b32 exec_lo, exec_lo, s0
	v_add_co_u32 v10, vcc_lo, s12, v0
	v_add_co_ci_u32_e32 v11, vcc_lo, 0, v1, vcc_lo
	s_delay_alu instid0(VALU_DEP_1) | instskip(SKIP_1) | instid1(VALU_DEP_1)
	v_cmp_gt_i64_e32 vcc_lo, s[8:9], v[10:11]
	v_cmp_gt_u64_e64 s0, 0x10000, v[10:11]
	s_and_b32 s16, vcc_lo, s0
	s_delay_alu instid0(SALU_CYCLE_1)
	s_and_saveexec_b32 s0, s16
	s_cbranch_execnz .LBB81_20
; %bb.16:                               ;   in Loop: Header=BB81_9 Depth=1
	s_or_b32 exec_lo, exec_lo, s0
	s_delay_alu instid0(SALU_CYCLE_1)
	s_mov_b32 s0, exec_lo
	v_cmpx_gt_u64_e64 s[4:5], v[0:1]
	s_cbranch_execnz .LBB81_21
.LBB81_17:                              ;   in Loop: Header=BB81_9 Depth=1
	s_or_b32 exec_lo, exec_lo, s0
	s_delay_alu instid0(SALU_CYCLE_1)
	s_mov_b32 s0, exec_lo
	v_cmpx_gt_u64_e64 s[4:5], v[6:7]
	s_cbranch_execnz .LBB81_22
.LBB81_18:                              ;   in Loop: Header=BB81_9 Depth=1
	s_or_b32 exec_lo, exec_lo, s0
	s_delay_alu instid0(SALU_CYCLE_1)
	s_mov_b32 s0, exec_lo
	v_cmpx_gt_u64_e64 s[4:5], v[8:9]
	s_cbranch_execnz .LBB81_23
.LBB81_19:                              ;   in Loop: Header=BB81_9 Depth=1
	s_or_b32 exec_lo, exec_lo, s0
	s_delay_alu instid0(SALU_CYCLE_1)
	s_mov_b32 s0, exec_lo
	v_cmpx_gt_u64_e64 s[4:5], v[10:11]
	s_cbranch_execz .LBB81_8
	s_branch .LBB81_24
.LBB81_20:                              ;   in Loop: Header=BB81_9 Depth=1
	v_add_co_u32 v30, vcc_lo, v20, s6
	v_add_co_ci_u32_e32 v31, vcc_lo, s7, v21, vcc_lo
	v_add_co_u32 v32, vcc_lo, v18, s6
	v_add_co_ci_u32_e32 v33, vcc_lo, s7, v19, vcc_lo
	v_dual_mov_b32 v34, 0 :: v_dual_mov_b32 v35, 0
	global_load_d16_hi_b16 v34, v[32:33], off
	global_load_d16_hi_b16 v35, v[30:31], off
	s_waitcnt vmcnt(1)
	v_or_b32_e32 v3, v34, v3
	s_waitcnt vmcnt(0)
	v_or_b32_e32 v5, v35, v5
	s_or_b32 exec_lo, exec_lo, s0
	s_delay_alu instid0(SALU_CYCLE_1)
	s_mov_b32 s0, exec_lo
	v_cmpx_gt_u64_e64 s[4:5], v[0:1]
	s_cbranch_execz .LBB81_17
.LBB81_21:                              ;   in Loop: Header=BB81_9 Depth=1
	v_bfe_i32 v30, v4, 0, 16
	s_delay_alu instid0(VALU_DEP_1) | instskip(SKIP_1) | instid1(VALU_DEP_2)
	v_cvt_f32_i32_e32 v31, v30
	v_xor_b32_e32 v30, v12, v30
	v_rcp_iflag_f32_e32 v32, v31
	s_delay_alu instid0(VALU_DEP_1) | instskip(NEXT) | instid1(VALU_DEP_1)
	v_ashrrev_i32_e32 v30, 30, v30
	v_or_b32_e32 v30, 1, v30
	s_waitcnt_depctr 0xfff
	v_mul_f32_e32 v32, v13, v32
	s_delay_alu instid0(VALU_DEP_1) | instskip(NEXT) | instid1(VALU_DEP_1)
	v_trunc_f32_e32 v32, v32
	v_fma_f32 v33, -v32, v31, v13
	v_cvt_i32_f32_e32 v32, v32
	s_delay_alu instid0(VALU_DEP_2) | instskip(SKIP_1) | instid1(VALU_DEP_1)
	v_cmp_ge_f32_e64 vcc_lo, |v33|, |v31|
	v_cndmask_b32_e32 v30, 0, v30, vcc_lo
	v_add_nc_u32_e32 v30, v32, v30
	s_delay_alu instid0(VALU_DEP_1) | instskip(SKIP_4) | instid1(SALU_CYCLE_1)
	v_mad_u16 v32, v30, s14, v2
	v_add_co_u32 v30, vcc_lo, v14, s6
	v_add_co_ci_u32_e32 v31, vcc_lo, s7, v15, vcc_lo
	global_store_b16 v[30:31], v32, off
	s_or_b32 exec_lo, exec_lo, s0
	s_mov_b32 s0, exec_lo
	v_cmpx_gt_u64_e64 s[4:5], v[6:7]
	s_cbranch_execz .LBB81_18
.LBB81_22:                              ;   in Loop: Header=BB81_9 Depth=1
	v_ashrrev_i32_e32 v6, 16, v4
	v_lshrrev_b32_e32 v2, 16, v2
	s_delay_alu instid0(VALU_DEP_2) | instskip(SKIP_1) | instid1(VALU_DEP_2)
	v_cvt_f32_i32_e32 v7, v6
	v_xor_b32_e32 v6, v12, v6
	v_rcp_iflag_f32_e32 v30, v7
	s_delay_alu instid0(VALU_DEP_1) | instskip(NEXT) | instid1(VALU_DEP_1)
	v_ashrrev_i32_e32 v6, 30, v6
	v_or_b32_e32 v6, 1, v6
	s_waitcnt_depctr 0xfff
	v_mul_f32_e32 v30, v13, v30
	s_delay_alu instid0(VALU_DEP_1) | instskip(NEXT) | instid1(VALU_DEP_1)
	v_trunc_f32_e32 v30, v30
	v_fma_f32 v31, -v30, v7, v13
	v_cvt_i32_f32_e32 v30, v30
	s_delay_alu instid0(VALU_DEP_2) | instskip(SKIP_1) | instid1(VALU_DEP_1)
	v_cmp_ge_f32_e64 vcc_lo, |v31|, |v7|
	v_cndmask_b32_e32 v6, 0, v6, vcc_lo
	v_add_nc_u32_e32 v6, v30, v6
	s_delay_alu instid0(VALU_DEP_1) | instskip(SKIP_4) | instid1(SALU_CYCLE_1)
	v_mad_u16 v2, v6, s14, v2
	v_add_co_u32 v6, vcc_lo, v26, s6
	v_add_co_ci_u32_e32 v7, vcc_lo, s7, v27, vcc_lo
	global_store_b16 v[6:7], v2, off
	s_or_b32 exec_lo, exec_lo, s0
	s_mov_b32 s0, exec_lo
	v_cmpx_gt_u64_e64 s[4:5], v[8:9]
	s_cbranch_execz .LBB81_19
.LBB81_23:                              ;   in Loop: Header=BB81_9 Depth=1
	v_alignbit_b32 v2, v5, v4, 16
	s_delay_alu instid0(VALU_DEP_1) | instskip(NEXT) | instid1(VALU_DEP_1)
	v_ashrrev_i32_e32 v2, 16, v2
	v_cvt_f32_i32_e32 v6, v2
	v_xor_b32_e32 v2, v12, v2
	s_delay_alu instid0(VALU_DEP_2) | instskip(NEXT) | instid1(VALU_DEP_1)
	v_rcp_iflag_f32_e32 v7, v6
	v_ashrrev_i32_e32 v2, 30, v2
	s_delay_alu instid0(VALU_DEP_1) | instskip(SKIP_2) | instid1(VALU_DEP_1)
	v_or_b32_e32 v2, 1, v2
	s_waitcnt_depctr 0xfff
	v_mul_f32_e32 v7, v13, v7
	v_trunc_f32_e32 v7, v7
	s_delay_alu instid0(VALU_DEP_1) | instskip(SKIP_1) | instid1(VALU_DEP_2)
	v_fma_f32 v8, -v7, v6, v13
	v_cvt_i32_f32_e32 v7, v7
	v_cmp_ge_f32_e64 vcc_lo, |v8|, |v6|
	v_cndmask_b32_e32 v2, 0, v2, vcc_lo
	v_add_co_u32 v6, vcc_lo, v22, s6
	s_delay_alu instid0(VALU_DEP_2) | instskip(SKIP_1) | instid1(VALU_DEP_2)
	v_add_nc_u32_e32 v2, v7, v2
	v_add_co_ci_u32_e32 v7, vcc_lo, s7, v23, vcc_lo
	v_mad_u16 v2, v2, s14, v3
	global_store_b16 v[6:7], v2, off
	s_or_b32 exec_lo, exec_lo, s0
	s_delay_alu instid0(SALU_CYCLE_1)
	s_mov_b32 s0, exec_lo
	v_cmpx_gt_u64_e64 s[4:5], v[10:11]
	s_cbranch_execz .LBB81_8
.LBB81_24:                              ;   in Loop: Header=BB81_9 Depth=1
	v_ashrrev_i64 v[4:5], 48, v[4:5]
	v_lshrrev_b32_e32 v3, 16, v3
	s_delay_alu instid0(VALU_DEP_2) | instskip(SKIP_1) | instid1(VALU_DEP_2)
	v_cvt_f32_i32_e32 v2, v4
	v_xor_b32_e32 v4, v12, v4
	v_rcp_iflag_f32_e32 v5, v2
	s_delay_alu instid0(VALU_DEP_1) | instskip(NEXT) | instid1(VALU_DEP_1)
	v_ashrrev_i32_e32 v4, 30, v4
	v_or_b32_e32 v4, 1, v4
	s_waitcnt_depctr 0xfff
	v_mul_f32_e32 v5, v13, v5
	s_delay_alu instid0(VALU_DEP_1) | instskip(NEXT) | instid1(VALU_DEP_1)
	v_trunc_f32_e32 v5, v5
	v_fma_f32 v6, -v5, v2, v13
	v_cvt_i32_f32_e32 v5, v5
	s_delay_alu instid0(VALU_DEP_2) | instskip(SKIP_1) | instid1(VALU_DEP_1)
	v_cmp_ge_f32_e64 vcc_lo, |v6|, |v2|
	v_cndmask_b32_e32 v2, 0, v4, vcc_lo
	v_add_nc_u32_e32 v2, v5, v2
	s_delay_alu instid0(VALU_DEP_1)
	v_mad_u16 v4, v2, s14, v3
	v_add_co_u32 v2, vcc_lo, v18, s6
	v_add_co_ci_u32_e32 v3, vcc_lo, s7, v19, vcc_lo
	global_store_b16 v[2:3], v4, off
	s_branch .LBB81_8
.LBB81_25:
	s_nop 0
	s_sendmsg sendmsg(MSG_DEALLOC_VGPRS)
	s_endpgm
	.section	.rodata,"a",@progbits
	.p2align	6, 0x0
	.amdhsa_kernel _ZN2at6native12_GLOBAL__N_125multi_tensor_apply_kernelINS1_18TensorListMetadataILi3EEENS1_32PointwiseOpScalar0dTensorFunctorIsLi3ELi2ELi0EEEJSt7dividesIsEsEEEvT_T0_DpT1_
		.amdhsa_group_segment_fixed_size 0
		.amdhsa_private_segment_fixed_size 0
		.amdhsa_kernarg_size 3408
		.amdhsa_user_sgpr_count 15
		.amdhsa_user_sgpr_dispatch_ptr 0
		.amdhsa_user_sgpr_queue_ptr 0
		.amdhsa_user_sgpr_kernarg_segment_ptr 1
		.amdhsa_user_sgpr_dispatch_id 0
		.amdhsa_user_sgpr_private_segment_size 0
		.amdhsa_wavefront_size32 1
		.amdhsa_uses_dynamic_stack 0
		.amdhsa_enable_private_segment 0
		.amdhsa_system_sgpr_workgroup_id_x 1
		.amdhsa_system_sgpr_workgroup_id_y 0
		.amdhsa_system_sgpr_workgroup_id_z 0
		.amdhsa_system_sgpr_workgroup_info 0
		.amdhsa_system_vgpr_workitem_id 0
		.amdhsa_next_free_vgpr 36
		.amdhsa_next_free_sgpr 18
		.amdhsa_reserve_vcc 1
		.amdhsa_float_round_mode_32 0
		.amdhsa_float_round_mode_16_64 0
		.amdhsa_float_denorm_mode_32 3
		.amdhsa_float_denorm_mode_16_64 3
		.amdhsa_dx10_clamp 1
		.amdhsa_ieee_mode 1
		.amdhsa_fp16_overflow 0
		.amdhsa_workgroup_processor_mode 1
		.amdhsa_memory_ordered 1
		.amdhsa_forward_progress 0
		.amdhsa_shared_vgpr_count 0
		.amdhsa_exception_fp_ieee_invalid_op 0
		.amdhsa_exception_fp_denorm_src 0
		.amdhsa_exception_fp_ieee_div_zero 0
		.amdhsa_exception_fp_ieee_overflow 0
		.amdhsa_exception_fp_ieee_underflow 0
		.amdhsa_exception_fp_ieee_inexact 0
		.amdhsa_exception_int_div_zero 0
	.end_amdhsa_kernel
	.section	.text._ZN2at6native12_GLOBAL__N_125multi_tensor_apply_kernelINS1_18TensorListMetadataILi3EEENS1_32PointwiseOpScalar0dTensorFunctorIsLi3ELi2ELi0EEEJSt7dividesIsEsEEEvT_T0_DpT1_,"axG",@progbits,_ZN2at6native12_GLOBAL__N_125multi_tensor_apply_kernelINS1_18TensorListMetadataILi3EEENS1_32PointwiseOpScalar0dTensorFunctorIsLi3ELi2ELi0EEEJSt7dividesIsEsEEEvT_T0_DpT1_,comdat
.Lfunc_end81:
	.size	_ZN2at6native12_GLOBAL__N_125multi_tensor_apply_kernelINS1_18TensorListMetadataILi3EEENS1_32PointwiseOpScalar0dTensorFunctorIsLi3ELi2ELi0EEEJSt7dividesIsEsEEEvT_T0_DpT1_, .Lfunc_end81-_ZN2at6native12_GLOBAL__N_125multi_tensor_apply_kernelINS1_18TensorListMetadataILi3EEENS1_32PointwiseOpScalar0dTensorFunctorIsLi3ELi2ELi0EEEJSt7dividesIsEsEEEvT_T0_DpT1_
                                        ; -- End function
	.section	.AMDGPU.csdata,"",@progbits
; Kernel info:
; codeLenInByte = 2464
; NumSgprs: 20
; NumVgprs: 36
; ScratchSize: 0
; MemoryBound: 0
; FloatMode: 240
; IeeeMode: 1
; LDSByteSize: 0 bytes/workgroup (compile time only)
; SGPRBlocks: 2
; VGPRBlocks: 4
; NumSGPRsForWavesPerEU: 20
; NumVGPRsForWavesPerEU: 36
; Occupancy: 16
; WaveLimiterHint : 0
; COMPUTE_PGM_RSRC2:SCRATCH_EN: 0
; COMPUTE_PGM_RSRC2:USER_SGPR: 15
; COMPUTE_PGM_RSRC2:TRAP_HANDLER: 0
; COMPUTE_PGM_RSRC2:TGID_X_EN: 1
; COMPUTE_PGM_RSRC2:TGID_Y_EN: 0
; COMPUTE_PGM_RSRC2:TGID_Z_EN: 0
; COMPUTE_PGM_RSRC2:TIDIG_COMP_CNT: 0
	.section	.text._ZN2at6native12_GLOBAL__N_125multi_tensor_apply_kernelINS1_18TensorListMetadataILi3EEENS1_32PointwiseOpScalar0dTensorFunctorIdLi3ELi2ELi0EEEJSt7dividesIdEdEEEvT_T0_DpT1_,"axG",@progbits,_ZN2at6native12_GLOBAL__N_125multi_tensor_apply_kernelINS1_18TensorListMetadataILi3EEENS1_32PointwiseOpScalar0dTensorFunctorIdLi3ELi2ELi0EEEJSt7dividesIdEdEEEvT_T0_DpT1_,comdat
	.globl	_ZN2at6native12_GLOBAL__N_125multi_tensor_apply_kernelINS1_18TensorListMetadataILi3EEENS1_32PointwiseOpScalar0dTensorFunctorIdLi3ELi2ELi0EEEJSt7dividesIdEdEEEvT_T0_DpT1_ ; -- Begin function _ZN2at6native12_GLOBAL__N_125multi_tensor_apply_kernelINS1_18TensorListMetadataILi3EEENS1_32PointwiseOpScalar0dTensorFunctorIdLi3ELi2ELi0EEEJSt7dividesIdEdEEEvT_T0_DpT1_
	.p2align	8
	.type	_ZN2at6native12_GLOBAL__N_125multi_tensor_apply_kernelINS1_18TensorListMetadataILi3EEENS1_32PointwiseOpScalar0dTensorFunctorIdLi3ELi2ELi0EEEJSt7dividesIdEdEEEvT_T0_DpT1_,@function
_ZN2at6native12_GLOBAL__N_125multi_tensor_apply_kernelINS1_18TensorListMetadataILi3EEENS1_32PointwiseOpScalar0dTensorFunctorIdLi3ELi2ELi0EEEJSt7dividesIdEdEEEvT_T0_DpT1_: ; @_ZN2at6native12_GLOBAL__N_125multi_tensor_apply_kernelINS1_18TensorListMetadataILi3EEENS1_32PointwiseOpScalar0dTensorFunctorIdLi3ELi2ELi0EEEJSt7dividesIdEdEEEvT_T0_DpT1_
; %bb.0:
	v_mov_b32_e32 v1, s15
	s_add_u32 s2, s0, s15
	s_mul_hi_u32 s3, s15, 3
	s_mul_i32 s15, s15, 3
	s_addc_u32 s4, s1, 0
	global_load_u8 v1, v1, s[0:1] offset:1536
	s_load_b64 s[6:7], s[0:1], 0xc50
	s_add_u32 s2, s2, s15
	s_addc_u32 s3, s4, s3
	s_mov_b32 s23, 0
	s_load_b32 s8, s[2:3], 0x740
	s_mov_b32 s25, s23
	s_waitcnt lgkmcnt(0)
	s_ashr_i32 s9, s8, 31
	s_delay_alu instid0(SALU_CYCLE_1) | instskip(SKIP_2) | instid1(VALU_DEP_1)
	s_lshl_b64 s[4:5], s[8:9], 19
	s_waitcnt vmcnt(0)
	v_readfirstlane_b32 s2, v1
	s_lshl_b32 s2, s2, 3
	s_clause 0x3
	s_load_b64 s[14:15], s[0:1], s2 offset:0x0
	s_load_b64 s[10:11], s[0:1], s2 offset:0x180
	;; [unrolled: 1-line block ×4, first 2 shown]
	s_waitcnt lgkmcnt(0)
	s_add_u32 s3, s14, s4
	s_addc_u32 s12, s15, s5
	s_add_u32 s2, s10, s4
	s_and_b32 s22, s3, 31
	s_add_u32 s13, s16, s4
	s_addc_u32 s18, s17, s5
	s_or_b32 s2, s13, s2
	s_load_b64 s[10:11], s[10:11], 0x0
	s_and_b32 s2, s2, 31
	s_delay_alu instid0(SALU_CYCLE_1) | instskip(SKIP_2) | instid1(SALU_CYCLE_1)
	s_cmp_lg_u32 s2, 0
	s_cselect_b32 s2, -1, 0
	s_lshl_b64 s[8:9], s[8:9], 16
	s_sub_u32 s8, s20, s8
	s_subb_u32 s9, s21, s9
	s_and_b32 s24, s20, 3
	s_delay_alu instid0(SALU_CYCLE_1) | instskip(NEXT) | instid1(SALU_CYCLE_1)
	s_or_b64 s[20:21], s[22:23], s[24:25]
	s_cmp_lg_u64 s[20:21], 0
	s_cselect_b32 s19, -1, 0
	s_delay_alu instid0(SALU_CYCLE_1) | instskip(NEXT) | instid1(SALU_CYCLE_1)
	s_or_b32 s2, s2, s19
	s_and_not1_b32 vcc_lo, exec_lo, s2
	s_mov_b32 s2, -1
	s_cbranch_vccz .LBB82_21
; %bb.1:
	v_dual_mov_b32 v18, 0 :: v_dual_lshlrev_b32 v17, 2, v0
	s_mov_b32 s19, exec_lo
	s_delay_alu instid0(VALU_DEP_1)
	v_cmpx_gt_i64_e64 s[8:9], v[17:18]
	s_cbranch_execz .LBB82_20
; %bb.2:
	v_cmp_neq_f64_e64 s20, s[6:7], 1.0
	s_load_b32 s2, s[0:1], 0xc64
	v_lshlrev_b32_e32 v23, 5, v0
	s_mov_b32 s21, 0
	s_waitcnt lgkmcnt(0)
	s_and_b32 s2, s2, 0xffff
	s_delay_alu instid0(SALU_CYCLE_1)
	v_add_lshl_u32 v17, v0, s2, 2
	s_lshl_b32 s22, s2, 2
	s_lshl_b32 s23, s2, 5
	s_branch .LBB82_4
.LBB82_3:                               ;   in Loop: Header=BB82_4 Depth=1
	v_cmp_le_i64_e32 vcc_lo, s[8:9], v[17:18]
	v_cmp_lt_u64_e64 s2, 0xffff, v[17:18]
	s_clause 0x1
	global_store_b128 v[19:20], v[1:4], off
	global_store_b128 v[19:20], v[9:12], off offset:16
	s_or_b32 s2, vcc_lo, s2
	s_add_u32 s3, s3, s23
	v_add_co_u32 v17, vcc_lo, v17, s22
	s_addc_u32 s12, s12, 0
	s_add_u32 s13, s13, s23
	v_add_co_ci_u32_e32 v18, vcc_lo, 0, v18, vcc_lo
	s_addc_u32 s18, s18, 0
	s_and_b32 s2, exec_lo, s2
	s_delay_alu instid0(SALU_CYCLE_1) | instskip(NEXT) | instid1(SALU_CYCLE_1)
	s_or_b32 s21, s2, s21
	s_and_not1_b32 exec_lo, exec_lo, s21
	s_cbranch_execz .LBB82_20
.LBB82_4:                               ; =>This Inner Loop Header: Depth=1
	v_add_co_u32 v5, s2, s13, v23
	s_delay_alu instid0(VALU_DEP_1) | instskip(SKIP_1) | instid1(VALU_DEP_1)
	v_add_co_ci_u32_e64 v6, null, s18, 0, s2
	v_add_co_u32 v19, s2, s3, v23
	v_add_co_ci_u32_e64 v20, null, s12, 0, s2
	s_clause 0x1
	global_load_b128 v[1:4], v[5:6], off
	global_load_b128 v[9:12], v[5:6], off offset:16
	s_clause 0x1
	global_load_b128 v[5:8], v[19:20], off offset:16
	global_load_b128 v[13:16], v[19:20], off
	s_waitcnt vmcnt(3)
	v_div_scale_f64 v[21:22], null, v[1:2], v[1:2], s[10:11]
	s_delay_alu instid0(VALU_DEP_1) | instskip(SKIP_2) | instid1(VALU_DEP_1)
	v_rcp_f64_e32 v[24:25], v[21:22]
	s_waitcnt_depctr 0xfff
	v_fma_f64 v[26:27], -v[21:22], v[24:25], 1.0
	v_fma_f64 v[24:25], v[24:25], v[26:27], v[24:25]
	s_delay_alu instid0(VALU_DEP_1) | instskip(NEXT) | instid1(VALU_DEP_1)
	v_fma_f64 v[26:27], -v[21:22], v[24:25], 1.0
	v_fma_f64 v[24:25], v[24:25], v[26:27], v[24:25]
	v_div_scale_f64 v[26:27], vcc_lo, s[10:11], v[1:2], s[10:11]
	s_delay_alu instid0(VALU_DEP_1) | instskip(NEXT) | instid1(VALU_DEP_1)
	v_mul_f64 v[28:29], v[26:27], v[24:25]
	v_fma_f64 v[21:22], -v[21:22], v[28:29], v[26:27]
	s_delay_alu instid0(VALU_DEP_1) | instskip(SKIP_1) | instid1(VALU_DEP_1)
	v_div_fmas_f64 v[21:22], v[21:22], v[24:25], v[28:29]
	s_and_b32 vcc_lo, exec_lo, s20
	v_div_fixup_f64 v[21:22], v[21:22], v[1:2], s[10:11]
	s_cbranch_vccz .LBB82_15
; %bb.5:                                ;   in Loop: Header=BB82_4 Depth=1
	s_waitcnt vmcnt(0)
	s_delay_alu instid0(VALU_DEP_1)
	v_fma_f64 v[1:2], s[6:7], v[21:22], v[13:14]
	s_cbranch_execnz .LBB82_7
.LBB82_6:                               ;   in Loop: Header=BB82_4 Depth=1
	s_waitcnt vmcnt(0)
	s_delay_alu instid0(VALU_DEP_1)
	v_add_f64 v[1:2], v[13:14], v[21:22]
.LBB82_7:                               ;   in Loop: Header=BB82_4 Depth=1
	s_waitcnt vmcnt(0)
	v_div_scale_f64 v[13:14], null, v[3:4], v[3:4], s[10:11]
	s_delay_alu instid0(VALU_DEP_1) | instskip(SKIP_2) | instid1(VALU_DEP_1)
	v_rcp_f64_e32 v[21:22], v[13:14]
	s_waitcnt_depctr 0xfff
	v_fma_f64 v[24:25], -v[13:14], v[21:22], 1.0
	v_fma_f64 v[21:22], v[21:22], v[24:25], v[21:22]
	s_delay_alu instid0(VALU_DEP_1) | instskip(NEXT) | instid1(VALU_DEP_1)
	v_fma_f64 v[24:25], -v[13:14], v[21:22], 1.0
	v_fma_f64 v[21:22], v[21:22], v[24:25], v[21:22]
	v_div_scale_f64 v[24:25], vcc_lo, s[10:11], v[3:4], s[10:11]
	s_delay_alu instid0(VALU_DEP_1) | instskip(NEXT) | instid1(VALU_DEP_1)
	v_mul_f64 v[26:27], v[24:25], v[21:22]
	v_fma_f64 v[13:14], -v[13:14], v[26:27], v[24:25]
	s_delay_alu instid0(VALU_DEP_1) | instskip(SKIP_1) | instid1(VALU_DEP_1)
	v_div_fmas_f64 v[13:14], v[13:14], v[21:22], v[26:27]
	s_and_not1_b32 vcc_lo, exec_lo, s20
	v_div_fixup_f64 v[13:14], v[13:14], v[3:4], s[10:11]
	s_cbranch_vccnz .LBB82_16
; %bb.8:                                ;   in Loop: Header=BB82_4 Depth=1
	s_delay_alu instid0(VALU_DEP_1)
	v_fma_f64 v[3:4], s[6:7], v[13:14], v[15:16]
	s_cbranch_execnz .LBB82_10
.LBB82_9:                               ;   in Loop: Header=BB82_4 Depth=1
	s_delay_alu instid0(VALU_DEP_1)
	v_add_f64 v[3:4], v[15:16], v[13:14]
.LBB82_10:                              ;   in Loop: Header=BB82_4 Depth=1
	v_div_scale_f64 v[13:14], null, v[9:10], v[9:10], s[10:11]
	s_delay_alu instid0(VALU_DEP_1) | instskip(SKIP_2) | instid1(VALU_DEP_1)
	v_rcp_f64_e32 v[15:16], v[13:14]
	s_waitcnt_depctr 0xfff
	v_fma_f64 v[21:22], -v[13:14], v[15:16], 1.0
	v_fma_f64 v[15:16], v[15:16], v[21:22], v[15:16]
	s_delay_alu instid0(VALU_DEP_1) | instskip(NEXT) | instid1(VALU_DEP_1)
	v_fma_f64 v[21:22], -v[13:14], v[15:16], 1.0
	v_fma_f64 v[15:16], v[15:16], v[21:22], v[15:16]
	v_div_scale_f64 v[21:22], vcc_lo, s[10:11], v[9:10], s[10:11]
	s_delay_alu instid0(VALU_DEP_1) | instskip(NEXT) | instid1(VALU_DEP_1)
	v_mul_f64 v[24:25], v[21:22], v[15:16]
	v_fma_f64 v[13:14], -v[13:14], v[24:25], v[21:22]
	s_delay_alu instid0(VALU_DEP_1) | instskip(SKIP_1) | instid1(VALU_DEP_1)
	v_div_fmas_f64 v[13:14], v[13:14], v[15:16], v[24:25]
	s_and_not1_b32 vcc_lo, exec_lo, s20
	v_div_fixup_f64 v[13:14], v[13:14], v[9:10], s[10:11]
	s_cbranch_vccnz .LBB82_17
; %bb.11:                               ;   in Loop: Header=BB82_4 Depth=1
	s_delay_alu instid0(VALU_DEP_1)
	v_fma_f64 v[9:10], s[6:7], v[13:14], v[5:6]
	s_cbranch_execnz .LBB82_13
.LBB82_12:                              ;   in Loop: Header=BB82_4 Depth=1
	s_delay_alu instid0(VALU_DEP_1)
	v_add_f64 v[9:10], v[5:6], v[13:14]
.LBB82_13:                              ;   in Loop: Header=BB82_4 Depth=1
	v_div_scale_f64 v[5:6], null, v[11:12], v[11:12], s[10:11]
	s_delay_alu instid0(VALU_DEP_1) | instskip(SKIP_2) | instid1(VALU_DEP_1)
	v_rcp_f64_e32 v[13:14], v[5:6]
	s_waitcnt_depctr 0xfff
	v_fma_f64 v[15:16], -v[5:6], v[13:14], 1.0
	v_fma_f64 v[13:14], v[13:14], v[15:16], v[13:14]
	s_delay_alu instid0(VALU_DEP_1) | instskip(NEXT) | instid1(VALU_DEP_1)
	v_fma_f64 v[15:16], -v[5:6], v[13:14], 1.0
	v_fma_f64 v[13:14], v[13:14], v[15:16], v[13:14]
	v_div_scale_f64 v[15:16], vcc_lo, s[10:11], v[11:12], s[10:11]
	s_delay_alu instid0(VALU_DEP_1) | instskip(NEXT) | instid1(VALU_DEP_1)
	v_mul_f64 v[21:22], v[15:16], v[13:14]
	v_fma_f64 v[5:6], -v[5:6], v[21:22], v[15:16]
	s_delay_alu instid0(VALU_DEP_1) | instskip(SKIP_1) | instid1(VALU_DEP_1)
	v_div_fmas_f64 v[5:6], v[5:6], v[13:14], v[21:22]
	s_and_not1_b32 vcc_lo, exec_lo, s20
	v_div_fixup_f64 v[5:6], v[5:6], v[11:12], s[10:11]
	s_cbranch_vccnz .LBB82_18
; %bb.14:                               ;   in Loop: Header=BB82_4 Depth=1
	s_delay_alu instid0(VALU_DEP_1)
	v_fma_f64 v[11:12], s[6:7], v[5:6], v[7:8]
	s_cbranch_execnz .LBB82_3
	s_branch .LBB82_19
.LBB82_15:                              ;   in Loop: Header=BB82_4 Depth=1
                                        ; implicit-def: $vgpr1_vgpr2
	s_branch .LBB82_6
.LBB82_16:                              ;   in Loop: Header=BB82_4 Depth=1
	s_branch .LBB82_9
.LBB82_17:                              ;   in Loop: Header=BB82_4 Depth=1
                                        ; implicit-def: $vgpr9_vgpr10
	s_branch .LBB82_12
.LBB82_18:                              ;   in Loop: Header=BB82_4 Depth=1
.LBB82_19:                              ;   in Loop: Header=BB82_4 Depth=1
	s_delay_alu instid0(VALU_DEP_1)
	v_add_f64 v[11:12], v[7:8], v[5:6]
	s_branch .LBB82_3
.LBB82_20:
	s_or_b32 exec_lo, exec_lo, s19
	s_mov_b32 s2, 0
.LBB82_21:
	s_delay_alu instid0(SALU_CYCLE_1)
	s_and_not1_b32 vcc_lo, exec_lo, s2
	s_cbranch_vccnz .LBB82_57
; %bb.22:
	v_cmp_lt_i64_e64 s2, s[8:9], 1
	s_delay_alu instid0(VALU_DEP_1)
	s_and_b32 vcc_lo, exec_lo, s2
	s_cbranch_vccnz .LBB82_57
; %bb.23:
	s_load_b32 s0, s[0:1], 0xc64
	v_cmp_neq_f64_e64 s1, s[6:7], 1.0
	v_dual_mov_b32 v1, 0 :: v_dual_lshlrev_b32 v2, 3, v0
	v_cmp_gt_u64_e64 s2, 0x10000, s[8:9]
	s_mov_b32 s3, 0
	s_delay_alu instid0(VALU_DEP_2) | instskip(NEXT) | instid1(VALU_DEP_3)
	v_mov_b32_e32 v3, v1
	v_add_co_u32 v26, s12, s14, v2
	s_delay_alu instid0(VALU_DEP_1) | instskip(SKIP_1) | instid1(VALU_DEP_1)
	v_add_co_ci_u32_e64 v27, null, s15, 0, s12
	v_add_co_u32 v28, s12, s16, v2
	v_add_co_ci_u32_e64 v29, null, s17, 0, s12
	s_waitcnt lgkmcnt(0)
	s_and_b32 s18, s0, 0xffff
	s_and_b32 s0, s2, exec_lo
	v_mad_u64_u32 v[4:5], null, s18, 24, v[2:3]
	s_cselect_b32 s13, s9, 0
	s_cselect_b32 s12, s8, 0x10000
	s_lshl_b32 s0, s18, 4
	s_lshl_b32 s2, s18, 2
	v_add_co_u32 v2, s0, s0, v2
	s_delay_alu instid0(VALU_DEP_2) | instskip(NEXT) | instid1(VALU_DEP_3)
	v_add_co_u32 v30, vcc_lo, s14, v4
	v_add_co_ci_u32_e32 v31, vcc_lo, s15, v5, vcc_lo
	v_add_co_u32 v32, vcc_lo, s16, v4
	v_add_lshl_u32 v4, v0, s18, 3
	v_add_co_ci_u32_e64 v3, null, 0, 0, s0
	v_add_co_ci_u32_e32 v33, vcc_lo, s17, v5, vcc_lo
	v_add_co_u32 v34, vcc_lo, s14, v2
	s_delay_alu instid0(VALU_DEP_4) | instskip(NEXT) | instid1(VALU_DEP_4)
	v_add_co_u32 v38, s0, s14, v4
	v_add_co_ci_u32_e32 v35, vcc_lo, s15, v3, vcc_lo
	v_add_co_u32 v36, vcc_lo, s16, v2
	v_add_co_ci_u32_e64 v39, null, s15, 0, s0
	v_add_co_u32 v40, s0, s16, v4
	v_add_co_ci_u32_e32 v37, vcc_lo, s17, v3, vcc_lo
	v_add_co_ci_u32_e64 v41, null, s17, 0, s0
	s_lshl_b32 s19, s18, 1
	s_mul_i32 s20, s18, 3
	s_lshl_b32 s16, s18, 5
	s_mov_b64 s[14:15], s[2:3]
	s_branch .LBB82_25
.LBB82_24:                              ;   in Loop: Header=BB82_25 Depth=1
	s_or_b32 exec_lo, exec_lo, s0
	v_add_co_u32 v26, vcc_lo, v26, s16
	v_add_co_ci_u32_e32 v27, vcc_lo, 0, v27, vcc_lo
	v_add_co_u32 v28, vcc_lo, v28, s16
	v_add_co_ci_u32_e32 v29, vcc_lo, 0, v29, vcc_lo
	;; [unrolled: 2-line block ×7, first 2 shown]
	v_cmp_ge_i64_e64 s0, s[14:15], s[8:9]
	v_cmp_lt_u64_e64 s3, 0xffff, s[14:15]
	v_add_co_u32 v38, vcc_lo, v38, s16
	v_add_co_ci_u32_e32 v39, vcc_lo, 0, v39, vcc_lo
	v_add_co_u32 v40, vcc_lo, v40, s16
	v_add_co_ci_u32_e32 v41, vcc_lo, 0, v41, vcc_lo
	s_or_b32 s0, s0, s3
	s_add_u32 s14, s14, s2
	s_addc_u32 s15, s15, 0
	s_and_b32 vcc_lo, exec_lo, s0
	s_cbranch_vccnz .LBB82_57
.LBB82_25:                              ; =>This Inner Loop Header: Depth=1
	v_mov_b32_e32 v12, 0
	v_mov_b32_e32 v13, 0
	v_cmp_gt_i64_e32 vcc_lo, s[8:9], v[0:1]
	v_cmp_gt_u64_e64 s0, 0x10000, v[0:1]
	s_delay_alu instid0(VALU_DEP_3) | instskip(SKIP_1) | instid1(VALU_DEP_3)
	v_dual_mov_b32 v19, v13 :: v_dual_mov_b32 v18, v12
	v_dual_mov_b32 v21, v13 :: v_dual_mov_b32 v20, v12
	s_and_b32 s3, vcc_lo, s0
	s_delay_alu instid0(SALU_CYCLE_1)
	s_and_saveexec_b32 s0, s3
	s_cbranch_execz .LBB82_27
; %bb.26:                               ;   in Loop: Header=BB82_25 Depth=1
	v_add_co_u32 v2, vcc_lo, v26, s4
	v_add_co_ci_u32_e32 v3, vcc_lo, s5, v27, vcc_lo
	v_add_co_u32 v4, vcc_lo, v28, s4
	v_add_co_ci_u32_e32 v5, vcc_lo, s5, v29, vcc_lo
	global_load_b64 v[20:21], v[2:3], off
	global_load_b64 v[18:19], v[4:5], off
.LBB82_27:                              ;   in Loop: Header=BB82_25 Depth=1
	s_or_b32 exec_lo, exec_lo, s0
	v_add_co_u32 v2, vcc_lo, s18, v0
	v_add_co_ci_u32_e32 v3, vcc_lo, 0, v1, vcc_lo
	v_dual_mov_b32 v17, v13 :: v_dual_mov_b32 v16, v12
	s_delay_alu instid0(VALU_DEP_2) | instskip(SKIP_1) | instid1(VALU_DEP_1)
	v_cmp_gt_i64_e32 vcc_lo, s[8:9], v[2:3]
	v_cmp_gt_u64_e64 s0, 0x10000, v[2:3]
	s_and_b32 s3, vcc_lo, s0
	s_delay_alu instid0(SALU_CYCLE_1)
	s_and_saveexec_b32 s0, s3
	s_cbranch_execz .LBB82_29
; %bb.28:                               ;   in Loop: Header=BB82_25 Depth=1
	v_add_co_u32 v4, vcc_lo, v38, s4
	v_add_co_ci_u32_e32 v5, vcc_lo, s5, v39, vcc_lo
	v_add_co_u32 v6, vcc_lo, v40, s4
	v_add_co_ci_u32_e32 v7, vcc_lo, s5, v41, vcc_lo
	global_load_b64 v[16:17], v[4:5], off
	global_load_b64 v[12:13], v[6:7], off
.LBB82_29:                              ;   in Loop: Header=BB82_25 Depth=1
	s_or_b32 exec_lo, exec_lo, s0
	v_add_co_u32 v4, vcc_lo, s19, v0
	v_add_co_ci_u32_e32 v5, vcc_lo, 0, v1, vcc_lo
	v_mov_b32_e32 v8, 0
	v_mov_b32_e32 v9, 0
	s_delay_alu instid0(VALU_DEP_3) | instskip(SKIP_1) | instid1(VALU_DEP_3)
	v_cmp_gt_i64_e32 vcc_lo, s[8:9], v[4:5]
	v_cmp_gt_u64_e64 s0, 0x10000, v[4:5]
	v_dual_mov_b32 v23, v9 :: v_dual_mov_b32 v22, v8
	v_dual_mov_b32 v15, v9 :: v_dual_mov_b32 v14, v8
	s_delay_alu instid0(VALU_DEP_3) | instskip(NEXT) | instid1(SALU_CYCLE_1)
	s_and_b32 s3, vcc_lo, s0
	s_and_saveexec_b32 s0, s3
	s_cbranch_execz .LBB82_31
; %bb.30:                               ;   in Loop: Header=BB82_25 Depth=1
	v_add_co_u32 v6, vcc_lo, v34, s4
	v_add_co_ci_u32_e32 v7, vcc_lo, s5, v35, vcc_lo
	v_add_co_u32 v10, vcc_lo, v36, s4
	v_add_co_ci_u32_e32 v11, vcc_lo, s5, v37, vcc_lo
	global_load_b64 v[14:15], v[6:7], off
	global_load_b64 v[22:23], v[10:11], off
.LBB82_31:                              ;   in Loop: Header=BB82_25 Depth=1
	s_or_b32 exec_lo, exec_lo, s0
	v_add_co_u32 v6, vcc_lo, s20, v0
	v_add_co_ci_u32_e32 v7, vcc_lo, 0, v1, vcc_lo
	v_dual_mov_b32 v11, v9 :: v_dual_mov_b32 v10, v8
	s_delay_alu instid0(VALU_DEP_2) | instskip(SKIP_1) | instid1(VALU_DEP_1)
	v_cmp_gt_i64_e32 vcc_lo, s[8:9], v[6:7]
	v_cmp_gt_u64_e64 s0, 0x10000, v[6:7]
	s_and_b32 s3, vcc_lo, s0
	s_delay_alu instid0(SALU_CYCLE_1)
	s_and_saveexec_b32 s0, s3
	s_cbranch_execz .LBB82_33
; %bb.32:                               ;   in Loop: Header=BB82_25 Depth=1
	v_add_co_u32 v8, vcc_lo, v30, s4
	v_add_co_ci_u32_e32 v9, vcc_lo, s5, v31, vcc_lo
	v_add_co_u32 v24, vcc_lo, v32, s4
	v_add_co_ci_u32_e32 v25, vcc_lo, s5, v33, vcc_lo
	global_load_b64 v[10:11], v[8:9], off
	global_load_b64 v[8:9], v[24:25], off
.LBB82_33:                              ;   in Loop: Header=BB82_25 Depth=1
	s_or_b32 exec_lo, exec_lo, s0
	s_waitcnt vmcnt(0)
	v_div_scale_f64 v[24:25], null, v[18:19], v[18:19], s[10:11]
	s_delay_alu instid0(VALU_DEP_1) | instskip(SKIP_2) | instid1(VALU_DEP_1)
	v_rcp_f64_e32 v[42:43], v[24:25]
	s_waitcnt_depctr 0xfff
	v_fma_f64 v[44:45], -v[24:25], v[42:43], 1.0
	v_fma_f64 v[42:43], v[42:43], v[44:45], v[42:43]
	s_delay_alu instid0(VALU_DEP_1) | instskip(NEXT) | instid1(VALU_DEP_1)
	v_fma_f64 v[44:45], -v[24:25], v[42:43], 1.0
	v_fma_f64 v[42:43], v[42:43], v[44:45], v[42:43]
	v_div_scale_f64 v[44:45], vcc_lo, s[10:11], v[18:19], s[10:11]
	s_delay_alu instid0(VALU_DEP_1) | instskip(NEXT) | instid1(VALU_DEP_1)
	v_mul_f64 v[46:47], v[44:45], v[42:43]
	v_fma_f64 v[24:25], -v[24:25], v[46:47], v[44:45]
	s_delay_alu instid0(VALU_DEP_1) | instskip(SKIP_1) | instid1(VALU_DEP_1)
	v_div_fmas_f64 v[24:25], v[24:25], v[42:43], v[46:47]
	s_and_b32 vcc_lo, exec_lo, s1
	v_div_fixup_f64 v[24:25], v[24:25], v[18:19], s[10:11]
	s_cbranch_vccz .LBB82_53
; %bb.34:                               ;   in Loop: Header=BB82_25 Depth=1
	s_delay_alu instid0(VALU_DEP_1)
	v_fma_f64 v[18:19], s[6:7], v[24:25], v[20:21]
	s_cbranch_execnz .LBB82_36
.LBB82_35:                              ;   in Loop: Header=BB82_25 Depth=1
	s_delay_alu instid0(VALU_DEP_1)
	v_add_f64 v[18:19], v[20:21], v[24:25]
.LBB82_36:                              ;   in Loop: Header=BB82_25 Depth=1
	v_div_scale_f64 v[20:21], null, v[12:13], v[12:13], s[10:11]
	s_delay_alu instid0(VALU_DEP_1) | instskip(SKIP_2) | instid1(VALU_DEP_1)
	v_rcp_f64_e32 v[24:25], v[20:21]
	s_waitcnt_depctr 0xfff
	v_fma_f64 v[42:43], -v[20:21], v[24:25], 1.0
	v_fma_f64 v[24:25], v[24:25], v[42:43], v[24:25]
	s_delay_alu instid0(VALU_DEP_1) | instskip(NEXT) | instid1(VALU_DEP_1)
	v_fma_f64 v[42:43], -v[20:21], v[24:25], 1.0
	v_fma_f64 v[24:25], v[24:25], v[42:43], v[24:25]
	v_div_scale_f64 v[42:43], vcc_lo, s[10:11], v[12:13], s[10:11]
	s_delay_alu instid0(VALU_DEP_1) | instskip(NEXT) | instid1(VALU_DEP_1)
	v_mul_f64 v[44:45], v[42:43], v[24:25]
	v_fma_f64 v[20:21], -v[20:21], v[44:45], v[42:43]
	s_delay_alu instid0(VALU_DEP_1) | instskip(SKIP_1) | instid1(VALU_DEP_1)
	v_div_fmas_f64 v[20:21], v[20:21], v[24:25], v[44:45]
	s_and_not1_b32 vcc_lo, exec_lo, s1
	v_div_fixup_f64 v[20:21], v[20:21], v[12:13], s[10:11]
	s_cbranch_vccnz .LBB82_54
; %bb.37:                               ;   in Loop: Header=BB82_25 Depth=1
	s_delay_alu instid0(VALU_DEP_1)
	v_fma_f64 v[12:13], s[6:7], v[20:21], v[16:17]
	s_cbranch_execnz .LBB82_39
.LBB82_38:                              ;   in Loop: Header=BB82_25 Depth=1
	s_delay_alu instid0(VALU_DEP_1)
	v_add_f64 v[12:13], v[16:17], v[20:21]
.LBB82_39:                              ;   in Loop: Header=BB82_25 Depth=1
	v_div_scale_f64 v[16:17], null, v[22:23], v[22:23], s[10:11]
	s_delay_alu instid0(VALU_DEP_1) | instskip(SKIP_2) | instid1(VALU_DEP_1)
	v_rcp_f64_e32 v[20:21], v[16:17]
	s_waitcnt_depctr 0xfff
	v_fma_f64 v[24:25], -v[16:17], v[20:21], 1.0
	v_fma_f64 v[20:21], v[20:21], v[24:25], v[20:21]
	s_delay_alu instid0(VALU_DEP_1) | instskip(NEXT) | instid1(VALU_DEP_1)
	v_fma_f64 v[24:25], -v[16:17], v[20:21], 1.0
	v_fma_f64 v[20:21], v[20:21], v[24:25], v[20:21]
	v_div_scale_f64 v[24:25], vcc_lo, s[10:11], v[22:23], s[10:11]
	s_delay_alu instid0(VALU_DEP_1) | instskip(NEXT) | instid1(VALU_DEP_1)
	v_mul_f64 v[42:43], v[24:25], v[20:21]
	v_fma_f64 v[16:17], -v[16:17], v[42:43], v[24:25]
	s_delay_alu instid0(VALU_DEP_1) | instskip(SKIP_1) | instid1(VALU_DEP_1)
	v_div_fmas_f64 v[16:17], v[16:17], v[20:21], v[42:43]
	s_and_not1_b32 vcc_lo, exec_lo, s1
	v_div_fixup_f64 v[20:21], v[16:17], v[22:23], s[10:11]
	s_cbranch_vccnz .LBB82_55
; %bb.40:                               ;   in Loop: Header=BB82_25 Depth=1
	s_delay_alu instid0(VALU_DEP_1)
	v_fma_f64 v[16:17], s[6:7], v[20:21], v[14:15]
	s_cbranch_execnz .LBB82_42
.LBB82_41:                              ;   in Loop: Header=BB82_25 Depth=1
	s_delay_alu instid0(VALU_DEP_1)
	v_add_f64 v[16:17], v[14:15], v[20:21]
.LBB82_42:                              ;   in Loop: Header=BB82_25 Depth=1
	v_div_scale_f64 v[14:15], null, v[8:9], v[8:9], s[10:11]
	s_delay_alu instid0(VALU_DEP_1) | instskip(SKIP_2) | instid1(VALU_DEP_1)
	v_rcp_f64_e32 v[20:21], v[14:15]
	s_waitcnt_depctr 0xfff
	v_fma_f64 v[22:23], -v[14:15], v[20:21], 1.0
	v_fma_f64 v[20:21], v[20:21], v[22:23], v[20:21]
	s_delay_alu instid0(VALU_DEP_1) | instskip(NEXT) | instid1(VALU_DEP_1)
	v_fma_f64 v[22:23], -v[14:15], v[20:21], 1.0
	v_fma_f64 v[20:21], v[20:21], v[22:23], v[20:21]
	v_div_scale_f64 v[22:23], vcc_lo, s[10:11], v[8:9], s[10:11]
	s_delay_alu instid0(VALU_DEP_1) | instskip(NEXT) | instid1(VALU_DEP_1)
	v_mul_f64 v[24:25], v[22:23], v[20:21]
	v_fma_f64 v[14:15], -v[14:15], v[24:25], v[22:23]
	s_delay_alu instid0(VALU_DEP_1) | instskip(SKIP_1) | instid1(VALU_DEP_1)
	v_div_fmas_f64 v[14:15], v[14:15], v[20:21], v[24:25]
	s_and_not1_b32 vcc_lo, exec_lo, s1
	v_div_fixup_f64 v[14:15], v[14:15], v[8:9], s[10:11]
	s_cbranch_vccnz .LBB82_56
; %bb.43:                               ;   in Loop: Header=BB82_25 Depth=1
	s_delay_alu instid0(VALU_DEP_1)
	v_fma_f64 v[8:9], s[6:7], v[14:15], v[10:11]
	s_cbranch_execnz .LBB82_45
.LBB82_44:                              ;   in Loop: Header=BB82_25 Depth=1
	s_delay_alu instid0(VALU_DEP_1)
	v_add_f64 v[8:9], v[10:11], v[14:15]
.LBB82_45:                              ;   in Loop: Header=BB82_25 Depth=1
	s_mov_b32 s0, exec_lo
	v_cmpx_gt_u64_e64 s[12:13], v[0:1]
	s_xor_b32 s0, exec_lo, s0
	s_cbranch_execz .LBB82_47
; %bb.46:                               ;   in Loop: Header=BB82_25 Depth=1
	v_add_co_u32 v10, vcc_lo, v26, s4
	v_add_co_ci_u32_e32 v11, vcc_lo, s5, v27, vcc_lo
	global_store_b64 v[10:11], v[18:19], off
.LBB82_47:                              ;   in Loop: Header=BB82_25 Depth=1
	s_or_b32 exec_lo, exec_lo, s0
	s_delay_alu instid0(SALU_CYCLE_1)
	s_mov_b32 s0, exec_lo
	v_cmpx_gt_u64_e64 s[12:13], v[2:3]
	s_cbranch_execnz .LBB82_50
; %bb.48:                               ;   in Loop: Header=BB82_25 Depth=1
	s_or_b32 exec_lo, exec_lo, s0
	s_delay_alu instid0(SALU_CYCLE_1)
	s_mov_b32 s0, exec_lo
	v_cmpx_gt_u64_e64 s[12:13], v[4:5]
	s_cbranch_execnz .LBB82_51
.LBB82_49:                              ;   in Loop: Header=BB82_25 Depth=1
	s_or_b32 exec_lo, exec_lo, s0
	s_delay_alu instid0(SALU_CYCLE_1)
	s_mov_b32 s0, exec_lo
	v_cmpx_gt_u64_e64 s[12:13], v[6:7]
	s_cbranch_execz .LBB82_24
	s_branch .LBB82_52
.LBB82_50:                              ;   in Loop: Header=BB82_25 Depth=1
	v_add_co_u32 v2, vcc_lo, v38, s4
	v_add_co_ci_u32_e32 v3, vcc_lo, s5, v39, vcc_lo
	global_store_b64 v[2:3], v[12:13], off
	s_or_b32 exec_lo, exec_lo, s0
	s_delay_alu instid0(SALU_CYCLE_1)
	s_mov_b32 s0, exec_lo
	v_cmpx_gt_u64_e64 s[12:13], v[4:5]
	s_cbranch_execz .LBB82_49
.LBB82_51:                              ;   in Loop: Header=BB82_25 Depth=1
	v_add_co_u32 v2, vcc_lo, v34, s4
	v_add_co_ci_u32_e32 v3, vcc_lo, s5, v35, vcc_lo
	global_store_b64 v[2:3], v[16:17], off
	s_or_b32 exec_lo, exec_lo, s0
	s_delay_alu instid0(SALU_CYCLE_1)
	s_mov_b32 s0, exec_lo
	v_cmpx_gt_u64_e64 s[12:13], v[6:7]
	s_cbranch_execz .LBB82_24
.LBB82_52:                              ;   in Loop: Header=BB82_25 Depth=1
	v_add_co_u32 v2, vcc_lo, v30, s4
	v_add_co_ci_u32_e32 v3, vcc_lo, s5, v31, vcc_lo
	global_store_b64 v[2:3], v[8:9], off
	s_branch .LBB82_24
.LBB82_53:                              ;   in Loop: Header=BB82_25 Depth=1
                                        ; implicit-def: $vgpr18_vgpr19
	s_branch .LBB82_35
.LBB82_54:                              ;   in Loop: Header=BB82_25 Depth=1
                                        ; implicit-def: $vgpr12_vgpr13
	s_branch .LBB82_38
.LBB82_55:                              ;   in Loop: Header=BB82_25 Depth=1
                                        ; implicit-def: $vgpr16_vgpr17
	s_branch .LBB82_41
.LBB82_56:                              ;   in Loop: Header=BB82_25 Depth=1
                                        ; implicit-def: $vgpr8_vgpr9
	s_branch .LBB82_44
.LBB82_57:
	s_nop 0
	s_sendmsg sendmsg(MSG_DEALLOC_VGPRS)
	s_endpgm
	.section	.rodata,"a",@progbits
	.p2align	6, 0x0
	.amdhsa_kernel _ZN2at6native12_GLOBAL__N_125multi_tensor_apply_kernelINS1_18TensorListMetadataILi3EEENS1_32PointwiseOpScalar0dTensorFunctorIdLi3ELi2ELi0EEEJSt7dividesIdEdEEEvT_T0_DpT1_
		.amdhsa_group_segment_fixed_size 0
		.amdhsa_private_segment_fixed_size 0
		.amdhsa_kernarg_size 3416
		.amdhsa_user_sgpr_count 15
		.amdhsa_user_sgpr_dispatch_ptr 0
		.amdhsa_user_sgpr_queue_ptr 0
		.amdhsa_user_sgpr_kernarg_segment_ptr 1
		.amdhsa_user_sgpr_dispatch_id 0
		.amdhsa_user_sgpr_private_segment_size 0
		.amdhsa_wavefront_size32 1
		.amdhsa_uses_dynamic_stack 0
		.amdhsa_enable_private_segment 0
		.amdhsa_system_sgpr_workgroup_id_x 1
		.amdhsa_system_sgpr_workgroup_id_y 0
		.amdhsa_system_sgpr_workgroup_id_z 0
		.amdhsa_system_sgpr_workgroup_info 0
		.amdhsa_system_vgpr_workitem_id 0
		.amdhsa_next_free_vgpr 48
		.amdhsa_next_free_sgpr 26
		.amdhsa_reserve_vcc 1
		.amdhsa_float_round_mode_32 0
		.amdhsa_float_round_mode_16_64 0
		.amdhsa_float_denorm_mode_32 3
		.amdhsa_float_denorm_mode_16_64 3
		.amdhsa_dx10_clamp 1
		.amdhsa_ieee_mode 1
		.amdhsa_fp16_overflow 0
		.amdhsa_workgroup_processor_mode 1
		.amdhsa_memory_ordered 1
		.amdhsa_forward_progress 0
		.amdhsa_shared_vgpr_count 0
		.amdhsa_exception_fp_ieee_invalid_op 0
		.amdhsa_exception_fp_denorm_src 0
		.amdhsa_exception_fp_ieee_div_zero 0
		.amdhsa_exception_fp_ieee_overflow 0
		.amdhsa_exception_fp_ieee_underflow 0
		.amdhsa_exception_fp_ieee_inexact 0
		.amdhsa_exception_int_div_zero 0
	.end_amdhsa_kernel
	.section	.text._ZN2at6native12_GLOBAL__N_125multi_tensor_apply_kernelINS1_18TensorListMetadataILi3EEENS1_32PointwiseOpScalar0dTensorFunctorIdLi3ELi2ELi0EEEJSt7dividesIdEdEEEvT_T0_DpT1_,"axG",@progbits,_ZN2at6native12_GLOBAL__N_125multi_tensor_apply_kernelINS1_18TensorListMetadataILi3EEENS1_32PointwiseOpScalar0dTensorFunctorIdLi3ELi2ELi0EEEJSt7dividesIdEdEEEvT_T0_DpT1_,comdat
.Lfunc_end82:
	.size	_ZN2at6native12_GLOBAL__N_125multi_tensor_apply_kernelINS1_18TensorListMetadataILi3EEENS1_32PointwiseOpScalar0dTensorFunctorIdLi3ELi2ELi0EEEJSt7dividesIdEdEEEvT_T0_DpT1_, .Lfunc_end82-_ZN2at6native12_GLOBAL__N_125multi_tensor_apply_kernelINS1_18TensorListMetadataILi3EEENS1_32PointwiseOpScalar0dTensorFunctorIdLi3ELi2ELi0EEEJSt7dividesIdEdEEEvT_T0_DpT1_
                                        ; -- End function
	.section	.AMDGPU.csdata,"",@progbits
; Kernel info:
; codeLenInByte = 2772
; NumSgprs: 28
; NumVgprs: 48
; ScratchSize: 0
; MemoryBound: 1
; FloatMode: 240
; IeeeMode: 1
; LDSByteSize: 0 bytes/workgroup (compile time only)
; SGPRBlocks: 3
; VGPRBlocks: 5
; NumSGPRsForWavesPerEU: 28
; NumVGPRsForWavesPerEU: 48
; Occupancy: 16
; WaveLimiterHint : 0
; COMPUTE_PGM_RSRC2:SCRATCH_EN: 0
; COMPUTE_PGM_RSRC2:USER_SGPR: 15
; COMPUTE_PGM_RSRC2:TRAP_HANDLER: 0
; COMPUTE_PGM_RSRC2:TGID_X_EN: 1
; COMPUTE_PGM_RSRC2:TGID_Y_EN: 0
; COMPUTE_PGM_RSRC2:TGID_Z_EN: 0
; COMPUTE_PGM_RSRC2:TIDIG_COMP_CNT: 0
	.section	.text._ZN2at6native12_GLOBAL__N_125multi_tensor_apply_kernelINS1_18TensorListMetadataILi3EEENS1_32PointwiseOpScalar0dTensorFunctorIfLi3ELi2ELi0EEEJSt7dividesIfEfEEEvT_T0_DpT1_,"axG",@progbits,_ZN2at6native12_GLOBAL__N_125multi_tensor_apply_kernelINS1_18TensorListMetadataILi3EEENS1_32PointwiseOpScalar0dTensorFunctorIfLi3ELi2ELi0EEEJSt7dividesIfEfEEEvT_T0_DpT1_,comdat
	.globl	_ZN2at6native12_GLOBAL__N_125multi_tensor_apply_kernelINS1_18TensorListMetadataILi3EEENS1_32PointwiseOpScalar0dTensorFunctorIfLi3ELi2ELi0EEEJSt7dividesIfEfEEEvT_T0_DpT1_ ; -- Begin function _ZN2at6native12_GLOBAL__N_125multi_tensor_apply_kernelINS1_18TensorListMetadataILi3EEENS1_32PointwiseOpScalar0dTensorFunctorIfLi3ELi2ELi0EEEJSt7dividesIfEfEEEvT_T0_DpT1_
	.p2align	8
	.type	_ZN2at6native12_GLOBAL__N_125multi_tensor_apply_kernelINS1_18TensorListMetadataILi3EEENS1_32PointwiseOpScalar0dTensorFunctorIfLi3ELi2ELi0EEEJSt7dividesIfEfEEEvT_T0_DpT1_,@function
_ZN2at6native12_GLOBAL__N_125multi_tensor_apply_kernelINS1_18TensorListMetadataILi3EEENS1_32PointwiseOpScalar0dTensorFunctorIfLi3ELi2ELi0EEEJSt7dividesIfEfEEEvT_T0_DpT1_: ; @_ZN2at6native12_GLOBAL__N_125multi_tensor_apply_kernelINS1_18TensorListMetadataILi3EEENS1_32PointwiseOpScalar0dTensorFunctorIfLi3ELi2ELi0EEEJSt7dividesIfEfEEEvT_T0_DpT1_
; %bb.0:
	v_mov_b32_e32 v1, s15
	s_add_u32 s2, s0, s15
	s_mul_hi_u32 s3, s15, 3
	s_mul_i32 s15, s15, 3
	s_addc_u32 s4, s1, 0
	global_load_u8 v1, v1, s[0:1] offset:1536
	s_load_b32 s14, s[0:1], 0xc4c
	s_add_u32 s2, s2, s15
	s_addc_u32 s3, s4, s3
	s_mov_b32 s23, 0
	s_load_b32 s2, s[2:3], 0x740
	s_mov_b32 s25, s23
	s_waitcnt vmcnt(0)
	v_readfirstlane_b32 s3, v1
	s_delay_alu instid0(VALU_DEP_1)
	s_lshl_b32 s3, s3, 3
	s_clause 0x3
	s_load_b64 s[10:11], s[0:1], s3 offset:0x0
	s_load_b64 s[4:5], s[0:1], s3 offset:0x180
	;; [unrolled: 1-line block ×4, first 2 shown]
	s_waitcnt lgkmcnt(0)
	s_ashr_i32 s3, s2, 31
	s_delay_alu instid0(SALU_CYCLE_1) | instskip(NEXT) | instid1(SALU_CYCLE_1)
	s_lshl_b64 s[6:7], s[2:3], 18
	s_add_u32 s16, s10, s6
	s_addc_u32 s17, s11, s7
	s_add_u32 s8, s4, s6
	s_and_b32 s22, s16, 15
	s_add_u32 s18, s12, s6
	s_addc_u32 s19, s13, s7
	s_or_b32 s8, s18, s8
	s_load_b32 s15, s[4:5], 0x0
	s_and_b32 s8, s8, 15
	s_delay_alu instid0(SALU_CYCLE_1) | instskip(SKIP_2) | instid1(SALU_CYCLE_1)
	s_cmp_lg_u32 s8, 0
	s_cselect_b32 s26, -1, 0
	s_lshl_b64 s[2:3], s[2:3], 16
	s_sub_u32 s8, s20, s2
	s_subb_u32 s9, s21, s3
	s_and_b32 s24, s20, 3
	s_delay_alu instid0(SALU_CYCLE_1) | instskip(NEXT) | instid1(SALU_CYCLE_1)
	s_or_b64 s[2:3], s[22:23], s[24:25]
	s_cmp_lg_u64 s[2:3], 0
	s_cselect_b32 s2, -1, 0
	s_delay_alu instid0(SALU_CYCLE_1) | instskip(NEXT) | instid1(SALU_CYCLE_1)
	s_or_b32 s2, s26, s2
	s_and_not1_b32 vcc_lo, exec_lo, s2
	s_mov_b32 s2, -1
	s_cbranch_vccz .LBB83_5
; %bb.1:
	v_dual_mov_b32 v2, 0 :: v_dual_lshlrev_b32 v1, 2, v0
	s_mov_b32 s20, exec_lo
	s_delay_alu instid0(VALU_DEP_1)
	v_cmpx_gt_i64_e64 s[8:9], v[1:2]
	s_cbranch_execz .LBB83_4
; %bb.2:
	s_load_b32 s2, s[0:1], 0xc5c
	v_lshlrev_b32_e32 v3, 4, v0
	s_mov_b32 s21, 0
	s_waitcnt lgkmcnt(0)
	s_and_b32 s3, s2, 0xffff
	v_cmp_eq_f32_e64 s2, s14, 1.0
	v_add_lshl_u32 v1, v0, s3, 2
	s_lshl_b32 s22, s3, 2
	s_lshl_b32 s23, s3, 4
.LBB83_3:                               ; =>This Inner Loop Header: Depth=1
	v_add_co_u32 v4, s3, s18, v3
	s_delay_alu instid0(VALU_DEP_1) | instskip(SKIP_1) | instid1(VALU_DEP_1)
	v_add_co_ci_u32_e64 v5, null, s19, 0, s3
	v_add_co_u32 v12, s3, s16, v3
	v_add_co_ci_u32_e64 v13, null, s17, 0, s3
	global_load_b128 v[4:7], v[4:5], off
	v_cmp_le_i64_e32 vcc_lo, s[8:9], v[1:2]
	v_cmp_lt_u64_e64 s3, 0xffff, v[1:2]
	global_load_b128 v[8:11], v[12:13], off
	v_add_co_u32 v1, s4, v1, s22
	s_delay_alu instid0(VALU_DEP_1)
	v_add_co_ci_u32_e64 v2, s4, 0, v2, s4
	s_or_b32 s24, vcc_lo, s3
	s_add_u32 s16, s16, s23
	s_addc_u32 s17, s17, 0
	s_add_u32 s18, s18, s23
	s_addc_u32 s19, s19, 0
	s_waitcnt vmcnt(1)
	v_div_scale_f32 v14, null, v4, v4, s15
	v_div_scale_f32 v16, null, v5, v5, s15
	;; [unrolled: 1-line block ×3, first 2 shown]
	s_delay_alu instid0(VALU_DEP_3) | instskip(SKIP_1) | instid1(VALU_DEP_3)
	v_rcp_f32_e32 v22, v14
	v_div_scale_f32 v20, null, v7, v7, s15
	v_rcp_f32_e32 v23, v16
	s_delay_alu instid0(VALU_DEP_2) | instskip(SKIP_1) | instid1(VALU_DEP_2)
	v_rcp_f32_e32 v24, v18
	v_div_scale_f32 v15, vcc_lo, s15, v4, s15
	v_rcp_f32_e32 v25, v20
	v_div_scale_f32 v17, s3, s15, v5, s15
	v_fma_f32 v26, -v14, v22, 1.0
	v_div_scale_f32 v19, s4, s15, v6, s15
	s_delay_alu instid0(TRANS32_DEP_3) | instskip(NEXT) | instid1(TRANS32_DEP_2)
	v_fma_f32 v27, -v16, v23, 1.0
	v_fma_f32 v28, -v18, v24, 1.0
	s_delay_alu instid0(VALU_DEP_4) | instskip(SKIP_1) | instid1(VALU_DEP_4)
	v_fmac_f32_e32 v22, v26, v22
	v_div_scale_f32 v21, s5, s15, v7, s15
	v_fmac_f32_e32 v23, v27, v23
	s_delay_alu instid0(TRANS32_DEP_1) | instskip(SKIP_1) | instid1(VALU_DEP_3)
	v_fma_f32 v29, -v20, v25, 1.0
	v_fmac_f32_e32 v24, v28, v24
	v_dual_mul_f32 v26, v15, v22 :: v_dual_mul_f32 v27, v17, v23
	s_delay_alu instid0(VALU_DEP_2) | instskip(NEXT) | instid1(VALU_DEP_2)
	v_dual_fmac_f32 v25, v29, v25 :: v_dual_mul_f32 v28, v19, v24
	v_fma_f32 v30, -v14, v26, v15
	s_delay_alu instid0(VALU_DEP_3) | instskip(NEXT) | instid1(VALU_DEP_3)
	v_fma_f32 v31, -v16, v27, v17
	v_mul_f32_e32 v29, v21, v25
	s_delay_alu instid0(VALU_DEP_4) | instskip(NEXT) | instid1(VALU_DEP_3)
	v_fma_f32 v32, -v18, v28, v19
	v_dual_fmac_f32 v26, v30, v22 :: v_dual_fmac_f32 v27, v31, v23
	s_delay_alu instid0(VALU_DEP_3) | instskip(NEXT) | instid1(VALU_DEP_3)
	v_fma_f32 v33, -v20, v29, v21
	v_fmac_f32_e32 v28, v32, v24
	s_delay_alu instid0(VALU_DEP_3) | instskip(NEXT) | instid1(VALU_DEP_4)
	v_fma_f32 v14, -v14, v26, v15
	v_fma_f32 v15, -v16, v27, v17
	s_delay_alu instid0(VALU_DEP_4) | instskip(NEXT) | instid1(VALU_DEP_4)
	v_fmac_f32_e32 v29, v33, v25
	v_fma_f32 v16, -v18, v28, v19
	s_delay_alu instid0(VALU_DEP_4)
	v_div_fmas_f32 v14, v14, v22, v26
	s_mov_b32 vcc_lo, s3
	s_and_b32 s3, exec_lo, s24
	v_fma_f32 v17, -v20, v29, v21
	v_div_fmas_f32 v15, v15, v23, v27
	s_mov_b32 vcc_lo, s4
	v_div_fixup_f32 v4, v14, v4, s15
	v_div_fmas_f32 v16, v16, v24, v28
	s_mov_b32 vcc_lo, s5
	v_div_fixup_f32 v5, v15, v5, s15
	v_div_fmas_f32 v14, v17, v25, v29
	s_waitcnt vmcnt(0)
	v_add_f32_e32 v15, v8, v4
	v_div_fixup_f32 v6, v16, v6, s15
	v_fma_f32 v4, s14, v4, v8
	v_add_f32_e32 v8, v9, v5
	v_div_fixup_f32 v7, v14, v7, s15
	v_fma_f32 v5, s14, v5, v9
	v_add_f32_e32 v9, v10, v6
	v_fma_f32 v6, s14, v6, v10
	v_cndmask_b32_e64 v4, v4, v15, s2
	v_add_f32_e32 v10, v11, v7
	v_fmac_f32_e32 v11, s14, v7
	v_cndmask_b32_e64 v5, v5, v8, s2
	v_cndmask_b32_e64 v6, v6, v9, s2
	s_or_b32 s21, s3, s21
	s_delay_alu instid0(VALU_DEP_3)
	v_cndmask_b32_e64 v7, v11, v10, s2
	global_store_b128 v[12:13], v[4:7], off
	s_and_not1_b32 exec_lo, exec_lo, s21
	s_cbranch_execnz .LBB83_3
.LBB83_4:
	s_or_b32 exec_lo, exec_lo, s20
	s_mov_b32 s2, 0
.LBB83_5:
	s_delay_alu instid0(SALU_CYCLE_1)
	s_and_not1_b32 vcc_lo, exec_lo, s2
	s_cbranch_vccnz .LBB83_25
; %bb.6:
	v_cmp_lt_i64_e64 s2, s[8:9], 1
	s_delay_alu instid0(VALU_DEP_1)
	s_and_b32 vcc_lo, exec_lo, s2
	s_cbranch_vccnz .LBB83_25
; %bb.7:
	s_load_b32 s1, s[0:1], 0xc5c
	v_dual_mov_b32 v1, 0 :: v_dual_lshlrev_b32 v2, 2, v0
	v_cmp_gt_u64_e64 s2, 0x10000, s[8:9]
	v_cmp_eq_f32_e64 s0, s14, 1.0
	s_mov_b32 s3, 0
	s_delay_alu instid0(VALU_DEP_3) | instskip(SKIP_1) | instid1(VALU_DEP_1)
	v_mov_b32_e32 v3, v1
	v_add_co_u32 v8, s4, s10, v2
	v_add_co_ci_u32_e64 v9, null, s11, 0, s4
	v_add_co_u32 v10, s4, s12, v2
	s_delay_alu instid0(VALU_DEP_1)
	v_add_co_ci_u32_e64 v11, null, s13, 0, s4
	s_waitcnt lgkmcnt(0)
	s_and_b32 s16, s1, 0xffff
	s_and_b32 s1, s2, exec_lo
	v_mad_u64_u32 v[4:5], null, s16, 12, v[2:3]
	s_cselect_b32 s5, s9, 0
	s_cselect_b32 s4, s8, 0x10000
	s_lshl_b32 s1, s16, 3
	s_lshl_b32 s2, s16, 2
	v_add_co_u32 v2, s1, s1, v2
	s_delay_alu instid0(VALU_DEP_2) | instskip(NEXT) | instid1(VALU_DEP_3)
	v_add_co_u32 v12, vcc_lo, s10, v4
	v_add_co_ci_u32_e32 v13, vcc_lo, s11, v5, vcc_lo
	v_add_co_u32 v14, vcc_lo, s12, v4
	v_add_lshl_u32 v4, v0, s16, 2
	v_add_co_ci_u32_e64 v3, null, 0, 0, s1
	v_add_co_ci_u32_e32 v15, vcc_lo, s13, v5, vcc_lo
	v_add_co_u32 v16, vcc_lo, s10, v2
	s_delay_alu instid0(VALU_DEP_4) | instskip(NEXT) | instid1(VALU_DEP_4)
	v_add_co_u32 v20, s1, s10, v4
	v_add_co_ci_u32_e32 v17, vcc_lo, s11, v3, vcc_lo
	v_add_co_u32 v18, vcc_lo, s12, v2
	v_add_co_ci_u32_e64 v21, null, s11, 0, s1
	v_add_co_u32 v22, s1, s12, v4
	v_add_co_ci_u32_e32 v19, vcc_lo, s13, v3, vcc_lo
	v_add_co_ci_u32_e64 v23, null, s13, 0, s1
	s_lshl_b32 s17, s16, 1
	s_mul_i32 s18, s16, 3
	s_lshl_b32 s12, s16, 4
	s_mov_b64 s[10:11], s[2:3]
	s_branch .LBB83_9
.LBB83_8:                               ;   in Loop: Header=BB83_9 Depth=1
	s_or_b32 exec_lo, exec_lo, s1
	v_add_co_u32 v8, vcc_lo, v8, s12
	v_add_co_ci_u32_e32 v9, vcc_lo, 0, v9, vcc_lo
	v_add_co_u32 v10, vcc_lo, v10, s12
	v_add_co_ci_u32_e32 v11, vcc_lo, 0, v11, vcc_lo
	v_add_co_u32 v0, vcc_lo, v0, s2
	v_add_co_ci_u32_e32 v1, vcc_lo, 0, v1, vcc_lo
	v_add_co_u32 v12, vcc_lo, v12, s12
	v_add_co_ci_u32_e32 v13, vcc_lo, 0, v13, vcc_lo
	v_add_co_u32 v14, vcc_lo, v14, s12
	v_add_co_ci_u32_e32 v15, vcc_lo, 0, v15, vcc_lo
	v_add_co_u32 v16, vcc_lo, v16, s12
	v_add_co_ci_u32_e32 v17, vcc_lo, 0, v17, vcc_lo
	v_add_co_u32 v18, vcc_lo, v18, s12
	v_add_co_ci_u32_e32 v19, vcc_lo, 0, v19, vcc_lo
	v_cmp_ge_i64_e64 s1, s[10:11], s[8:9]
	v_cmp_lt_u64_e64 s3, 0xffff, s[10:11]
	v_add_co_u32 v20, vcc_lo, v20, s12
	v_add_co_ci_u32_e32 v21, vcc_lo, 0, v21, vcc_lo
	v_add_co_u32 v22, vcc_lo, v22, s12
	v_add_co_ci_u32_e32 v23, vcc_lo, 0, v23, vcc_lo
	s_or_b32 s1, s1, s3
	s_add_u32 s10, s10, s2
	s_addc_u32 s11, s11, 0
	s_and_b32 vcc_lo, exec_lo, s1
	s_cbranch_vccnz .LBB83_25
.LBB83_9:                               ; =>This Inner Loop Header: Depth=1
	v_cmp_gt_i64_e32 vcc_lo, s[8:9], v[0:1]
	v_cmp_gt_u64_e64 s1, 0x10000, v[0:1]
	s_waitcnt vmcnt(0)
	v_dual_mov_b32 v30, 0 :: v_dual_mov_b32 v27, 0
	s_delay_alu instid0(VALU_DEP_2) | instskip(NEXT) | instid1(SALU_CYCLE_1)
	s_and_b32 s3, vcc_lo, s1
	s_and_saveexec_b32 s1, s3
	s_cbranch_execz .LBB83_11
; %bb.10:                               ;   in Loop: Header=BB83_9 Depth=1
	v_add_co_u32 v2, vcc_lo, v8, s6
	v_add_co_ci_u32_e32 v3, vcc_lo, s7, v9, vcc_lo
	v_add_co_u32 v4, vcc_lo, v10, s6
	v_add_co_ci_u32_e32 v5, vcc_lo, s7, v11, vcc_lo
	global_load_b32 v27, v[2:3], off
	global_load_b32 v30, v[4:5], off
.LBB83_11:                              ;   in Loop: Header=BB83_9 Depth=1
	s_or_b32 exec_lo, exec_lo, s1
	v_add_co_u32 v4, vcc_lo, s16, v0
	v_add_co_ci_u32_e32 v5, vcc_lo, 0, v1, vcc_lo
	v_dual_mov_b32 v24, 0 :: v_dual_mov_b32 v31, 0
	v_mov_b32_e32 v28, 0
	s_delay_alu instid0(VALU_DEP_3) | instskip(SKIP_1) | instid1(VALU_DEP_1)
	v_cmp_gt_i64_e32 vcc_lo, s[8:9], v[4:5]
	v_cmp_gt_u64_e64 s1, 0x10000, v[4:5]
	s_and_b32 s3, vcc_lo, s1
	s_delay_alu instid0(SALU_CYCLE_1)
	s_and_saveexec_b32 s1, s3
	s_cbranch_execz .LBB83_13
; %bb.12:                               ;   in Loop: Header=BB83_9 Depth=1
	v_add_co_u32 v2, vcc_lo, v20, s6
	v_add_co_ci_u32_e32 v3, vcc_lo, s7, v21, vcc_lo
	v_add_co_u32 v6, vcc_lo, v22, s6
	v_add_co_ci_u32_e32 v7, vcc_lo, s7, v23, vcc_lo
	global_load_b32 v28, v[2:3], off
	global_load_b32 v31, v[6:7], off
.LBB83_13:                              ;   in Loop: Header=BB83_9 Depth=1
	s_or_b32 exec_lo, exec_lo, s1
	v_add_co_u32 v6, vcc_lo, s17, v0
	v_add_co_ci_u32_e32 v7, vcc_lo, 0, v1, vcc_lo
	v_mov_b32_e32 v25, 0
	s_delay_alu instid0(VALU_DEP_2) | instskip(SKIP_1) | instid1(VALU_DEP_1)
	v_cmp_gt_i64_e32 vcc_lo, s[8:9], v[6:7]
	v_cmp_gt_u64_e64 s1, 0x10000, v[6:7]
	s_and_b32 s3, vcc_lo, s1
	s_delay_alu instid0(SALU_CYCLE_1)
	s_and_saveexec_b32 s1, s3
	s_cbranch_execz .LBB83_15
; %bb.14:                               ;   in Loop: Header=BB83_9 Depth=1
	v_add_co_u32 v2, vcc_lo, v16, s6
	v_add_co_ci_u32_e32 v3, vcc_lo, s7, v17, vcc_lo
	v_add_co_u32 v32, vcc_lo, v18, s6
	v_add_co_ci_u32_e32 v33, vcc_lo, s7, v19, vcc_lo
	global_load_b32 v25, v[2:3], off
	global_load_b32 v24, v[32:33], off
.LBB83_15:                              ;   in Loop: Header=BB83_9 Depth=1
	s_or_b32 exec_lo, exec_lo, s1
	v_add_co_u32 v2, vcc_lo, s18, v0
	v_add_co_ci_u32_e32 v3, vcc_lo, 0, v1, vcc_lo
	v_dual_mov_b32 v29, 0 :: v_dual_mov_b32 v26, 0
	s_delay_alu instid0(VALU_DEP_2) | instskip(SKIP_1) | instid1(VALU_DEP_1)
	v_cmp_gt_i64_e32 vcc_lo, s[8:9], v[2:3]
	v_cmp_gt_u64_e64 s1, 0x10000, v[2:3]
	s_and_b32 s3, vcc_lo, s1
	s_delay_alu instid0(SALU_CYCLE_1)
	s_and_saveexec_b32 s1, s3
	s_cbranch_execnz .LBB83_20
; %bb.16:                               ;   in Loop: Header=BB83_9 Depth=1
	s_or_b32 exec_lo, exec_lo, s1
	s_delay_alu instid0(SALU_CYCLE_1)
	s_mov_b32 s1, exec_lo
	v_cmpx_gt_u64_e64 s[4:5], v[0:1]
	s_cbranch_execnz .LBB83_21
.LBB83_17:                              ;   in Loop: Header=BB83_9 Depth=1
	s_or_b32 exec_lo, exec_lo, s1
	s_delay_alu instid0(SALU_CYCLE_1)
	s_mov_b32 s1, exec_lo
	v_cmpx_gt_u64_e64 s[4:5], v[4:5]
	s_cbranch_execnz .LBB83_22
.LBB83_18:                              ;   in Loop: Header=BB83_9 Depth=1
	s_or_b32 exec_lo, exec_lo, s1
	s_delay_alu instid0(SALU_CYCLE_1)
	s_mov_b32 s1, exec_lo
	v_cmpx_gt_u64_e64 s[4:5], v[6:7]
	s_cbranch_execnz .LBB83_23
.LBB83_19:                              ;   in Loop: Header=BB83_9 Depth=1
	s_or_b32 exec_lo, exec_lo, s1
	s_delay_alu instid0(SALU_CYCLE_1)
	s_mov_b32 s1, exec_lo
	v_cmpx_gt_u64_e64 s[4:5], v[2:3]
	s_cbranch_execz .LBB83_8
	s_branch .LBB83_24
.LBB83_20:                              ;   in Loop: Header=BB83_9 Depth=1
	v_add_co_u32 v32, vcc_lo, v12, s6
	v_add_co_ci_u32_e32 v33, vcc_lo, s7, v13, vcc_lo
	v_add_co_u32 v34, vcc_lo, v14, s6
	v_add_co_ci_u32_e32 v35, vcc_lo, s7, v15, vcc_lo
	global_load_b32 v26, v[32:33], off
	global_load_b32 v29, v[34:35], off
	s_or_b32 exec_lo, exec_lo, s1
	s_delay_alu instid0(SALU_CYCLE_1)
	s_mov_b32 s1, exec_lo
	v_cmpx_gt_u64_e64 s[4:5], v[0:1]
	s_cbranch_execz .LBB83_17
.LBB83_21:                              ;   in Loop: Header=BB83_9 Depth=1
	s_waitcnt vmcnt(0)
	v_div_scale_f32 v32, null, v30, v30, s15
	v_div_scale_f32 v35, vcc_lo, s15, v30, s15
	s_delay_alu instid0(VALU_DEP_2) | instskip(SKIP_2) | instid1(VALU_DEP_1)
	v_rcp_f32_e32 v33, v32
	s_waitcnt_depctr 0xfff
	v_fma_f32 v34, -v32, v33, 1.0
	v_fmac_f32_e32 v33, v34, v33
	s_delay_alu instid0(VALU_DEP_1) | instskip(NEXT) | instid1(VALU_DEP_1)
	v_mul_f32_e32 v34, v35, v33
	v_fma_f32 v36, -v32, v34, v35
	s_delay_alu instid0(VALU_DEP_1) | instskip(NEXT) | instid1(VALU_DEP_1)
	v_fmac_f32_e32 v34, v36, v33
	v_fma_f32 v32, -v32, v34, v35
	s_delay_alu instid0(VALU_DEP_1) | instskip(NEXT) | instid1(VALU_DEP_1)
	v_div_fmas_f32 v32, v32, v33, v34
	v_div_fixup_f32 v30, v32, v30, s15
	s_delay_alu instid0(VALU_DEP_1) | instskip(SKIP_1) | instid1(VALU_DEP_1)
	v_add_f32_e32 v32, v27, v30
	v_fmac_f32_e32 v27, s14, v30
	v_cndmask_b32_e64 v27, v27, v32, s0
	v_add_co_u32 v32, vcc_lo, v8, s6
	v_add_co_ci_u32_e32 v33, vcc_lo, s7, v9, vcc_lo
	global_store_b32 v[32:33], v27, off
	s_or_b32 exec_lo, exec_lo, s1
	s_delay_alu instid0(SALU_CYCLE_1)
	s_mov_b32 s1, exec_lo
	v_cmpx_gt_u64_e64 s[4:5], v[4:5]
	s_cbranch_execz .LBB83_18
.LBB83_22:                              ;   in Loop: Header=BB83_9 Depth=1
	s_waitcnt vmcnt(0)
	v_div_scale_f32 v4, null, v31, v31, s15
	v_div_scale_f32 v30, vcc_lo, s15, v31, s15
	s_delay_alu instid0(VALU_DEP_2) | instskip(SKIP_2) | instid1(VALU_DEP_1)
	v_rcp_f32_e32 v5, v4
	s_waitcnt_depctr 0xfff
	v_fma_f32 v27, -v4, v5, 1.0
	v_fmac_f32_e32 v5, v27, v5
	s_delay_alu instid0(VALU_DEP_1) | instskip(NEXT) | instid1(VALU_DEP_1)
	v_mul_f32_e32 v27, v30, v5
	v_fma_f32 v32, -v4, v27, v30
	s_delay_alu instid0(VALU_DEP_1) | instskip(NEXT) | instid1(VALU_DEP_1)
	v_fmac_f32_e32 v27, v32, v5
	v_fma_f32 v4, -v4, v27, v30
	s_delay_alu instid0(VALU_DEP_1) | instskip(NEXT) | instid1(VALU_DEP_1)
	v_div_fmas_f32 v4, v4, v5, v27
	v_div_fixup_f32 v4, v4, v31, s15
	s_delay_alu instid0(VALU_DEP_1) | instskip(SKIP_2) | instid1(VALU_DEP_2)
	v_add_f32_e32 v5, v28, v4
	v_fmac_f32_e32 v28, s14, v4
	v_add_co_u32 v4, vcc_lo, v20, s6
	v_cndmask_b32_e64 v27, v28, v5, s0
	v_add_co_ci_u32_e32 v5, vcc_lo, s7, v21, vcc_lo
	global_store_b32 v[4:5], v27, off
	s_or_b32 exec_lo, exec_lo, s1
	s_delay_alu instid0(SALU_CYCLE_1)
	s_mov_b32 s1, exec_lo
	v_cmpx_gt_u64_e64 s[4:5], v[6:7]
	s_cbranch_execz .LBB83_19
.LBB83_23:                              ;   in Loop: Header=BB83_9 Depth=1
	s_waitcnt vmcnt(0)
	v_div_scale_f32 v4, null, v24, v24, s15
	v_div_scale_f32 v7, vcc_lo, s15, v24, s15
	s_delay_alu instid0(VALU_DEP_2) | instskip(SKIP_2) | instid1(VALU_DEP_1)
	v_rcp_f32_e32 v5, v4
	s_waitcnt_depctr 0xfff
	v_fma_f32 v6, -v4, v5, 1.0
	v_fmac_f32_e32 v5, v6, v5
	s_delay_alu instid0(VALU_DEP_1) | instskip(NEXT) | instid1(VALU_DEP_1)
	v_mul_f32_e32 v6, v7, v5
	v_fma_f32 v27, -v4, v6, v7
	s_delay_alu instid0(VALU_DEP_1) | instskip(NEXT) | instid1(VALU_DEP_1)
	v_fmac_f32_e32 v6, v27, v5
	v_fma_f32 v4, -v4, v6, v7
	s_delay_alu instid0(VALU_DEP_1) | instskip(NEXT) | instid1(VALU_DEP_1)
	v_div_fmas_f32 v4, v4, v5, v6
	v_div_fixup_f32 v4, v4, v24, s15
	s_delay_alu instid0(VALU_DEP_1) | instskip(SKIP_2) | instid1(VALU_DEP_2)
	v_add_f32_e32 v5, v25, v4
	v_fmac_f32_e32 v25, s14, v4
	v_add_co_u32 v4, vcc_lo, v16, s6
	v_cndmask_b32_e64 v6, v25, v5, s0
	v_add_co_ci_u32_e32 v5, vcc_lo, s7, v17, vcc_lo
	global_store_b32 v[4:5], v6, off
	s_or_b32 exec_lo, exec_lo, s1
	s_delay_alu instid0(SALU_CYCLE_1)
	s_mov_b32 s1, exec_lo
	v_cmpx_gt_u64_e64 s[4:5], v[2:3]
	s_cbranch_execz .LBB83_8
.LBB83_24:                              ;   in Loop: Header=BB83_9 Depth=1
	s_waitcnt vmcnt(0)
	v_div_scale_f32 v2, null, v29, v29, s15
	v_div_scale_f32 v5, vcc_lo, s15, v29, s15
	s_delay_alu instid0(VALU_DEP_2) | instskip(SKIP_2) | instid1(VALU_DEP_1)
	v_rcp_f32_e32 v3, v2
	s_waitcnt_depctr 0xfff
	v_fma_f32 v4, -v2, v3, 1.0
	v_fmac_f32_e32 v3, v4, v3
	s_delay_alu instid0(VALU_DEP_1) | instskip(NEXT) | instid1(VALU_DEP_1)
	v_mul_f32_e32 v4, v5, v3
	v_fma_f32 v6, -v2, v4, v5
	s_delay_alu instid0(VALU_DEP_1) | instskip(NEXT) | instid1(VALU_DEP_1)
	v_fmac_f32_e32 v4, v6, v3
	v_fma_f32 v2, -v2, v4, v5
	s_delay_alu instid0(VALU_DEP_1) | instskip(NEXT) | instid1(VALU_DEP_1)
	v_div_fmas_f32 v2, v2, v3, v4
	v_div_fixup_f32 v2, v2, v29, s15
	s_delay_alu instid0(VALU_DEP_1) | instskip(SKIP_2) | instid1(VALU_DEP_2)
	v_add_f32_e32 v3, v26, v2
	v_fmac_f32_e32 v26, s14, v2
	v_add_co_u32 v2, vcc_lo, v12, s6
	v_cndmask_b32_e64 v4, v26, v3, s0
	v_add_co_ci_u32_e32 v3, vcc_lo, s7, v13, vcc_lo
	global_store_b32 v[2:3], v4, off
	s_branch .LBB83_8
.LBB83_25:
	s_nop 0
	s_sendmsg sendmsg(MSG_DEALLOC_VGPRS)
	s_endpgm
	.section	.rodata,"a",@progbits
	.p2align	6, 0x0
	.amdhsa_kernel _ZN2at6native12_GLOBAL__N_125multi_tensor_apply_kernelINS1_18TensorListMetadataILi3EEENS1_32PointwiseOpScalar0dTensorFunctorIfLi3ELi2ELi0EEEJSt7dividesIfEfEEEvT_T0_DpT1_
		.amdhsa_group_segment_fixed_size 0
		.amdhsa_private_segment_fixed_size 0
		.amdhsa_kernarg_size 3408
		.amdhsa_user_sgpr_count 15
		.amdhsa_user_sgpr_dispatch_ptr 0
		.amdhsa_user_sgpr_queue_ptr 0
		.amdhsa_user_sgpr_kernarg_segment_ptr 1
		.amdhsa_user_sgpr_dispatch_id 0
		.amdhsa_user_sgpr_private_segment_size 0
		.amdhsa_wavefront_size32 1
		.amdhsa_uses_dynamic_stack 0
		.amdhsa_enable_private_segment 0
		.amdhsa_system_sgpr_workgroup_id_x 1
		.amdhsa_system_sgpr_workgroup_id_y 0
		.amdhsa_system_sgpr_workgroup_id_z 0
		.amdhsa_system_sgpr_workgroup_info 0
		.amdhsa_system_vgpr_workitem_id 0
		.amdhsa_next_free_vgpr 37
		.amdhsa_next_free_sgpr 27
		.amdhsa_reserve_vcc 1
		.amdhsa_float_round_mode_32 0
		.amdhsa_float_round_mode_16_64 0
		.amdhsa_float_denorm_mode_32 3
		.amdhsa_float_denorm_mode_16_64 3
		.amdhsa_dx10_clamp 1
		.amdhsa_ieee_mode 1
		.amdhsa_fp16_overflow 0
		.amdhsa_workgroup_processor_mode 1
		.amdhsa_memory_ordered 1
		.amdhsa_forward_progress 0
		.amdhsa_shared_vgpr_count 0
		.amdhsa_exception_fp_ieee_invalid_op 0
		.amdhsa_exception_fp_denorm_src 0
		.amdhsa_exception_fp_ieee_div_zero 0
		.amdhsa_exception_fp_ieee_overflow 0
		.amdhsa_exception_fp_ieee_underflow 0
		.amdhsa_exception_fp_ieee_inexact 0
		.amdhsa_exception_int_div_zero 0
	.end_amdhsa_kernel
	.section	.text._ZN2at6native12_GLOBAL__N_125multi_tensor_apply_kernelINS1_18TensorListMetadataILi3EEENS1_32PointwiseOpScalar0dTensorFunctorIfLi3ELi2ELi0EEEJSt7dividesIfEfEEEvT_T0_DpT1_,"axG",@progbits,_ZN2at6native12_GLOBAL__N_125multi_tensor_apply_kernelINS1_18TensorListMetadataILi3EEENS1_32PointwiseOpScalar0dTensorFunctorIfLi3ELi2ELi0EEEJSt7dividesIfEfEEEvT_T0_DpT1_,comdat
.Lfunc_end83:
	.size	_ZN2at6native12_GLOBAL__N_125multi_tensor_apply_kernelINS1_18TensorListMetadataILi3EEENS1_32PointwiseOpScalar0dTensorFunctorIfLi3ELi2ELi0EEEJSt7dividesIfEfEEEvT_T0_DpT1_, .Lfunc_end83-_ZN2at6native12_GLOBAL__N_125multi_tensor_apply_kernelINS1_18TensorListMetadataILi3EEENS1_32PointwiseOpScalar0dTensorFunctorIfLi3ELi2ELi0EEEJSt7dividesIfEfEEEvT_T0_DpT1_
                                        ; -- End function
	.section	.AMDGPU.csdata,"",@progbits
; Kernel info:
; codeLenInByte = 2472
; NumSgprs: 29
; NumVgprs: 37
; ScratchSize: 0
; MemoryBound: 0
; FloatMode: 240
; IeeeMode: 1
; LDSByteSize: 0 bytes/workgroup (compile time only)
; SGPRBlocks: 3
; VGPRBlocks: 4
; NumSGPRsForWavesPerEU: 29
; NumVGPRsForWavesPerEU: 37
; Occupancy: 16
; WaveLimiterHint : 0
; COMPUTE_PGM_RSRC2:SCRATCH_EN: 0
; COMPUTE_PGM_RSRC2:USER_SGPR: 15
; COMPUTE_PGM_RSRC2:TRAP_HANDLER: 0
; COMPUTE_PGM_RSRC2:TGID_X_EN: 1
; COMPUTE_PGM_RSRC2:TGID_Y_EN: 0
; COMPUTE_PGM_RSRC2:TGID_Z_EN: 0
; COMPUTE_PGM_RSRC2:TIDIG_COMP_CNT: 0
	.section	.text._ZN2at6native12_GLOBAL__N_125multi_tensor_apply_kernelINS1_18TensorListMetadataILi3EEENS1_32PointwiseOpScalar0dTensorFunctorIN3c107complexIdEELi3ELi2ELi0EEEJSt7dividesIS8_ES8_EEEvT_T0_DpT1_,"axG",@progbits,_ZN2at6native12_GLOBAL__N_125multi_tensor_apply_kernelINS1_18TensorListMetadataILi3EEENS1_32PointwiseOpScalar0dTensorFunctorIN3c107complexIdEELi3ELi2ELi0EEEJSt7dividesIS8_ES8_EEEvT_T0_DpT1_,comdat
	.globl	_ZN2at6native12_GLOBAL__N_125multi_tensor_apply_kernelINS1_18TensorListMetadataILi3EEENS1_32PointwiseOpScalar0dTensorFunctorIN3c107complexIdEELi3ELi2ELi0EEEJSt7dividesIS8_ES8_EEEvT_T0_DpT1_ ; -- Begin function _ZN2at6native12_GLOBAL__N_125multi_tensor_apply_kernelINS1_18TensorListMetadataILi3EEENS1_32PointwiseOpScalar0dTensorFunctorIN3c107complexIdEELi3ELi2ELi0EEEJSt7dividesIS8_ES8_EEEvT_T0_DpT1_
	.p2align	8
	.type	_ZN2at6native12_GLOBAL__N_125multi_tensor_apply_kernelINS1_18TensorListMetadataILi3EEENS1_32PointwiseOpScalar0dTensorFunctorIN3c107complexIdEELi3ELi2ELi0EEEJSt7dividesIS8_ES8_EEEvT_T0_DpT1_,@function
_ZN2at6native12_GLOBAL__N_125multi_tensor_apply_kernelINS1_18TensorListMetadataILi3EEENS1_32PointwiseOpScalar0dTensorFunctorIN3c107complexIdEELi3ELi2ELi0EEEJSt7dividesIS8_ES8_EEEvT_T0_DpT1_: ; @_ZN2at6native12_GLOBAL__N_125multi_tensor_apply_kernelINS1_18TensorListMetadataILi3EEENS1_32PointwiseOpScalar0dTensorFunctorIN3c107complexIdEELi3ELi2ELi0EEEJSt7dividesIS8_ES8_EEEvT_T0_DpT1_
; %bb.0:
	v_mov_b32_e32 v1, s15
	s_add_u32 s2, s0, s15
	s_mul_hi_u32 s3, s15, 3
	s_mul_i32 s15, s15, 3
	s_addc_u32 s4, s1, 0
	global_load_u8 v1, v1, s[0:1] offset:1536
	s_add_u32 s2, s2, s15
	s_addc_u32 s3, s4, s3
	s_clause 0x1
	s_load_b128 s[4:7], s[0:1], 0xc50
	s_load_b32 s2, s[2:3], 0x740
	s_mov_b32 s25, 0
	s_delay_alu instid0(SALU_CYCLE_1) | instskip(SKIP_2) | instid1(VALU_DEP_1)
	s_mov_b32 s27, s25
	s_waitcnt vmcnt(0)
	v_readfirstlane_b32 s3, v1
	s_lshl_b32 s3, s3, 3
	s_clause 0x3
	s_load_b64 s[18:19], s[0:1], s3 offset:0x0
	s_load_b64 s[8:9], s[0:1], s3 offset:0x180
	;; [unrolled: 1-line block ×4, first 2 shown]
	s_waitcnt lgkmcnt(0)
	s_ashr_i32 s3, s2, 31
	s_delay_alu instid0(SALU_CYCLE_1) | instskip(NEXT) | instid1(SALU_CYCLE_1)
	s_lshl_b64 s[12:13], s[2:3], 20
	s_add_u32 s16, s18, s12
	s_addc_u32 s17, s19, s13
	s_add_u32 s14, s8, s12
	s_add_u32 s22, s20, s12
	s_addc_u32 s23, s21, s13
	s_or_b32 s14, s22, s14
	s_lshl_b64 s[2:3], s[2:3], 16
	s_and_b32 s14, s14, 63
	s_and_b32 s24, s16, 63
	s_cmp_lg_u32 s14, 0
	s_cselect_b32 s28, -1, 0
	s_sub_u32 s14, s10, s2
	s_subb_u32 s15, s11, s3
	s_and_b32 s26, s10, 3
	s_load_b128 s[8:11], s[8:9], 0x0
	s_or_b64 s[2:3], s[24:25], s[26:27]
	s_delay_alu instid0(SALU_CYCLE_1) | instskip(SKIP_1) | instid1(SALU_CYCLE_1)
	s_cmp_lg_u64 s[2:3], 0
	s_cselect_b32 s2, -1, 0
	s_or_b32 s2, s28, s2
	s_delay_alu instid0(SALU_CYCLE_1)
	s_and_not1_b32 vcc_lo, exec_lo, s2
	s_mov_b32 s2, -1
	s_cbranch_vccz .LBB84_85
; %bb.1:
	v_dual_mov_b32 v34, 0 :: v_dual_lshlrev_b32 v33, 2, v0
	s_mov_b32 s24, exec_lo
	s_delay_alu instid0(VALU_DEP_1)
	v_cmpx_gt_i64_e64 s[14:15], v[33:34]
	s_cbranch_execz .LBB84_84
; %bb.2:
	v_cmp_neq_f64_e64 s2, s[4:5], 1.0
	v_cmp_neq_f64_e64 s3, s[6:7], 0
	s_load_b32 s26, s[0:1], 0xc6c
	v_lshlrev_b32_e32 v45, 6, v0
	s_waitcnt lgkmcnt(0)
	s_and_b32 s28, s26, 0xffff
	s_delay_alu instid0(SALU_CYCLE_1) | instskip(SKIP_2) | instid1(VALU_DEP_3)
	v_add_lshl_u32 v33, v0, s28, 2
	s_lshl_b32 s26, s28, 2
	s_lshl_b32 s28, s28, 6
	s_or_b32 s27, s2, s3
	s_branch .LBB84_5
.LBB84_3:                               ;   in Loop: Header=BB84_5 Depth=1
	s_or_b32 exec_lo, exec_lo, s2
.LBB84_4:                               ;   in Loop: Header=BB84_5 Depth=1
	v_add_f64 v[11:12], v[11:12], v[39:40]
	v_add_f64 v[9:10], v[9:10], v[37:38]
	v_add_f64 v[7:8], v[7:8], v[31:32]
	v_add_f64 v[5:6], v[5:6], v[29:30]
	v_add_f64 v[15:16], v[15:16], v[27:28]
	v_add_f64 v[13:14], v[13:14], v[25:26]
	v_add_f64 v[3:4], v[3:4], v[43:44]
	v_add_f64 v[1:2], v[1:2], v[41:42]
	v_cmp_le_i64_e32 vcc_lo, s[14:15], v[33:34]
	v_cmp_lt_u64_e64 s2, 0xffff, v[33:34]
	s_clause 0x3
	global_store_b128 v[35:36], v[9:12], off
	global_store_b128 v[35:36], v[5:8], off offset:16
	global_store_b128 v[35:36], v[13:16], off offset:32
	;; [unrolled: 1-line block ×3, first 2 shown]
	s_or_b32 s2, vcc_lo, s2
	s_add_u32 s16, s16, s28
	s_addc_u32 s17, s17, 0
	v_add_co_u32 v33, vcc_lo, v33, s26
	s_add_u32 s22, s22, s28
	s_addc_u32 s23, s23, 0
	v_add_co_ci_u32_e32 v34, vcc_lo, 0, v34, vcc_lo
	s_and_b32 s2, exec_lo, s2
	s_delay_alu instid0(SALU_CYCLE_1) | instskip(NEXT) | instid1(SALU_CYCLE_1)
	s_or_b32 s25, s2, s25
	s_and_not1_b32 exec_lo, exec_lo, s25
	s_cbranch_execz .LBB84_84
.LBB84_5:                               ; =>This Inner Loop Header: Depth=1
	v_add_co_u32 v21, s2, s22, v45
	s_delay_alu instid0(VALU_DEP_1) | instskip(SKIP_1) | instid1(VALU_DEP_1)
	v_add_co_ci_u32_e64 v22, null, s23, 0, s2
	v_add_co_u32 v35, s2, s16, v45
	v_add_co_ci_u32_e64 v36, null, s17, 0, s2
	s_clause 0x1
	global_load_b128 v[29:32], v[21:22], off
	global_load_b128 v[25:28], v[21:22], off offset:16
	s_clause 0x3
	global_load_b128 v[1:4], v[35:36], off offset:48
	global_load_b128 v[13:16], v[35:36], off offset:32
	;; [unrolled: 1-line block ×3, first 2 shown]
	global_load_b128 v[9:12], v[35:36], off
	s_clause 0x1
	global_load_b128 v[17:20], v[21:22], off offset:48
	global_load_b128 v[21:24], v[21:22], off offset:32
	s_waitcnt vmcnt(7)
	v_cmp_gt_f64_e32 vcc_lo, 0, v[29:30]
	v_xor_b32_e32 v37, 0x80000000, v30
	v_mov_b32_e32 v41, v29
	v_xor_b32_e32 v38, 0x80000000, v32
	s_delay_alu instid0(VALU_DEP_3) | instskip(SKIP_1) | instid1(VALU_DEP_3)
	v_dual_mov_b32 v43, v31 :: v_dual_cndmask_b32 v42, v30, v37
	v_cmp_gt_f64_e32 vcc_lo, 0, v[31:32]
	v_cndmask_b32_e32 v44, v32, v38, vcc_lo
	s_and_b32 vcc_lo, exec_lo, s27
	s_delay_alu instid0(VALU_DEP_1)
	v_cmp_ge_f64_e64 s2, v[41:42], v[43:44]
	s_cbranch_vccz .LBB84_15
; %bb.6:                                ;   in Loop: Header=BB84_5 Depth=1
                                        ; implicit-def: $vgpr37_vgpr38
                                        ; implicit-def: $vgpr39_vgpr40
	s_delay_alu instid0(VALU_DEP_1) | instskip(NEXT) | instid1(SALU_CYCLE_1)
	s_and_saveexec_b32 s3, s2
	s_xor_b32 s29, exec_lo, s3
	s_cbranch_execz .LBB84_12
; %bb.7:                                ;   in Loop: Header=BB84_5 Depth=1
	v_cmp_neq_f64_e32 vcc_lo, 0, v[29:30]
	v_cmp_neq_f64_e64 s3, 0, v[31:32]
                                        ; implicit-def: $vgpr37_vgpr38
                                        ; implicit-def: $vgpr39_vgpr40
	s_delay_alu instid0(VALU_DEP_1) | instskip(NEXT) | instid1(SALU_CYCLE_1)
	s_or_b32 s3, vcc_lo, s3
	s_and_saveexec_b32 s30, s3
	s_delay_alu instid0(SALU_CYCLE_1)
	s_xor_b32 s3, exec_lo, s30
	s_cbranch_execz .LBB84_9
; %bb.8:                                ;   in Loop: Header=BB84_5 Depth=1
	v_div_scale_f64 v[37:38], null, v[29:30], v[29:30], v[31:32]
	v_div_scale_f64 v[48:49], vcc_lo, v[31:32], v[29:30], v[31:32]
	s_delay_alu instid0(VALU_DEP_2) | instskip(SKIP_2) | instid1(VALU_DEP_1)
	v_rcp_f64_e32 v[39:40], v[37:38]
	s_waitcnt_depctr 0xfff
	v_fma_f64 v[46:47], -v[37:38], v[39:40], 1.0
	v_fma_f64 v[39:40], v[39:40], v[46:47], v[39:40]
	s_delay_alu instid0(VALU_DEP_1) | instskip(NEXT) | instid1(VALU_DEP_1)
	v_fma_f64 v[46:47], -v[37:38], v[39:40], 1.0
	v_fma_f64 v[39:40], v[39:40], v[46:47], v[39:40]
	s_delay_alu instid0(VALU_DEP_1) | instskip(NEXT) | instid1(VALU_DEP_1)
	v_mul_f64 v[46:47], v[48:49], v[39:40]
	v_fma_f64 v[37:38], -v[37:38], v[46:47], v[48:49]
	s_delay_alu instid0(VALU_DEP_1) | instskip(NEXT) | instid1(VALU_DEP_1)
	v_div_fmas_f64 v[37:38], v[37:38], v[39:40], v[46:47]
	v_div_fixup_f64 v[37:38], v[37:38], v[29:30], v[31:32]
	s_delay_alu instid0(VALU_DEP_1) | instskip(NEXT) | instid1(VALU_DEP_1)
	v_fma_f64 v[39:40], v[31:32], v[37:38], v[29:30]
	v_div_scale_f64 v[46:47], null, v[39:40], v[39:40], 1.0
	v_div_scale_f64 v[52:53], vcc_lo, 1.0, v[39:40], 1.0
	s_delay_alu instid0(VALU_DEP_2) | instskip(SKIP_2) | instid1(VALU_DEP_1)
	v_rcp_f64_e32 v[48:49], v[46:47]
	s_waitcnt_depctr 0xfff
	v_fma_f64 v[50:51], -v[46:47], v[48:49], 1.0
	v_fma_f64 v[48:49], v[48:49], v[50:51], v[48:49]
	s_delay_alu instid0(VALU_DEP_1) | instskip(NEXT) | instid1(VALU_DEP_1)
	v_fma_f64 v[50:51], -v[46:47], v[48:49], 1.0
	v_fma_f64 v[48:49], v[48:49], v[50:51], v[48:49]
	s_delay_alu instid0(VALU_DEP_1) | instskip(NEXT) | instid1(VALU_DEP_1)
	v_mul_f64 v[50:51], v[52:53], v[48:49]
	v_fma_f64 v[46:47], -v[46:47], v[50:51], v[52:53]
	s_delay_alu instid0(VALU_DEP_1) | instskip(SKIP_2) | instid1(VALU_DEP_3)
	v_div_fmas_f64 v[46:47], v[46:47], v[48:49], v[50:51]
	v_fma_f64 v[48:49], s[10:11], v[37:38], s[8:9]
	v_fma_f64 v[37:38], -s[8:9], v[37:38], s[10:11]
	v_div_fixup_f64 v[46:47], v[46:47], v[39:40], 1.0
	s_delay_alu instid0(VALU_DEP_1) | instskip(NEXT) | instid1(VALU_DEP_3)
	v_mul_f64 v[39:40], v[48:49], v[46:47]
	v_mul_f64 v[37:38], v[37:38], v[46:47]
.LBB84_9:                               ;   in Loop: Header=BB84_5 Depth=1
	s_and_not1_saveexec_b32 s30, s3
	s_cbranch_execz .LBB84_11
; %bb.10:                               ;   in Loop: Header=BB84_5 Depth=1
	v_div_scale_f64 v[37:38], null, v[41:42], v[41:42], s[8:9]
	v_div_scale_f64 v[39:40], null, v[43:44], v[43:44], s[10:11]
	v_div_scale_f64 v[54:55], vcc_lo, s[8:9], v[41:42], s[8:9]
	s_delay_alu instid0(VALU_DEP_3) | instskip(NEXT) | instid1(VALU_DEP_2)
	v_rcp_f64_e32 v[46:47], v[37:38]
	v_rcp_f64_e32 v[48:49], v[39:40]
	s_waitcnt_depctr 0xfff
	v_fma_f64 v[50:51], -v[37:38], v[46:47], 1.0
	v_fma_f64 v[52:53], -v[39:40], v[48:49], 1.0
	s_delay_alu instid0(VALU_DEP_2) | instskip(NEXT) | instid1(VALU_DEP_2)
	v_fma_f64 v[46:47], v[46:47], v[50:51], v[46:47]
	v_fma_f64 v[48:49], v[48:49], v[52:53], v[48:49]
	s_delay_alu instid0(VALU_DEP_2) | instskip(NEXT) | instid1(VALU_DEP_2)
	v_fma_f64 v[50:51], -v[37:38], v[46:47], 1.0
	v_fma_f64 v[52:53], -v[39:40], v[48:49], 1.0
	s_delay_alu instid0(VALU_DEP_2) | instskip(SKIP_1) | instid1(VALU_DEP_3)
	v_fma_f64 v[46:47], v[46:47], v[50:51], v[46:47]
	v_div_scale_f64 v[50:51], s3, s[10:11], v[43:44], s[10:11]
	v_fma_f64 v[48:49], v[48:49], v[52:53], v[48:49]
	s_delay_alu instid0(VALU_DEP_3) | instskip(NEXT) | instid1(VALU_DEP_2)
	v_mul_f64 v[52:53], v[54:55], v[46:47]
	v_mul_f64 v[56:57], v[50:51], v[48:49]
	s_delay_alu instid0(VALU_DEP_2) | instskip(NEXT) | instid1(VALU_DEP_2)
	v_fma_f64 v[37:38], -v[37:38], v[52:53], v[54:55]
	v_fma_f64 v[39:40], -v[39:40], v[56:57], v[50:51]
	s_delay_alu instid0(VALU_DEP_2) | instskip(SKIP_1) | instid1(VALU_DEP_2)
	v_div_fmas_f64 v[37:38], v[37:38], v[46:47], v[52:53]
	s_mov_b32 vcc_lo, s3
	v_div_fmas_f64 v[46:47], v[39:40], v[48:49], v[56:57]
	s_delay_alu instid0(VALU_DEP_2) | instskip(NEXT) | instid1(VALU_DEP_2)
	v_div_fixup_f64 v[39:40], v[37:38], v[41:42], s[8:9]
	v_div_fixup_f64 v[37:38], v[46:47], v[43:44], s[10:11]
.LBB84_11:                              ;   in Loop: Header=BB84_5 Depth=1
	s_or_b32 exec_lo, exec_lo, s30
.LBB84_12:                              ;   in Loop: Header=BB84_5 Depth=1
	s_and_not1_saveexec_b32 s3, s29
	s_cbranch_execz .LBB84_14
; %bb.13:                               ;   in Loop: Header=BB84_5 Depth=1
	v_div_scale_f64 v[37:38], null, v[31:32], v[31:32], v[29:30]
	v_div_scale_f64 v[48:49], vcc_lo, v[29:30], v[31:32], v[29:30]
	s_delay_alu instid0(VALU_DEP_2) | instskip(SKIP_2) | instid1(VALU_DEP_1)
	v_rcp_f64_e32 v[39:40], v[37:38]
	s_waitcnt_depctr 0xfff
	v_fma_f64 v[46:47], -v[37:38], v[39:40], 1.0
	v_fma_f64 v[39:40], v[39:40], v[46:47], v[39:40]
	s_delay_alu instid0(VALU_DEP_1) | instskip(NEXT) | instid1(VALU_DEP_1)
	v_fma_f64 v[46:47], -v[37:38], v[39:40], 1.0
	v_fma_f64 v[39:40], v[39:40], v[46:47], v[39:40]
	s_delay_alu instid0(VALU_DEP_1) | instskip(NEXT) | instid1(VALU_DEP_1)
	v_mul_f64 v[46:47], v[48:49], v[39:40]
	v_fma_f64 v[37:38], -v[37:38], v[46:47], v[48:49]
	s_delay_alu instid0(VALU_DEP_1) | instskip(NEXT) | instid1(VALU_DEP_1)
	v_div_fmas_f64 v[37:38], v[37:38], v[39:40], v[46:47]
	v_div_fixup_f64 v[37:38], v[37:38], v[31:32], v[29:30]
	s_delay_alu instid0(VALU_DEP_1) | instskip(NEXT) | instid1(VALU_DEP_1)
	v_fma_f64 v[39:40], v[29:30], v[37:38], v[31:32]
	v_div_scale_f64 v[46:47], null, v[39:40], v[39:40], 1.0
	v_div_scale_f64 v[52:53], vcc_lo, 1.0, v[39:40], 1.0
	s_delay_alu instid0(VALU_DEP_2) | instskip(SKIP_2) | instid1(VALU_DEP_1)
	v_rcp_f64_e32 v[48:49], v[46:47]
	s_waitcnt_depctr 0xfff
	v_fma_f64 v[50:51], -v[46:47], v[48:49], 1.0
	v_fma_f64 v[48:49], v[48:49], v[50:51], v[48:49]
	s_delay_alu instid0(VALU_DEP_1) | instskip(NEXT) | instid1(VALU_DEP_1)
	v_fma_f64 v[50:51], -v[46:47], v[48:49], 1.0
	v_fma_f64 v[48:49], v[48:49], v[50:51], v[48:49]
	s_delay_alu instid0(VALU_DEP_1) | instskip(NEXT) | instid1(VALU_DEP_1)
	v_mul_f64 v[50:51], v[52:53], v[48:49]
	v_fma_f64 v[46:47], -v[46:47], v[50:51], v[52:53]
	s_delay_alu instid0(VALU_DEP_1) | instskip(SKIP_2) | instid1(VALU_DEP_3)
	v_div_fmas_f64 v[46:47], v[46:47], v[48:49], v[50:51]
	v_fma_f64 v[48:49], s[8:9], v[37:38], s[10:11]
	v_fma_f64 v[37:38], s[10:11], v[37:38], -s[8:9]
	v_div_fixup_f64 v[46:47], v[46:47], v[39:40], 1.0
	s_delay_alu instid0(VALU_DEP_1) | instskip(NEXT) | instid1(VALU_DEP_3)
	v_mul_f64 v[39:40], v[48:49], v[46:47]
	v_mul_f64 v[37:38], v[37:38], v[46:47]
.LBB84_14:                              ;   in Loop: Header=BB84_5 Depth=1
	s_or_b32 exec_lo, exec_lo, s3
	s_delay_alu instid0(VALU_DEP_1) | instskip(SKIP_1) | instid1(VALU_DEP_2)
	v_mul_f64 v[46:47], s[6:7], v[37:38]
	v_mul_f64 v[48:49], s[4:5], v[37:38]
	v_fma_f64 v[37:38], s[4:5], v[39:40], -v[46:47]
	s_delay_alu instid0(VALU_DEP_2)
	v_fma_f64 v[39:40], s[6:7], v[39:40], v[48:49]
	s_branch .LBB84_25
.LBB84_15:                              ;   in Loop: Header=BB84_5 Depth=1
                                        ; implicit-def: $vgpr39_vgpr40
                                        ; implicit-def: $vgpr37_vgpr38
	s_cbranch_execz .LBB84_25
; %bb.16:                               ;   in Loop: Header=BB84_5 Depth=1
                                        ; implicit-def: $vgpr39_vgpr40
                                        ; implicit-def: $vgpr37_vgpr38
	s_delay_alu instid0(VALU_DEP_1) | instskip(NEXT) | instid1(SALU_CYCLE_1)
	s_and_saveexec_b32 s3, s2
	s_xor_b32 s3, exec_lo, s3
	s_cbranch_execz .LBB84_22
; %bb.17:                               ;   in Loop: Header=BB84_5 Depth=1
	v_cmp_neq_f64_e32 vcc_lo, 0, v[29:30]
	v_cmp_neq_f64_e64 s2, 0, v[31:32]
                                        ; implicit-def: $vgpr39_vgpr40
                                        ; implicit-def: $vgpr37_vgpr38
	s_delay_alu instid0(VALU_DEP_1) | instskip(NEXT) | instid1(SALU_CYCLE_1)
	s_or_b32 s2, vcc_lo, s2
	s_and_saveexec_b32 s29, s2
	s_delay_alu instid0(SALU_CYCLE_1)
	s_xor_b32 s2, exec_lo, s29
	s_cbranch_execz .LBB84_19
; %bb.18:                               ;   in Loop: Header=BB84_5 Depth=1
	v_div_scale_f64 v[37:38], null, v[29:30], v[29:30], v[31:32]
	v_div_scale_f64 v[43:44], vcc_lo, v[31:32], v[29:30], v[31:32]
	s_delay_alu instid0(VALU_DEP_2) | instskip(SKIP_2) | instid1(VALU_DEP_1)
	v_rcp_f64_e32 v[39:40], v[37:38]
	s_waitcnt_depctr 0xfff
	v_fma_f64 v[41:42], -v[37:38], v[39:40], 1.0
	v_fma_f64 v[39:40], v[39:40], v[41:42], v[39:40]
	s_delay_alu instid0(VALU_DEP_1) | instskip(NEXT) | instid1(VALU_DEP_1)
	v_fma_f64 v[41:42], -v[37:38], v[39:40], 1.0
	v_fma_f64 v[39:40], v[39:40], v[41:42], v[39:40]
	s_delay_alu instid0(VALU_DEP_1) | instskip(NEXT) | instid1(VALU_DEP_1)
	v_mul_f64 v[41:42], v[43:44], v[39:40]
	v_fma_f64 v[37:38], -v[37:38], v[41:42], v[43:44]
	s_delay_alu instid0(VALU_DEP_1) | instskip(NEXT) | instid1(VALU_DEP_1)
	v_div_fmas_f64 v[37:38], v[37:38], v[39:40], v[41:42]
	v_div_fixup_f64 v[37:38], v[37:38], v[29:30], v[31:32]
	s_delay_alu instid0(VALU_DEP_1) | instskip(NEXT) | instid1(VALU_DEP_1)
	v_fma_f64 v[29:30], v[31:32], v[37:38], v[29:30]
	v_div_scale_f64 v[31:32], null, v[29:30], v[29:30], 1.0
	v_div_scale_f64 v[43:44], vcc_lo, 1.0, v[29:30], 1.0
	s_delay_alu instid0(VALU_DEP_2) | instskip(SKIP_2) | instid1(VALU_DEP_1)
	v_rcp_f64_e32 v[39:40], v[31:32]
	s_waitcnt_depctr 0xfff
	v_fma_f64 v[41:42], -v[31:32], v[39:40], 1.0
	v_fma_f64 v[39:40], v[39:40], v[41:42], v[39:40]
	s_delay_alu instid0(VALU_DEP_1) | instskip(NEXT) | instid1(VALU_DEP_1)
	v_fma_f64 v[41:42], -v[31:32], v[39:40], 1.0
	v_fma_f64 v[39:40], v[39:40], v[41:42], v[39:40]
	s_delay_alu instid0(VALU_DEP_1) | instskip(NEXT) | instid1(VALU_DEP_1)
	v_mul_f64 v[41:42], v[43:44], v[39:40]
	v_fma_f64 v[31:32], -v[31:32], v[41:42], v[43:44]
                                        ; implicit-def: $vgpr43_vgpr44
	s_delay_alu instid0(VALU_DEP_1) | instskip(SKIP_1) | instid1(VALU_DEP_2)
	v_div_fmas_f64 v[31:32], v[31:32], v[39:40], v[41:42]
	v_fma_f64 v[39:40], s[10:11], v[37:38], s[8:9]
                                        ; implicit-def: $vgpr41_vgpr42
	v_div_fixup_f64 v[29:30], v[31:32], v[29:30], 1.0
	v_fma_f64 v[31:32], -s[8:9], v[37:38], s[10:11]
	s_delay_alu instid0(VALU_DEP_2) | instskip(NEXT) | instid1(VALU_DEP_2)
	v_mul_f64 v[37:38], v[39:40], v[29:30]
	v_mul_f64 v[39:40], v[31:32], v[29:30]
.LBB84_19:                              ;   in Loop: Header=BB84_5 Depth=1
	s_and_not1_saveexec_b32 s29, s2
	s_cbranch_execz .LBB84_21
; %bb.20:                               ;   in Loop: Header=BB84_5 Depth=1
	v_div_scale_f64 v[29:30], null, v[41:42], v[41:42], s[8:9]
	v_div_scale_f64 v[31:32], null, v[43:44], v[43:44], s[10:11]
	v_div_scale_f64 v[50:51], vcc_lo, s[8:9], v[41:42], s[8:9]
	s_delay_alu instid0(VALU_DEP_3) | instskip(NEXT) | instid1(VALU_DEP_2)
	v_rcp_f64_e32 v[37:38], v[29:30]
	v_rcp_f64_e32 v[39:40], v[31:32]
	s_waitcnt_depctr 0xfff
	v_fma_f64 v[46:47], -v[29:30], v[37:38], 1.0
	v_fma_f64 v[48:49], -v[31:32], v[39:40], 1.0
	s_delay_alu instid0(VALU_DEP_2) | instskip(NEXT) | instid1(VALU_DEP_2)
	v_fma_f64 v[37:38], v[37:38], v[46:47], v[37:38]
	v_fma_f64 v[39:40], v[39:40], v[48:49], v[39:40]
	s_delay_alu instid0(VALU_DEP_2) | instskip(NEXT) | instid1(VALU_DEP_2)
	v_fma_f64 v[46:47], -v[29:30], v[37:38], 1.0
	v_fma_f64 v[48:49], -v[31:32], v[39:40], 1.0
	s_delay_alu instid0(VALU_DEP_2) | instskip(SKIP_1) | instid1(VALU_DEP_3)
	v_fma_f64 v[37:38], v[37:38], v[46:47], v[37:38]
	v_div_scale_f64 v[46:47], s2, s[10:11], v[43:44], s[10:11]
	v_fma_f64 v[39:40], v[39:40], v[48:49], v[39:40]
	s_delay_alu instid0(VALU_DEP_3) | instskip(NEXT) | instid1(VALU_DEP_2)
	v_mul_f64 v[48:49], v[50:51], v[37:38]
	v_mul_f64 v[52:53], v[46:47], v[39:40]
	s_delay_alu instid0(VALU_DEP_2) | instskip(NEXT) | instid1(VALU_DEP_2)
	v_fma_f64 v[29:30], -v[29:30], v[48:49], v[50:51]
	v_fma_f64 v[31:32], -v[31:32], v[52:53], v[46:47]
	s_delay_alu instid0(VALU_DEP_2) | instskip(SKIP_1) | instid1(VALU_DEP_2)
	v_div_fmas_f64 v[29:30], v[29:30], v[37:38], v[48:49]
	s_mov_b32 vcc_lo, s2
	v_div_fmas_f64 v[31:32], v[31:32], v[39:40], v[52:53]
	s_delay_alu instid0(VALU_DEP_2) | instskip(NEXT) | instid1(VALU_DEP_2)
	v_div_fixup_f64 v[37:38], v[29:30], v[41:42], s[8:9]
	v_div_fixup_f64 v[39:40], v[31:32], v[43:44], s[10:11]
.LBB84_21:                              ;   in Loop: Header=BB84_5 Depth=1
	s_or_b32 exec_lo, exec_lo, s29
                                        ; implicit-def: $vgpr31_vgpr32
.LBB84_22:                              ;   in Loop: Header=BB84_5 Depth=1
	s_and_not1_saveexec_b32 s2, s3
	s_cbranch_execz .LBB84_24
; %bb.23:                               ;   in Loop: Header=BB84_5 Depth=1
	v_div_scale_f64 v[37:38], null, v[31:32], v[31:32], v[29:30]
	v_div_scale_f64 v[43:44], vcc_lo, v[29:30], v[31:32], v[29:30]
	s_delay_alu instid0(VALU_DEP_2) | instskip(SKIP_2) | instid1(VALU_DEP_1)
	v_rcp_f64_e32 v[39:40], v[37:38]
	s_waitcnt_depctr 0xfff
	v_fma_f64 v[41:42], -v[37:38], v[39:40], 1.0
	v_fma_f64 v[39:40], v[39:40], v[41:42], v[39:40]
	s_delay_alu instid0(VALU_DEP_1) | instskip(NEXT) | instid1(VALU_DEP_1)
	v_fma_f64 v[41:42], -v[37:38], v[39:40], 1.0
	v_fma_f64 v[39:40], v[39:40], v[41:42], v[39:40]
	s_delay_alu instid0(VALU_DEP_1) | instskip(NEXT) | instid1(VALU_DEP_1)
	v_mul_f64 v[41:42], v[43:44], v[39:40]
	v_fma_f64 v[37:38], -v[37:38], v[41:42], v[43:44]
	s_delay_alu instid0(VALU_DEP_1) | instskip(NEXT) | instid1(VALU_DEP_1)
	v_div_fmas_f64 v[37:38], v[37:38], v[39:40], v[41:42]
	v_div_fixup_f64 v[37:38], v[37:38], v[31:32], v[29:30]
	s_delay_alu instid0(VALU_DEP_1) | instskip(NEXT) | instid1(VALU_DEP_1)
	v_fma_f64 v[29:30], v[29:30], v[37:38], v[31:32]
	v_div_scale_f64 v[31:32], null, v[29:30], v[29:30], 1.0
	v_div_scale_f64 v[43:44], vcc_lo, 1.0, v[29:30], 1.0
	s_delay_alu instid0(VALU_DEP_2) | instskip(SKIP_2) | instid1(VALU_DEP_1)
	v_rcp_f64_e32 v[39:40], v[31:32]
	s_waitcnt_depctr 0xfff
	v_fma_f64 v[41:42], -v[31:32], v[39:40], 1.0
	v_fma_f64 v[39:40], v[39:40], v[41:42], v[39:40]
	s_delay_alu instid0(VALU_DEP_1) | instskip(NEXT) | instid1(VALU_DEP_1)
	v_fma_f64 v[41:42], -v[31:32], v[39:40], 1.0
	v_fma_f64 v[39:40], v[39:40], v[41:42], v[39:40]
	s_delay_alu instid0(VALU_DEP_1) | instskip(NEXT) | instid1(VALU_DEP_1)
	v_mul_f64 v[41:42], v[43:44], v[39:40]
	v_fma_f64 v[31:32], -v[31:32], v[41:42], v[43:44]
	s_delay_alu instid0(VALU_DEP_1) | instskip(SKIP_1) | instid1(VALU_DEP_2)
	v_div_fmas_f64 v[31:32], v[31:32], v[39:40], v[41:42]
	v_fma_f64 v[39:40], s[8:9], v[37:38], s[10:11]
	v_div_fixup_f64 v[29:30], v[31:32], v[29:30], 1.0
	v_fma_f64 v[31:32], s[10:11], v[37:38], -s[8:9]
	s_delay_alu instid0(VALU_DEP_2) | instskip(NEXT) | instid1(VALU_DEP_2)
	v_mul_f64 v[37:38], v[39:40], v[29:30]
	v_mul_f64 v[39:40], v[31:32], v[29:30]
.LBB84_24:                              ;   in Loop: Header=BB84_5 Depth=1
	s_or_b32 exec_lo, exec_lo, s2
.LBB84_25:                              ;   in Loop: Header=BB84_5 Depth=1
	s_waitcnt vmcnt(6)
	v_cmp_gt_f64_e32 vcc_lo, 0, v[25:26]
	v_xor_b32_e32 v29, 0x80000000, v26
	v_mov_b32_e32 v41, v25
	v_xor_b32_e32 v30, 0x80000000, v28
	s_delay_alu instid0(VALU_DEP_3) | instskip(SKIP_1) | instid1(VALU_DEP_3)
	v_dual_mov_b32 v43, v27 :: v_dual_cndmask_b32 v42, v26, v29
	v_cmp_gt_f64_e32 vcc_lo, 0, v[27:28]
	v_cndmask_b32_e32 v44, v28, v30, vcc_lo
	s_and_not1_b32 vcc_lo, exec_lo, s27
	s_delay_alu instid0(VALU_DEP_1)
	v_cmp_ge_f64_e64 s2, v[41:42], v[43:44]
	s_cbranch_vccnz .LBB84_35
; %bb.26:                               ;   in Loop: Header=BB84_5 Depth=1
                                        ; implicit-def: $vgpr29_vgpr30
                                        ; implicit-def: $vgpr31_vgpr32
	s_delay_alu instid0(VALU_DEP_1) | instskip(NEXT) | instid1(SALU_CYCLE_1)
	s_and_saveexec_b32 s3, s2
	s_xor_b32 s29, exec_lo, s3
	s_cbranch_execz .LBB84_32
; %bb.27:                               ;   in Loop: Header=BB84_5 Depth=1
	v_cmp_neq_f64_e32 vcc_lo, 0, v[25:26]
	v_cmp_neq_f64_e64 s3, 0, v[27:28]
                                        ; implicit-def: $vgpr29_vgpr30
                                        ; implicit-def: $vgpr31_vgpr32
	s_delay_alu instid0(VALU_DEP_1) | instskip(NEXT) | instid1(SALU_CYCLE_1)
	s_or_b32 s3, vcc_lo, s3
	s_and_saveexec_b32 s30, s3
	s_delay_alu instid0(SALU_CYCLE_1)
	s_xor_b32 s3, exec_lo, s30
	s_cbranch_execz .LBB84_29
; %bb.28:                               ;   in Loop: Header=BB84_5 Depth=1
	v_div_scale_f64 v[29:30], null, v[25:26], v[25:26], v[27:28]
	v_div_scale_f64 v[48:49], vcc_lo, v[27:28], v[25:26], v[27:28]
	s_delay_alu instid0(VALU_DEP_2) | instskip(SKIP_2) | instid1(VALU_DEP_1)
	v_rcp_f64_e32 v[31:32], v[29:30]
	s_waitcnt_depctr 0xfff
	v_fma_f64 v[46:47], -v[29:30], v[31:32], 1.0
	v_fma_f64 v[31:32], v[31:32], v[46:47], v[31:32]
	s_delay_alu instid0(VALU_DEP_1) | instskip(NEXT) | instid1(VALU_DEP_1)
	v_fma_f64 v[46:47], -v[29:30], v[31:32], 1.0
	v_fma_f64 v[31:32], v[31:32], v[46:47], v[31:32]
	s_delay_alu instid0(VALU_DEP_1) | instskip(NEXT) | instid1(VALU_DEP_1)
	v_mul_f64 v[46:47], v[48:49], v[31:32]
	v_fma_f64 v[29:30], -v[29:30], v[46:47], v[48:49]
	s_delay_alu instid0(VALU_DEP_1) | instskip(NEXT) | instid1(VALU_DEP_1)
	v_div_fmas_f64 v[29:30], v[29:30], v[31:32], v[46:47]
	v_div_fixup_f64 v[29:30], v[29:30], v[25:26], v[27:28]
	s_delay_alu instid0(VALU_DEP_1) | instskip(NEXT) | instid1(VALU_DEP_1)
	v_fma_f64 v[31:32], v[27:28], v[29:30], v[25:26]
	v_div_scale_f64 v[46:47], null, v[31:32], v[31:32], 1.0
	v_div_scale_f64 v[52:53], vcc_lo, 1.0, v[31:32], 1.0
	s_delay_alu instid0(VALU_DEP_2) | instskip(SKIP_2) | instid1(VALU_DEP_1)
	v_rcp_f64_e32 v[48:49], v[46:47]
	s_waitcnt_depctr 0xfff
	v_fma_f64 v[50:51], -v[46:47], v[48:49], 1.0
	v_fma_f64 v[48:49], v[48:49], v[50:51], v[48:49]
	s_delay_alu instid0(VALU_DEP_1) | instskip(NEXT) | instid1(VALU_DEP_1)
	v_fma_f64 v[50:51], -v[46:47], v[48:49], 1.0
	v_fma_f64 v[48:49], v[48:49], v[50:51], v[48:49]
	s_delay_alu instid0(VALU_DEP_1) | instskip(NEXT) | instid1(VALU_DEP_1)
	v_mul_f64 v[50:51], v[52:53], v[48:49]
	v_fma_f64 v[46:47], -v[46:47], v[50:51], v[52:53]
	s_delay_alu instid0(VALU_DEP_1) | instskip(SKIP_2) | instid1(VALU_DEP_3)
	v_div_fmas_f64 v[46:47], v[46:47], v[48:49], v[50:51]
	v_fma_f64 v[48:49], s[10:11], v[29:30], s[8:9]
	v_fma_f64 v[29:30], -s[8:9], v[29:30], s[10:11]
	v_div_fixup_f64 v[46:47], v[46:47], v[31:32], 1.0
	s_delay_alu instid0(VALU_DEP_1) | instskip(NEXT) | instid1(VALU_DEP_3)
	v_mul_f64 v[31:32], v[48:49], v[46:47]
	v_mul_f64 v[29:30], v[29:30], v[46:47]
.LBB84_29:                              ;   in Loop: Header=BB84_5 Depth=1
	s_and_not1_saveexec_b32 s30, s3
	s_cbranch_execz .LBB84_31
; %bb.30:                               ;   in Loop: Header=BB84_5 Depth=1
	v_div_scale_f64 v[29:30], null, v[41:42], v[41:42], s[8:9]
	v_div_scale_f64 v[31:32], null, v[43:44], v[43:44], s[10:11]
	v_div_scale_f64 v[54:55], vcc_lo, s[8:9], v[41:42], s[8:9]
	s_delay_alu instid0(VALU_DEP_3) | instskip(NEXT) | instid1(VALU_DEP_2)
	v_rcp_f64_e32 v[46:47], v[29:30]
	v_rcp_f64_e32 v[48:49], v[31:32]
	s_waitcnt_depctr 0xfff
	v_fma_f64 v[50:51], -v[29:30], v[46:47], 1.0
	v_fma_f64 v[52:53], -v[31:32], v[48:49], 1.0
	s_delay_alu instid0(VALU_DEP_2) | instskip(NEXT) | instid1(VALU_DEP_2)
	v_fma_f64 v[46:47], v[46:47], v[50:51], v[46:47]
	v_fma_f64 v[48:49], v[48:49], v[52:53], v[48:49]
	s_delay_alu instid0(VALU_DEP_2) | instskip(NEXT) | instid1(VALU_DEP_2)
	v_fma_f64 v[50:51], -v[29:30], v[46:47], 1.0
	v_fma_f64 v[52:53], -v[31:32], v[48:49], 1.0
	s_delay_alu instid0(VALU_DEP_2) | instskip(SKIP_1) | instid1(VALU_DEP_3)
	v_fma_f64 v[46:47], v[46:47], v[50:51], v[46:47]
	v_div_scale_f64 v[50:51], s3, s[10:11], v[43:44], s[10:11]
	v_fma_f64 v[48:49], v[48:49], v[52:53], v[48:49]
	s_delay_alu instid0(VALU_DEP_3) | instskip(NEXT) | instid1(VALU_DEP_2)
	v_mul_f64 v[52:53], v[54:55], v[46:47]
	v_mul_f64 v[56:57], v[50:51], v[48:49]
	s_delay_alu instid0(VALU_DEP_2) | instskip(NEXT) | instid1(VALU_DEP_2)
	v_fma_f64 v[29:30], -v[29:30], v[52:53], v[54:55]
	v_fma_f64 v[31:32], -v[31:32], v[56:57], v[50:51]
	s_delay_alu instid0(VALU_DEP_2) | instskip(SKIP_1) | instid1(VALU_DEP_2)
	v_div_fmas_f64 v[29:30], v[29:30], v[46:47], v[52:53]
	s_mov_b32 vcc_lo, s3
	v_div_fmas_f64 v[46:47], v[31:32], v[48:49], v[56:57]
	s_delay_alu instid0(VALU_DEP_2) | instskip(NEXT) | instid1(VALU_DEP_2)
	v_div_fixup_f64 v[31:32], v[29:30], v[41:42], s[8:9]
	v_div_fixup_f64 v[29:30], v[46:47], v[43:44], s[10:11]
.LBB84_31:                              ;   in Loop: Header=BB84_5 Depth=1
	s_or_b32 exec_lo, exec_lo, s30
.LBB84_32:                              ;   in Loop: Header=BB84_5 Depth=1
	s_and_not1_saveexec_b32 s3, s29
	s_cbranch_execz .LBB84_34
; %bb.33:                               ;   in Loop: Header=BB84_5 Depth=1
	v_div_scale_f64 v[29:30], null, v[27:28], v[27:28], v[25:26]
	v_div_scale_f64 v[48:49], vcc_lo, v[25:26], v[27:28], v[25:26]
	s_delay_alu instid0(VALU_DEP_2) | instskip(SKIP_2) | instid1(VALU_DEP_1)
	v_rcp_f64_e32 v[31:32], v[29:30]
	s_waitcnt_depctr 0xfff
	v_fma_f64 v[46:47], -v[29:30], v[31:32], 1.0
	v_fma_f64 v[31:32], v[31:32], v[46:47], v[31:32]
	s_delay_alu instid0(VALU_DEP_1) | instskip(NEXT) | instid1(VALU_DEP_1)
	v_fma_f64 v[46:47], -v[29:30], v[31:32], 1.0
	v_fma_f64 v[31:32], v[31:32], v[46:47], v[31:32]
	s_delay_alu instid0(VALU_DEP_1) | instskip(NEXT) | instid1(VALU_DEP_1)
	v_mul_f64 v[46:47], v[48:49], v[31:32]
	v_fma_f64 v[29:30], -v[29:30], v[46:47], v[48:49]
	s_delay_alu instid0(VALU_DEP_1) | instskip(NEXT) | instid1(VALU_DEP_1)
	v_div_fmas_f64 v[29:30], v[29:30], v[31:32], v[46:47]
	v_div_fixup_f64 v[29:30], v[29:30], v[27:28], v[25:26]
	s_delay_alu instid0(VALU_DEP_1) | instskip(NEXT) | instid1(VALU_DEP_1)
	v_fma_f64 v[31:32], v[25:26], v[29:30], v[27:28]
	v_div_scale_f64 v[46:47], null, v[31:32], v[31:32], 1.0
	v_div_scale_f64 v[52:53], vcc_lo, 1.0, v[31:32], 1.0
	s_delay_alu instid0(VALU_DEP_2) | instskip(SKIP_2) | instid1(VALU_DEP_1)
	v_rcp_f64_e32 v[48:49], v[46:47]
	s_waitcnt_depctr 0xfff
	v_fma_f64 v[50:51], -v[46:47], v[48:49], 1.0
	v_fma_f64 v[48:49], v[48:49], v[50:51], v[48:49]
	s_delay_alu instid0(VALU_DEP_1) | instskip(NEXT) | instid1(VALU_DEP_1)
	v_fma_f64 v[50:51], -v[46:47], v[48:49], 1.0
	v_fma_f64 v[48:49], v[48:49], v[50:51], v[48:49]
	s_delay_alu instid0(VALU_DEP_1) | instskip(NEXT) | instid1(VALU_DEP_1)
	v_mul_f64 v[50:51], v[52:53], v[48:49]
	v_fma_f64 v[46:47], -v[46:47], v[50:51], v[52:53]
	s_delay_alu instid0(VALU_DEP_1) | instskip(SKIP_2) | instid1(VALU_DEP_3)
	v_div_fmas_f64 v[46:47], v[46:47], v[48:49], v[50:51]
	v_fma_f64 v[48:49], s[8:9], v[29:30], s[10:11]
	v_fma_f64 v[29:30], s[10:11], v[29:30], -s[8:9]
	v_div_fixup_f64 v[46:47], v[46:47], v[31:32], 1.0
	s_delay_alu instid0(VALU_DEP_1) | instskip(NEXT) | instid1(VALU_DEP_3)
	v_mul_f64 v[31:32], v[48:49], v[46:47]
	v_mul_f64 v[29:30], v[29:30], v[46:47]
.LBB84_34:                              ;   in Loop: Header=BB84_5 Depth=1
	s_or_b32 exec_lo, exec_lo, s3
	s_delay_alu instid0(VALU_DEP_1) | instskip(SKIP_1) | instid1(VALU_DEP_2)
	v_mul_f64 v[46:47], s[6:7], v[29:30]
	v_mul_f64 v[48:49], s[4:5], v[29:30]
	v_fma_f64 v[29:30], s[4:5], v[31:32], -v[46:47]
	s_delay_alu instid0(VALU_DEP_2)
	v_fma_f64 v[31:32], s[6:7], v[31:32], v[48:49]
	s_branch .LBB84_45
.LBB84_35:                              ;   in Loop: Header=BB84_5 Depth=1
                                        ; implicit-def: $vgpr31_vgpr32
                                        ; implicit-def: $vgpr29_vgpr30
	s_cbranch_execz .LBB84_45
; %bb.36:                               ;   in Loop: Header=BB84_5 Depth=1
                                        ; implicit-def: $vgpr31_vgpr32
                                        ; implicit-def: $vgpr29_vgpr30
	s_delay_alu instid0(VALU_DEP_1) | instskip(NEXT) | instid1(SALU_CYCLE_1)
	s_and_saveexec_b32 s3, s2
	s_xor_b32 s3, exec_lo, s3
	s_cbranch_execz .LBB84_42
; %bb.37:                               ;   in Loop: Header=BB84_5 Depth=1
	v_cmp_neq_f64_e32 vcc_lo, 0, v[25:26]
	v_cmp_neq_f64_e64 s2, 0, v[27:28]
                                        ; implicit-def: $vgpr31_vgpr32
                                        ; implicit-def: $vgpr29_vgpr30
	s_delay_alu instid0(VALU_DEP_1) | instskip(NEXT) | instid1(SALU_CYCLE_1)
	s_or_b32 s2, vcc_lo, s2
	s_and_saveexec_b32 s29, s2
	s_delay_alu instid0(SALU_CYCLE_1)
	s_xor_b32 s2, exec_lo, s29
	s_cbranch_execz .LBB84_39
; %bb.38:                               ;   in Loop: Header=BB84_5 Depth=1
	v_div_scale_f64 v[29:30], null, v[25:26], v[25:26], v[27:28]
	v_div_scale_f64 v[43:44], vcc_lo, v[27:28], v[25:26], v[27:28]
	s_delay_alu instid0(VALU_DEP_2) | instskip(SKIP_2) | instid1(VALU_DEP_1)
	v_rcp_f64_e32 v[31:32], v[29:30]
	s_waitcnt_depctr 0xfff
	v_fma_f64 v[41:42], -v[29:30], v[31:32], 1.0
	v_fma_f64 v[31:32], v[31:32], v[41:42], v[31:32]
	s_delay_alu instid0(VALU_DEP_1) | instskip(NEXT) | instid1(VALU_DEP_1)
	v_fma_f64 v[41:42], -v[29:30], v[31:32], 1.0
	v_fma_f64 v[31:32], v[31:32], v[41:42], v[31:32]
	s_delay_alu instid0(VALU_DEP_1) | instskip(NEXT) | instid1(VALU_DEP_1)
	v_mul_f64 v[41:42], v[43:44], v[31:32]
	v_fma_f64 v[29:30], -v[29:30], v[41:42], v[43:44]
	s_delay_alu instid0(VALU_DEP_1) | instskip(NEXT) | instid1(VALU_DEP_1)
	v_div_fmas_f64 v[29:30], v[29:30], v[31:32], v[41:42]
	v_div_fixup_f64 v[29:30], v[29:30], v[25:26], v[27:28]
	s_delay_alu instid0(VALU_DEP_1) | instskip(NEXT) | instid1(VALU_DEP_1)
	v_fma_f64 v[25:26], v[27:28], v[29:30], v[25:26]
	v_div_scale_f64 v[27:28], null, v[25:26], v[25:26], 1.0
	v_div_scale_f64 v[43:44], vcc_lo, 1.0, v[25:26], 1.0
	s_delay_alu instid0(VALU_DEP_2) | instskip(SKIP_2) | instid1(VALU_DEP_1)
	v_rcp_f64_e32 v[31:32], v[27:28]
	s_waitcnt_depctr 0xfff
	v_fma_f64 v[41:42], -v[27:28], v[31:32], 1.0
	v_fma_f64 v[31:32], v[31:32], v[41:42], v[31:32]
	s_delay_alu instid0(VALU_DEP_1) | instskip(NEXT) | instid1(VALU_DEP_1)
	v_fma_f64 v[41:42], -v[27:28], v[31:32], 1.0
	v_fma_f64 v[31:32], v[31:32], v[41:42], v[31:32]
	s_delay_alu instid0(VALU_DEP_1) | instskip(NEXT) | instid1(VALU_DEP_1)
	v_mul_f64 v[41:42], v[43:44], v[31:32]
	v_fma_f64 v[27:28], -v[27:28], v[41:42], v[43:44]
                                        ; implicit-def: $vgpr43_vgpr44
	s_delay_alu instid0(VALU_DEP_1) | instskip(SKIP_1) | instid1(VALU_DEP_2)
	v_div_fmas_f64 v[27:28], v[27:28], v[31:32], v[41:42]
	v_fma_f64 v[31:32], s[10:11], v[29:30], s[8:9]
                                        ; implicit-def: $vgpr41_vgpr42
	v_div_fixup_f64 v[25:26], v[27:28], v[25:26], 1.0
	v_fma_f64 v[27:28], -s[8:9], v[29:30], s[10:11]
	s_delay_alu instid0(VALU_DEP_2) | instskip(NEXT) | instid1(VALU_DEP_2)
	v_mul_f64 v[29:30], v[31:32], v[25:26]
	v_mul_f64 v[31:32], v[27:28], v[25:26]
.LBB84_39:                              ;   in Loop: Header=BB84_5 Depth=1
	s_and_not1_saveexec_b32 s29, s2
	s_cbranch_execz .LBB84_41
; %bb.40:                               ;   in Loop: Header=BB84_5 Depth=1
	v_div_scale_f64 v[25:26], null, v[41:42], v[41:42], s[8:9]
	v_div_scale_f64 v[27:28], null, v[43:44], v[43:44], s[10:11]
	v_div_scale_f64 v[50:51], vcc_lo, s[8:9], v[41:42], s[8:9]
	s_delay_alu instid0(VALU_DEP_3) | instskip(NEXT) | instid1(VALU_DEP_2)
	v_rcp_f64_e32 v[29:30], v[25:26]
	v_rcp_f64_e32 v[31:32], v[27:28]
	s_waitcnt_depctr 0xfff
	v_fma_f64 v[46:47], -v[25:26], v[29:30], 1.0
	v_fma_f64 v[48:49], -v[27:28], v[31:32], 1.0
	s_delay_alu instid0(VALU_DEP_2) | instskip(NEXT) | instid1(VALU_DEP_2)
	v_fma_f64 v[29:30], v[29:30], v[46:47], v[29:30]
	v_fma_f64 v[31:32], v[31:32], v[48:49], v[31:32]
	s_delay_alu instid0(VALU_DEP_2) | instskip(NEXT) | instid1(VALU_DEP_2)
	v_fma_f64 v[46:47], -v[25:26], v[29:30], 1.0
	v_fma_f64 v[48:49], -v[27:28], v[31:32], 1.0
	s_delay_alu instid0(VALU_DEP_2) | instskip(SKIP_1) | instid1(VALU_DEP_3)
	v_fma_f64 v[29:30], v[29:30], v[46:47], v[29:30]
	v_div_scale_f64 v[46:47], s2, s[10:11], v[43:44], s[10:11]
	v_fma_f64 v[31:32], v[31:32], v[48:49], v[31:32]
	s_delay_alu instid0(VALU_DEP_3) | instskip(NEXT) | instid1(VALU_DEP_2)
	v_mul_f64 v[48:49], v[50:51], v[29:30]
	v_mul_f64 v[52:53], v[46:47], v[31:32]
	s_delay_alu instid0(VALU_DEP_2) | instskip(NEXT) | instid1(VALU_DEP_2)
	v_fma_f64 v[25:26], -v[25:26], v[48:49], v[50:51]
	v_fma_f64 v[27:28], -v[27:28], v[52:53], v[46:47]
	s_delay_alu instid0(VALU_DEP_2) | instskip(SKIP_1) | instid1(VALU_DEP_2)
	v_div_fmas_f64 v[25:26], v[25:26], v[29:30], v[48:49]
	s_mov_b32 vcc_lo, s2
	v_div_fmas_f64 v[27:28], v[27:28], v[31:32], v[52:53]
	s_delay_alu instid0(VALU_DEP_2) | instskip(NEXT) | instid1(VALU_DEP_2)
	v_div_fixup_f64 v[29:30], v[25:26], v[41:42], s[8:9]
	v_div_fixup_f64 v[31:32], v[27:28], v[43:44], s[10:11]
.LBB84_41:                              ;   in Loop: Header=BB84_5 Depth=1
	s_or_b32 exec_lo, exec_lo, s29
                                        ; implicit-def: $vgpr27_vgpr28
.LBB84_42:                              ;   in Loop: Header=BB84_5 Depth=1
	s_and_not1_saveexec_b32 s2, s3
	s_cbranch_execz .LBB84_44
; %bb.43:                               ;   in Loop: Header=BB84_5 Depth=1
	v_div_scale_f64 v[29:30], null, v[27:28], v[27:28], v[25:26]
	v_div_scale_f64 v[43:44], vcc_lo, v[25:26], v[27:28], v[25:26]
	s_delay_alu instid0(VALU_DEP_2) | instskip(SKIP_2) | instid1(VALU_DEP_1)
	v_rcp_f64_e32 v[31:32], v[29:30]
	s_waitcnt_depctr 0xfff
	v_fma_f64 v[41:42], -v[29:30], v[31:32], 1.0
	v_fma_f64 v[31:32], v[31:32], v[41:42], v[31:32]
	s_delay_alu instid0(VALU_DEP_1) | instskip(NEXT) | instid1(VALU_DEP_1)
	v_fma_f64 v[41:42], -v[29:30], v[31:32], 1.0
	v_fma_f64 v[31:32], v[31:32], v[41:42], v[31:32]
	s_delay_alu instid0(VALU_DEP_1) | instskip(NEXT) | instid1(VALU_DEP_1)
	v_mul_f64 v[41:42], v[43:44], v[31:32]
	v_fma_f64 v[29:30], -v[29:30], v[41:42], v[43:44]
	s_delay_alu instid0(VALU_DEP_1) | instskip(NEXT) | instid1(VALU_DEP_1)
	v_div_fmas_f64 v[29:30], v[29:30], v[31:32], v[41:42]
	v_div_fixup_f64 v[29:30], v[29:30], v[27:28], v[25:26]
	s_delay_alu instid0(VALU_DEP_1) | instskip(NEXT) | instid1(VALU_DEP_1)
	v_fma_f64 v[25:26], v[25:26], v[29:30], v[27:28]
	v_div_scale_f64 v[27:28], null, v[25:26], v[25:26], 1.0
	v_div_scale_f64 v[43:44], vcc_lo, 1.0, v[25:26], 1.0
	s_delay_alu instid0(VALU_DEP_2) | instskip(SKIP_2) | instid1(VALU_DEP_1)
	v_rcp_f64_e32 v[31:32], v[27:28]
	s_waitcnt_depctr 0xfff
	v_fma_f64 v[41:42], -v[27:28], v[31:32], 1.0
	v_fma_f64 v[31:32], v[31:32], v[41:42], v[31:32]
	s_delay_alu instid0(VALU_DEP_1) | instskip(NEXT) | instid1(VALU_DEP_1)
	v_fma_f64 v[41:42], -v[27:28], v[31:32], 1.0
	v_fma_f64 v[31:32], v[31:32], v[41:42], v[31:32]
	s_delay_alu instid0(VALU_DEP_1) | instskip(NEXT) | instid1(VALU_DEP_1)
	v_mul_f64 v[41:42], v[43:44], v[31:32]
	v_fma_f64 v[27:28], -v[27:28], v[41:42], v[43:44]
	s_delay_alu instid0(VALU_DEP_1) | instskip(SKIP_1) | instid1(VALU_DEP_2)
	v_div_fmas_f64 v[27:28], v[27:28], v[31:32], v[41:42]
	v_fma_f64 v[31:32], s[8:9], v[29:30], s[10:11]
	v_div_fixup_f64 v[25:26], v[27:28], v[25:26], 1.0
	v_fma_f64 v[27:28], s[10:11], v[29:30], -s[8:9]
	s_delay_alu instid0(VALU_DEP_2) | instskip(NEXT) | instid1(VALU_DEP_2)
	v_mul_f64 v[29:30], v[31:32], v[25:26]
	v_mul_f64 v[31:32], v[27:28], v[25:26]
.LBB84_44:                              ;   in Loop: Header=BB84_5 Depth=1
	s_or_b32 exec_lo, exec_lo, s2
.LBB84_45:                              ;   in Loop: Header=BB84_5 Depth=1
	s_waitcnt vmcnt(0)
	v_cmp_gt_f64_e32 vcc_lo, 0, v[21:22]
	v_xor_b32_e32 v25, 0x80000000, v22
	v_mov_b32_e32 v41, v21
	v_xor_b32_e32 v26, 0x80000000, v24
	s_delay_alu instid0(VALU_DEP_3) | instskip(SKIP_1) | instid1(VALU_DEP_3)
	v_dual_mov_b32 v43, v23 :: v_dual_cndmask_b32 v42, v22, v25
	v_cmp_gt_f64_e32 vcc_lo, 0, v[23:24]
	v_cndmask_b32_e32 v44, v24, v26, vcc_lo
	s_and_not1_b32 vcc_lo, exec_lo, s27
	s_delay_alu instid0(VALU_DEP_1)
	v_cmp_ge_f64_e64 s2, v[41:42], v[43:44]
	s_cbranch_vccnz .LBB84_55
; %bb.46:                               ;   in Loop: Header=BB84_5 Depth=1
                                        ; implicit-def: $vgpr25_vgpr26
                                        ; implicit-def: $vgpr27_vgpr28
	s_delay_alu instid0(VALU_DEP_1) | instskip(NEXT) | instid1(SALU_CYCLE_1)
	s_and_saveexec_b32 s3, s2
	s_xor_b32 s29, exec_lo, s3
	s_cbranch_execz .LBB84_52
; %bb.47:                               ;   in Loop: Header=BB84_5 Depth=1
	v_cmp_neq_f64_e32 vcc_lo, 0, v[21:22]
	v_cmp_neq_f64_e64 s3, 0, v[23:24]
                                        ; implicit-def: $vgpr25_vgpr26
                                        ; implicit-def: $vgpr27_vgpr28
	s_delay_alu instid0(VALU_DEP_1) | instskip(NEXT) | instid1(SALU_CYCLE_1)
	s_or_b32 s3, vcc_lo, s3
	s_and_saveexec_b32 s30, s3
	s_delay_alu instid0(SALU_CYCLE_1)
	s_xor_b32 s3, exec_lo, s30
	s_cbranch_execz .LBB84_49
; %bb.48:                               ;   in Loop: Header=BB84_5 Depth=1
	v_div_scale_f64 v[25:26], null, v[21:22], v[21:22], v[23:24]
	v_div_scale_f64 v[48:49], vcc_lo, v[23:24], v[21:22], v[23:24]
	s_delay_alu instid0(VALU_DEP_2) | instskip(SKIP_2) | instid1(VALU_DEP_1)
	v_rcp_f64_e32 v[27:28], v[25:26]
	s_waitcnt_depctr 0xfff
	v_fma_f64 v[46:47], -v[25:26], v[27:28], 1.0
	v_fma_f64 v[27:28], v[27:28], v[46:47], v[27:28]
	s_delay_alu instid0(VALU_DEP_1) | instskip(NEXT) | instid1(VALU_DEP_1)
	v_fma_f64 v[46:47], -v[25:26], v[27:28], 1.0
	v_fma_f64 v[27:28], v[27:28], v[46:47], v[27:28]
	s_delay_alu instid0(VALU_DEP_1) | instskip(NEXT) | instid1(VALU_DEP_1)
	v_mul_f64 v[46:47], v[48:49], v[27:28]
	v_fma_f64 v[25:26], -v[25:26], v[46:47], v[48:49]
	s_delay_alu instid0(VALU_DEP_1) | instskip(NEXT) | instid1(VALU_DEP_1)
	v_div_fmas_f64 v[25:26], v[25:26], v[27:28], v[46:47]
	v_div_fixup_f64 v[25:26], v[25:26], v[21:22], v[23:24]
	s_delay_alu instid0(VALU_DEP_1) | instskip(NEXT) | instid1(VALU_DEP_1)
	v_fma_f64 v[27:28], v[23:24], v[25:26], v[21:22]
	v_div_scale_f64 v[46:47], null, v[27:28], v[27:28], 1.0
	v_div_scale_f64 v[52:53], vcc_lo, 1.0, v[27:28], 1.0
	s_delay_alu instid0(VALU_DEP_2) | instskip(SKIP_2) | instid1(VALU_DEP_1)
	v_rcp_f64_e32 v[48:49], v[46:47]
	s_waitcnt_depctr 0xfff
	v_fma_f64 v[50:51], -v[46:47], v[48:49], 1.0
	v_fma_f64 v[48:49], v[48:49], v[50:51], v[48:49]
	s_delay_alu instid0(VALU_DEP_1) | instskip(NEXT) | instid1(VALU_DEP_1)
	v_fma_f64 v[50:51], -v[46:47], v[48:49], 1.0
	v_fma_f64 v[48:49], v[48:49], v[50:51], v[48:49]
	s_delay_alu instid0(VALU_DEP_1) | instskip(NEXT) | instid1(VALU_DEP_1)
	v_mul_f64 v[50:51], v[52:53], v[48:49]
	v_fma_f64 v[46:47], -v[46:47], v[50:51], v[52:53]
	s_delay_alu instid0(VALU_DEP_1) | instskip(SKIP_2) | instid1(VALU_DEP_3)
	v_div_fmas_f64 v[46:47], v[46:47], v[48:49], v[50:51]
	v_fma_f64 v[48:49], s[10:11], v[25:26], s[8:9]
	v_fma_f64 v[25:26], -s[8:9], v[25:26], s[10:11]
	v_div_fixup_f64 v[46:47], v[46:47], v[27:28], 1.0
	s_delay_alu instid0(VALU_DEP_1) | instskip(NEXT) | instid1(VALU_DEP_3)
	v_mul_f64 v[27:28], v[48:49], v[46:47]
	v_mul_f64 v[25:26], v[25:26], v[46:47]
.LBB84_49:                              ;   in Loop: Header=BB84_5 Depth=1
	s_and_not1_saveexec_b32 s30, s3
	s_cbranch_execz .LBB84_51
; %bb.50:                               ;   in Loop: Header=BB84_5 Depth=1
	v_div_scale_f64 v[25:26], null, v[41:42], v[41:42], s[8:9]
	v_div_scale_f64 v[27:28], null, v[43:44], v[43:44], s[10:11]
	v_div_scale_f64 v[54:55], vcc_lo, s[8:9], v[41:42], s[8:9]
	s_delay_alu instid0(VALU_DEP_3) | instskip(NEXT) | instid1(VALU_DEP_2)
	v_rcp_f64_e32 v[46:47], v[25:26]
	v_rcp_f64_e32 v[48:49], v[27:28]
	s_waitcnt_depctr 0xfff
	v_fma_f64 v[50:51], -v[25:26], v[46:47], 1.0
	v_fma_f64 v[52:53], -v[27:28], v[48:49], 1.0
	s_delay_alu instid0(VALU_DEP_2) | instskip(NEXT) | instid1(VALU_DEP_2)
	v_fma_f64 v[46:47], v[46:47], v[50:51], v[46:47]
	v_fma_f64 v[48:49], v[48:49], v[52:53], v[48:49]
	s_delay_alu instid0(VALU_DEP_2) | instskip(NEXT) | instid1(VALU_DEP_2)
	v_fma_f64 v[50:51], -v[25:26], v[46:47], 1.0
	v_fma_f64 v[52:53], -v[27:28], v[48:49], 1.0
	s_delay_alu instid0(VALU_DEP_2) | instskip(SKIP_1) | instid1(VALU_DEP_3)
	v_fma_f64 v[46:47], v[46:47], v[50:51], v[46:47]
	v_div_scale_f64 v[50:51], s3, s[10:11], v[43:44], s[10:11]
	v_fma_f64 v[48:49], v[48:49], v[52:53], v[48:49]
	s_delay_alu instid0(VALU_DEP_3) | instskip(NEXT) | instid1(VALU_DEP_2)
	v_mul_f64 v[52:53], v[54:55], v[46:47]
	v_mul_f64 v[56:57], v[50:51], v[48:49]
	s_delay_alu instid0(VALU_DEP_2) | instskip(NEXT) | instid1(VALU_DEP_2)
	v_fma_f64 v[25:26], -v[25:26], v[52:53], v[54:55]
	v_fma_f64 v[27:28], -v[27:28], v[56:57], v[50:51]
	s_delay_alu instid0(VALU_DEP_2) | instskip(SKIP_1) | instid1(VALU_DEP_2)
	v_div_fmas_f64 v[25:26], v[25:26], v[46:47], v[52:53]
	s_mov_b32 vcc_lo, s3
	v_div_fmas_f64 v[46:47], v[27:28], v[48:49], v[56:57]
	s_delay_alu instid0(VALU_DEP_2) | instskip(NEXT) | instid1(VALU_DEP_2)
	v_div_fixup_f64 v[27:28], v[25:26], v[41:42], s[8:9]
	v_div_fixup_f64 v[25:26], v[46:47], v[43:44], s[10:11]
.LBB84_51:                              ;   in Loop: Header=BB84_5 Depth=1
	s_or_b32 exec_lo, exec_lo, s30
.LBB84_52:                              ;   in Loop: Header=BB84_5 Depth=1
	s_and_not1_saveexec_b32 s3, s29
	s_cbranch_execz .LBB84_54
; %bb.53:                               ;   in Loop: Header=BB84_5 Depth=1
	v_div_scale_f64 v[25:26], null, v[23:24], v[23:24], v[21:22]
	v_div_scale_f64 v[48:49], vcc_lo, v[21:22], v[23:24], v[21:22]
	s_delay_alu instid0(VALU_DEP_2) | instskip(SKIP_2) | instid1(VALU_DEP_1)
	v_rcp_f64_e32 v[27:28], v[25:26]
	s_waitcnt_depctr 0xfff
	v_fma_f64 v[46:47], -v[25:26], v[27:28], 1.0
	v_fma_f64 v[27:28], v[27:28], v[46:47], v[27:28]
	s_delay_alu instid0(VALU_DEP_1) | instskip(NEXT) | instid1(VALU_DEP_1)
	v_fma_f64 v[46:47], -v[25:26], v[27:28], 1.0
	v_fma_f64 v[27:28], v[27:28], v[46:47], v[27:28]
	s_delay_alu instid0(VALU_DEP_1) | instskip(NEXT) | instid1(VALU_DEP_1)
	v_mul_f64 v[46:47], v[48:49], v[27:28]
	v_fma_f64 v[25:26], -v[25:26], v[46:47], v[48:49]
	s_delay_alu instid0(VALU_DEP_1) | instskip(NEXT) | instid1(VALU_DEP_1)
	v_div_fmas_f64 v[25:26], v[25:26], v[27:28], v[46:47]
	v_div_fixup_f64 v[25:26], v[25:26], v[23:24], v[21:22]
	s_delay_alu instid0(VALU_DEP_1) | instskip(NEXT) | instid1(VALU_DEP_1)
	v_fma_f64 v[27:28], v[21:22], v[25:26], v[23:24]
	v_div_scale_f64 v[46:47], null, v[27:28], v[27:28], 1.0
	v_div_scale_f64 v[52:53], vcc_lo, 1.0, v[27:28], 1.0
	s_delay_alu instid0(VALU_DEP_2) | instskip(SKIP_2) | instid1(VALU_DEP_1)
	v_rcp_f64_e32 v[48:49], v[46:47]
	s_waitcnt_depctr 0xfff
	v_fma_f64 v[50:51], -v[46:47], v[48:49], 1.0
	v_fma_f64 v[48:49], v[48:49], v[50:51], v[48:49]
	s_delay_alu instid0(VALU_DEP_1) | instskip(NEXT) | instid1(VALU_DEP_1)
	v_fma_f64 v[50:51], -v[46:47], v[48:49], 1.0
	v_fma_f64 v[48:49], v[48:49], v[50:51], v[48:49]
	s_delay_alu instid0(VALU_DEP_1) | instskip(NEXT) | instid1(VALU_DEP_1)
	v_mul_f64 v[50:51], v[52:53], v[48:49]
	v_fma_f64 v[46:47], -v[46:47], v[50:51], v[52:53]
	s_delay_alu instid0(VALU_DEP_1) | instskip(SKIP_2) | instid1(VALU_DEP_3)
	v_div_fmas_f64 v[46:47], v[46:47], v[48:49], v[50:51]
	v_fma_f64 v[48:49], s[8:9], v[25:26], s[10:11]
	v_fma_f64 v[25:26], s[10:11], v[25:26], -s[8:9]
	v_div_fixup_f64 v[46:47], v[46:47], v[27:28], 1.0
	s_delay_alu instid0(VALU_DEP_1) | instskip(NEXT) | instid1(VALU_DEP_3)
	v_mul_f64 v[27:28], v[48:49], v[46:47]
	v_mul_f64 v[25:26], v[25:26], v[46:47]
.LBB84_54:                              ;   in Loop: Header=BB84_5 Depth=1
	s_or_b32 exec_lo, exec_lo, s3
	s_delay_alu instid0(VALU_DEP_1) | instskip(SKIP_1) | instid1(VALU_DEP_2)
	v_mul_f64 v[46:47], s[6:7], v[25:26]
	v_mul_f64 v[48:49], s[4:5], v[25:26]
	v_fma_f64 v[25:26], s[4:5], v[27:28], -v[46:47]
	s_delay_alu instid0(VALU_DEP_2)
	v_fma_f64 v[27:28], s[6:7], v[27:28], v[48:49]
	s_branch .LBB84_65
.LBB84_55:                              ;   in Loop: Header=BB84_5 Depth=1
                                        ; implicit-def: $vgpr27_vgpr28
                                        ; implicit-def: $vgpr25_vgpr26
	s_cbranch_execz .LBB84_65
; %bb.56:                               ;   in Loop: Header=BB84_5 Depth=1
                                        ; implicit-def: $vgpr27_vgpr28
                                        ; implicit-def: $vgpr25_vgpr26
	s_delay_alu instid0(VALU_DEP_1) | instskip(NEXT) | instid1(SALU_CYCLE_1)
	s_and_saveexec_b32 s3, s2
	s_xor_b32 s3, exec_lo, s3
	s_cbranch_execz .LBB84_62
; %bb.57:                               ;   in Loop: Header=BB84_5 Depth=1
	v_cmp_neq_f64_e32 vcc_lo, 0, v[21:22]
	v_cmp_neq_f64_e64 s2, 0, v[23:24]
                                        ; implicit-def: $vgpr27_vgpr28
                                        ; implicit-def: $vgpr25_vgpr26
	s_delay_alu instid0(VALU_DEP_1) | instskip(NEXT) | instid1(SALU_CYCLE_1)
	s_or_b32 s2, vcc_lo, s2
	s_and_saveexec_b32 s29, s2
	s_delay_alu instid0(SALU_CYCLE_1)
	s_xor_b32 s2, exec_lo, s29
	s_cbranch_execz .LBB84_59
; %bb.58:                               ;   in Loop: Header=BB84_5 Depth=1
	v_div_scale_f64 v[25:26], null, v[21:22], v[21:22], v[23:24]
	v_div_scale_f64 v[43:44], vcc_lo, v[23:24], v[21:22], v[23:24]
	s_delay_alu instid0(VALU_DEP_2) | instskip(SKIP_2) | instid1(VALU_DEP_1)
	v_rcp_f64_e32 v[27:28], v[25:26]
	s_waitcnt_depctr 0xfff
	v_fma_f64 v[41:42], -v[25:26], v[27:28], 1.0
	v_fma_f64 v[27:28], v[27:28], v[41:42], v[27:28]
	s_delay_alu instid0(VALU_DEP_1) | instskip(NEXT) | instid1(VALU_DEP_1)
	v_fma_f64 v[41:42], -v[25:26], v[27:28], 1.0
	v_fma_f64 v[27:28], v[27:28], v[41:42], v[27:28]
	s_delay_alu instid0(VALU_DEP_1) | instskip(NEXT) | instid1(VALU_DEP_1)
	v_mul_f64 v[41:42], v[43:44], v[27:28]
	v_fma_f64 v[25:26], -v[25:26], v[41:42], v[43:44]
	s_delay_alu instid0(VALU_DEP_1) | instskip(NEXT) | instid1(VALU_DEP_1)
	v_div_fmas_f64 v[25:26], v[25:26], v[27:28], v[41:42]
	v_div_fixup_f64 v[25:26], v[25:26], v[21:22], v[23:24]
	s_delay_alu instid0(VALU_DEP_1) | instskip(NEXT) | instid1(VALU_DEP_1)
	v_fma_f64 v[21:22], v[23:24], v[25:26], v[21:22]
	v_div_scale_f64 v[23:24], null, v[21:22], v[21:22], 1.0
	v_div_scale_f64 v[43:44], vcc_lo, 1.0, v[21:22], 1.0
	s_delay_alu instid0(VALU_DEP_2) | instskip(SKIP_2) | instid1(VALU_DEP_1)
	v_rcp_f64_e32 v[27:28], v[23:24]
	s_waitcnt_depctr 0xfff
	v_fma_f64 v[41:42], -v[23:24], v[27:28], 1.0
	v_fma_f64 v[27:28], v[27:28], v[41:42], v[27:28]
	s_delay_alu instid0(VALU_DEP_1) | instskip(NEXT) | instid1(VALU_DEP_1)
	v_fma_f64 v[41:42], -v[23:24], v[27:28], 1.0
	v_fma_f64 v[27:28], v[27:28], v[41:42], v[27:28]
	s_delay_alu instid0(VALU_DEP_1) | instskip(NEXT) | instid1(VALU_DEP_1)
	v_mul_f64 v[41:42], v[43:44], v[27:28]
	v_fma_f64 v[23:24], -v[23:24], v[41:42], v[43:44]
                                        ; implicit-def: $vgpr43_vgpr44
	s_delay_alu instid0(VALU_DEP_1) | instskip(SKIP_1) | instid1(VALU_DEP_2)
	v_div_fmas_f64 v[23:24], v[23:24], v[27:28], v[41:42]
	v_fma_f64 v[27:28], s[10:11], v[25:26], s[8:9]
                                        ; implicit-def: $vgpr41_vgpr42
	v_div_fixup_f64 v[21:22], v[23:24], v[21:22], 1.0
	v_fma_f64 v[23:24], -s[8:9], v[25:26], s[10:11]
	s_delay_alu instid0(VALU_DEP_2) | instskip(NEXT) | instid1(VALU_DEP_2)
	v_mul_f64 v[25:26], v[27:28], v[21:22]
	v_mul_f64 v[27:28], v[23:24], v[21:22]
.LBB84_59:                              ;   in Loop: Header=BB84_5 Depth=1
	s_and_not1_saveexec_b32 s29, s2
	s_cbranch_execz .LBB84_61
; %bb.60:                               ;   in Loop: Header=BB84_5 Depth=1
	v_div_scale_f64 v[21:22], null, v[41:42], v[41:42], s[8:9]
	v_div_scale_f64 v[23:24], null, v[43:44], v[43:44], s[10:11]
	v_div_scale_f64 v[50:51], vcc_lo, s[8:9], v[41:42], s[8:9]
	s_delay_alu instid0(VALU_DEP_3) | instskip(NEXT) | instid1(VALU_DEP_2)
	v_rcp_f64_e32 v[25:26], v[21:22]
	v_rcp_f64_e32 v[27:28], v[23:24]
	s_waitcnt_depctr 0xfff
	v_fma_f64 v[46:47], -v[21:22], v[25:26], 1.0
	v_fma_f64 v[48:49], -v[23:24], v[27:28], 1.0
	s_delay_alu instid0(VALU_DEP_2) | instskip(NEXT) | instid1(VALU_DEP_2)
	v_fma_f64 v[25:26], v[25:26], v[46:47], v[25:26]
	v_fma_f64 v[27:28], v[27:28], v[48:49], v[27:28]
	s_delay_alu instid0(VALU_DEP_2) | instskip(NEXT) | instid1(VALU_DEP_2)
	v_fma_f64 v[46:47], -v[21:22], v[25:26], 1.0
	v_fma_f64 v[48:49], -v[23:24], v[27:28], 1.0
	s_delay_alu instid0(VALU_DEP_2) | instskip(SKIP_1) | instid1(VALU_DEP_3)
	v_fma_f64 v[25:26], v[25:26], v[46:47], v[25:26]
	v_div_scale_f64 v[46:47], s2, s[10:11], v[43:44], s[10:11]
	v_fma_f64 v[27:28], v[27:28], v[48:49], v[27:28]
	s_delay_alu instid0(VALU_DEP_3) | instskip(NEXT) | instid1(VALU_DEP_2)
	v_mul_f64 v[48:49], v[50:51], v[25:26]
	v_mul_f64 v[52:53], v[46:47], v[27:28]
	s_delay_alu instid0(VALU_DEP_2) | instskip(NEXT) | instid1(VALU_DEP_2)
	v_fma_f64 v[21:22], -v[21:22], v[48:49], v[50:51]
	v_fma_f64 v[23:24], -v[23:24], v[52:53], v[46:47]
	s_delay_alu instid0(VALU_DEP_2) | instskip(SKIP_1) | instid1(VALU_DEP_2)
	v_div_fmas_f64 v[21:22], v[21:22], v[25:26], v[48:49]
	s_mov_b32 vcc_lo, s2
	v_div_fmas_f64 v[23:24], v[23:24], v[27:28], v[52:53]
	s_delay_alu instid0(VALU_DEP_2) | instskip(NEXT) | instid1(VALU_DEP_2)
	v_div_fixup_f64 v[25:26], v[21:22], v[41:42], s[8:9]
	v_div_fixup_f64 v[27:28], v[23:24], v[43:44], s[10:11]
.LBB84_61:                              ;   in Loop: Header=BB84_5 Depth=1
	s_or_b32 exec_lo, exec_lo, s29
                                        ; implicit-def: $vgpr23_vgpr24
.LBB84_62:                              ;   in Loop: Header=BB84_5 Depth=1
	s_and_not1_saveexec_b32 s2, s3
	s_cbranch_execz .LBB84_64
; %bb.63:                               ;   in Loop: Header=BB84_5 Depth=1
	v_div_scale_f64 v[25:26], null, v[23:24], v[23:24], v[21:22]
	v_div_scale_f64 v[43:44], vcc_lo, v[21:22], v[23:24], v[21:22]
	s_delay_alu instid0(VALU_DEP_2) | instskip(SKIP_2) | instid1(VALU_DEP_1)
	v_rcp_f64_e32 v[27:28], v[25:26]
	s_waitcnt_depctr 0xfff
	v_fma_f64 v[41:42], -v[25:26], v[27:28], 1.0
	v_fma_f64 v[27:28], v[27:28], v[41:42], v[27:28]
	s_delay_alu instid0(VALU_DEP_1) | instskip(NEXT) | instid1(VALU_DEP_1)
	v_fma_f64 v[41:42], -v[25:26], v[27:28], 1.0
	v_fma_f64 v[27:28], v[27:28], v[41:42], v[27:28]
	s_delay_alu instid0(VALU_DEP_1) | instskip(NEXT) | instid1(VALU_DEP_1)
	v_mul_f64 v[41:42], v[43:44], v[27:28]
	v_fma_f64 v[25:26], -v[25:26], v[41:42], v[43:44]
	s_delay_alu instid0(VALU_DEP_1) | instskip(NEXT) | instid1(VALU_DEP_1)
	v_div_fmas_f64 v[25:26], v[25:26], v[27:28], v[41:42]
	v_div_fixup_f64 v[25:26], v[25:26], v[23:24], v[21:22]
	s_delay_alu instid0(VALU_DEP_1) | instskip(NEXT) | instid1(VALU_DEP_1)
	v_fma_f64 v[21:22], v[21:22], v[25:26], v[23:24]
	v_div_scale_f64 v[23:24], null, v[21:22], v[21:22], 1.0
	v_div_scale_f64 v[43:44], vcc_lo, 1.0, v[21:22], 1.0
	s_delay_alu instid0(VALU_DEP_2) | instskip(SKIP_2) | instid1(VALU_DEP_1)
	v_rcp_f64_e32 v[27:28], v[23:24]
	s_waitcnt_depctr 0xfff
	v_fma_f64 v[41:42], -v[23:24], v[27:28], 1.0
	v_fma_f64 v[27:28], v[27:28], v[41:42], v[27:28]
	s_delay_alu instid0(VALU_DEP_1) | instskip(NEXT) | instid1(VALU_DEP_1)
	v_fma_f64 v[41:42], -v[23:24], v[27:28], 1.0
	v_fma_f64 v[27:28], v[27:28], v[41:42], v[27:28]
	s_delay_alu instid0(VALU_DEP_1) | instskip(NEXT) | instid1(VALU_DEP_1)
	v_mul_f64 v[41:42], v[43:44], v[27:28]
	v_fma_f64 v[23:24], -v[23:24], v[41:42], v[43:44]
	s_delay_alu instid0(VALU_DEP_1) | instskip(SKIP_1) | instid1(VALU_DEP_2)
	v_div_fmas_f64 v[23:24], v[23:24], v[27:28], v[41:42]
	v_fma_f64 v[27:28], s[8:9], v[25:26], s[10:11]
	v_div_fixup_f64 v[21:22], v[23:24], v[21:22], 1.0
	v_fma_f64 v[23:24], s[10:11], v[25:26], -s[8:9]
	s_delay_alu instid0(VALU_DEP_2) | instskip(NEXT) | instid1(VALU_DEP_2)
	v_mul_f64 v[25:26], v[27:28], v[21:22]
	v_mul_f64 v[27:28], v[23:24], v[21:22]
.LBB84_64:                              ;   in Loop: Header=BB84_5 Depth=1
	s_or_b32 exec_lo, exec_lo, s2
.LBB84_65:                              ;   in Loop: Header=BB84_5 Depth=1
	v_cmp_gt_f64_e32 vcc_lo, 0, v[17:18]
	v_xor_b32_e32 v22, 0x80000000, v18
	v_mov_b32_e32 v21, v17
	v_xor_b32_e32 v23, 0x80000000, v20
	s_delay_alu instid0(VALU_DEP_3) | instskip(SKIP_1) | instid1(VALU_DEP_3)
	v_cndmask_b32_e32 v22, v18, v22, vcc_lo
	v_cmp_gt_f64_e32 vcc_lo, 0, v[19:20]
	v_dual_cndmask_b32 v24, v20, v23 :: v_dual_mov_b32 v23, v19
	s_and_not1_b32 vcc_lo, exec_lo, s27
	s_delay_alu instid0(VALU_DEP_1)
	v_cmp_ge_f64_e64 s2, v[21:22], v[23:24]
	s_cbranch_vccnz .LBB84_75
; %bb.66:                               ;   in Loop: Header=BB84_5 Depth=1
                                        ; implicit-def: $vgpr41_vgpr42
                                        ; implicit-def: $vgpr43_vgpr44
	s_delay_alu instid0(VALU_DEP_1) | instskip(NEXT) | instid1(SALU_CYCLE_1)
	s_and_saveexec_b32 s3, s2
	s_xor_b32 s29, exec_lo, s3
	s_cbranch_execz .LBB84_72
; %bb.67:                               ;   in Loop: Header=BB84_5 Depth=1
	v_cmp_neq_f64_e32 vcc_lo, 0, v[17:18]
	v_cmp_neq_f64_e64 s3, 0, v[19:20]
                                        ; implicit-def: $vgpr41_vgpr42
                                        ; implicit-def: $vgpr43_vgpr44
	s_delay_alu instid0(VALU_DEP_1) | instskip(NEXT) | instid1(SALU_CYCLE_1)
	s_or_b32 s3, vcc_lo, s3
	s_and_saveexec_b32 s30, s3
	s_delay_alu instid0(SALU_CYCLE_1)
	s_xor_b32 s3, exec_lo, s30
	s_cbranch_execz .LBB84_69
; %bb.68:                               ;   in Loop: Header=BB84_5 Depth=1
	v_div_scale_f64 v[41:42], null, v[17:18], v[17:18], v[19:20]
	v_div_scale_f64 v[48:49], vcc_lo, v[19:20], v[17:18], v[19:20]
	s_delay_alu instid0(VALU_DEP_2) | instskip(SKIP_2) | instid1(VALU_DEP_1)
	v_rcp_f64_e32 v[43:44], v[41:42]
	s_waitcnt_depctr 0xfff
	v_fma_f64 v[46:47], -v[41:42], v[43:44], 1.0
	v_fma_f64 v[43:44], v[43:44], v[46:47], v[43:44]
	s_delay_alu instid0(VALU_DEP_1) | instskip(NEXT) | instid1(VALU_DEP_1)
	v_fma_f64 v[46:47], -v[41:42], v[43:44], 1.0
	v_fma_f64 v[43:44], v[43:44], v[46:47], v[43:44]
	s_delay_alu instid0(VALU_DEP_1) | instskip(NEXT) | instid1(VALU_DEP_1)
	v_mul_f64 v[46:47], v[48:49], v[43:44]
	v_fma_f64 v[41:42], -v[41:42], v[46:47], v[48:49]
	s_delay_alu instid0(VALU_DEP_1) | instskip(NEXT) | instid1(VALU_DEP_1)
	v_div_fmas_f64 v[41:42], v[41:42], v[43:44], v[46:47]
	v_div_fixup_f64 v[41:42], v[41:42], v[17:18], v[19:20]
	s_delay_alu instid0(VALU_DEP_1) | instskip(NEXT) | instid1(VALU_DEP_1)
	v_fma_f64 v[43:44], v[19:20], v[41:42], v[17:18]
	v_div_scale_f64 v[46:47], null, v[43:44], v[43:44], 1.0
	v_div_scale_f64 v[52:53], vcc_lo, 1.0, v[43:44], 1.0
	s_delay_alu instid0(VALU_DEP_2) | instskip(SKIP_2) | instid1(VALU_DEP_1)
	v_rcp_f64_e32 v[48:49], v[46:47]
	s_waitcnt_depctr 0xfff
	v_fma_f64 v[50:51], -v[46:47], v[48:49], 1.0
	v_fma_f64 v[48:49], v[48:49], v[50:51], v[48:49]
	s_delay_alu instid0(VALU_DEP_1) | instskip(NEXT) | instid1(VALU_DEP_1)
	v_fma_f64 v[50:51], -v[46:47], v[48:49], 1.0
	v_fma_f64 v[48:49], v[48:49], v[50:51], v[48:49]
	s_delay_alu instid0(VALU_DEP_1) | instskip(NEXT) | instid1(VALU_DEP_1)
	v_mul_f64 v[50:51], v[52:53], v[48:49]
	v_fma_f64 v[46:47], -v[46:47], v[50:51], v[52:53]
	s_delay_alu instid0(VALU_DEP_1) | instskip(SKIP_2) | instid1(VALU_DEP_3)
	v_div_fmas_f64 v[46:47], v[46:47], v[48:49], v[50:51]
	v_fma_f64 v[48:49], s[10:11], v[41:42], s[8:9]
	v_fma_f64 v[41:42], -s[8:9], v[41:42], s[10:11]
	v_div_fixup_f64 v[46:47], v[46:47], v[43:44], 1.0
	s_delay_alu instid0(VALU_DEP_1) | instskip(NEXT) | instid1(VALU_DEP_3)
	v_mul_f64 v[43:44], v[48:49], v[46:47]
	v_mul_f64 v[41:42], v[41:42], v[46:47]
.LBB84_69:                              ;   in Loop: Header=BB84_5 Depth=1
	s_and_not1_saveexec_b32 s30, s3
	s_cbranch_execz .LBB84_71
; %bb.70:                               ;   in Loop: Header=BB84_5 Depth=1
	v_div_scale_f64 v[41:42], null, v[21:22], v[21:22], s[8:9]
	v_div_scale_f64 v[43:44], null, v[23:24], v[23:24], s[10:11]
	v_div_scale_f64 v[54:55], vcc_lo, s[8:9], v[21:22], s[8:9]
	s_delay_alu instid0(VALU_DEP_3) | instskip(NEXT) | instid1(VALU_DEP_2)
	v_rcp_f64_e32 v[46:47], v[41:42]
	v_rcp_f64_e32 v[48:49], v[43:44]
	s_waitcnt_depctr 0xfff
	v_fma_f64 v[50:51], -v[41:42], v[46:47], 1.0
	v_fma_f64 v[52:53], -v[43:44], v[48:49], 1.0
	s_delay_alu instid0(VALU_DEP_2) | instskip(NEXT) | instid1(VALU_DEP_2)
	v_fma_f64 v[46:47], v[46:47], v[50:51], v[46:47]
	v_fma_f64 v[48:49], v[48:49], v[52:53], v[48:49]
	s_delay_alu instid0(VALU_DEP_2) | instskip(NEXT) | instid1(VALU_DEP_2)
	v_fma_f64 v[50:51], -v[41:42], v[46:47], 1.0
	v_fma_f64 v[52:53], -v[43:44], v[48:49], 1.0
	s_delay_alu instid0(VALU_DEP_2) | instskip(SKIP_1) | instid1(VALU_DEP_3)
	v_fma_f64 v[46:47], v[46:47], v[50:51], v[46:47]
	v_div_scale_f64 v[50:51], s3, s[10:11], v[23:24], s[10:11]
	v_fma_f64 v[48:49], v[48:49], v[52:53], v[48:49]
	s_delay_alu instid0(VALU_DEP_3) | instskip(NEXT) | instid1(VALU_DEP_2)
	v_mul_f64 v[52:53], v[54:55], v[46:47]
	v_mul_f64 v[56:57], v[50:51], v[48:49]
	s_delay_alu instid0(VALU_DEP_2) | instskip(NEXT) | instid1(VALU_DEP_2)
	v_fma_f64 v[41:42], -v[41:42], v[52:53], v[54:55]
	v_fma_f64 v[43:44], -v[43:44], v[56:57], v[50:51]
	s_delay_alu instid0(VALU_DEP_2) | instskip(SKIP_1) | instid1(VALU_DEP_2)
	v_div_fmas_f64 v[41:42], v[41:42], v[46:47], v[52:53]
	s_mov_b32 vcc_lo, s3
	v_div_fmas_f64 v[46:47], v[43:44], v[48:49], v[56:57]
	s_delay_alu instid0(VALU_DEP_2) | instskip(NEXT) | instid1(VALU_DEP_2)
	v_div_fixup_f64 v[43:44], v[41:42], v[21:22], s[8:9]
	v_div_fixup_f64 v[41:42], v[46:47], v[23:24], s[10:11]
.LBB84_71:                              ;   in Loop: Header=BB84_5 Depth=1
	s_or_b32 exec_lo, exec_lo, s30
.LBB84_72:                              ;   in Loop: Header=BB84_5 Depth=1
	s_and_not1_saveexec_b32 s3, s29
	s_cbranch_execz .LBB84_74
; %bb.73:                               ;   in Loop: Header=BB84_5 Depth=1
	v_div_scale_f64 v[41:42], null, v[19:20], v[19:20], v[17:18]
	v_div_scale_f64 v[48:49], vcc_lo, v[17:18], v[19:20], v[17:18]
	s_delay_alu instid0(VALU_DEP_2) | instskip(SKIP_2) | instid1(VALU_DEP_1)
	v_rcp_f64_e32 v[43:44], v[41:42]
	s_waitcnt_depctr 0xfff
	v_fma_f64 v[46:47], -v[41:42], v[43:44], 1.0
	v_fma_f64 v[43:44], v[43:44], v[46:47], v[43:44]
	s_delay_alu instid0(VALU_DEP_1) | instskip(NEXT) | instid1(VALU_DEP_1)
	v_fma_f64 v[46:47], -v[41:42], v[43:44], 1.0
	v_fma_f64 v[43:44], v[43:44], v[46:47], v[43:44]
	s_delay_alu instid0(VALU_DEP_1) | instskip(NEXT) | instid1(VALU_DEP_1)
	v_mul_f64 v[46:47], v[48:49], v[43:44]
	v_fma_f64 v[41:42], -v[41:42], v[46:47], v[48:49]
	s_delay_alu instid0(VALU_DEP_1) | instskip(NEXT) | instid1(VALU_DEP_1)
	v_div_fmas_f64 v[41:42], v[41:42], v[43:44], v[46:47]
	v_div_fixup_f64 v[41:42], v[41:42], v[19:20], v[17:18]
	s_delay_alu instid0(VALU_DEP_1) | instskip(NEXT) | instid1(VALU_DEP_1)
	v_fma_f64 v[43:44], v[17:18], v[41:42], v[19:20]
	v_div_scale_f64 v[46:47], null, v[43:44], v[43:44], 1.0
	v_div_scale_f64 v[52:53], vcc_lo, 1.0, v[43:44], 1.0
	s_delay_alu instid0(VALU_DEP_2) | instskip(SKIP_2) | instid1(VALU_DEP_1)
	v_rcp_f64_e32 v[48:49], v[46:47]
	s_waitcnt_depctr 0xfff
	v_fma_f64 v[50:51], -v[46:47], v[48:49], 1.0
	v_fma_f64 v[48:49], v[48:49], v[50:51], v[48:49]
	s_delay_alu instid0(VALU_DEP_1) | instskip(NEXT) | instid1(VALU_DEP_1)
	v_fma_f64 v[50:51], -v[46:47], v[48:49], 1.0
	v_fma_f64 v[48:49], v[48:49], v[50:51], v[48:49]
	s_delay_alu instid0(VALU_DEP_1) | instskip(NEXT) | instid1(VALU_DEP_1)
	v_mul_f64 v[50:51], v[52:53], v[48:49]
	v_fma_f64 v[46:47], -v[46:47], v[50:51], v[52:53]
	s_delay_alu instid0(VALU_DEP_1) | instskip(SKIP_2) | instid1(VALU_DEP_3)
	v_div_fmas_f64 v[46:47], v[46:47], v[48:49], v[50:51]
	v_fma_f64 v[48:49], s[8:9], v[41:42], s[10:11]
	v_fma_f64 v[41:42], s[10:11], v[41:42], -s[8:9]
	v_div_fixup_f64 v[46:47], v[46:47], v[43:44], 1.0
	s_delay_alu instid0(VALU_DEP_1) | instskip(NEXT) | instid1(VALU_DEP_3)
	v_mul_f64 v[43:44], v[48:49], v[46:47]
	v_mul_f64 v[41:42], v[41:42], v[46:47]
.LBB84_74:                              ;   in Loop: Header=BB84_5 Depth=1
	s_or_b32 exec_lo, exec_lo, s3
	s_delay_alu instid0(VALU_DEP_1) | instskip(SKIP_1) | instid1(VALU_DEP_2)
	v_mul_f64 v[46:47], s[6:7], v[41:42]
	v_mul_f64 v[48:49], s[4:5], v[41:42]
	v_fma_f64 v[41:42], s[4:5], v[43:44], -v[46:47]
	s_delay_alu instid0(VALU_DEP_2)
	v_fma_f64 v[43:44], s[6:7], v[43:44], v[48:49]
	s_branch .LBB84_4
.LBB84_75:                              ;   in Loop: Header=BB84_5 Depth=1
                                        ; implicit-def: $vgpr43_vgpr44
                                        ; implicit-def: $vgpr41_vgpr42
	s_cbranch_execz .LBB84_4
; %bb.76:                               ;   in Loop: Header=BB84_5 Depth=1
                                        ; implicit-def: $vgpr43_vgpr44
                                        ; implicit-def: $vgpr41_vgpr42
	s_delay_alu instid0(VALU_DEP_1) | instskip(NEXT) | instid1(SALU_CYCLE_1)
	s_and_saveexec_b32 s3, s2
	s_xor_b32 s3, exec_lo, s3
	s_cbranch_execz .LBB84_82
; %bb.77:                               ;   in Loop: Header=BB84_5 Depth=1
	v_cmp_neq_f64_e32 vcc_lo, 0, v[17:18]
	v_cmp_neq_f64_e64 s2, 0, v[19:20]
                                        ; implicit-def: $vgpr43_vgpr44
                                        ; implicit-def: $vgpr41_vgpr42
	s_delay_alu instid0(VALU_DEP_1) | instskip(NEXT) | instid1(SALU_CYCLE_1)
	s_or_b32 s2, vcc_lo, s2
	s_and_saveexec_b32 s29, s2
	s_delay_alu instid0(SALU_CYCLE_1)
	s_xor_b32 s2, exec_lo, s29
	s_cbranch_execz .LBB84_79
; %bb.78:                               ;   in Loop: Header=BB84_5 Depth=1
	v_div_scale_f64 v[21:22], null, v[17:18], v[17:18], v[19:20]
	v_div_scale_f64 v[43:44], vcc_lo, v[19:20], v[17:18], v[19:20]
	s_delay_alu instid0(VALU_DEP_2) | instskip(SKIP_2) | instid1(VALU_DEP_1)
	v_rcp_f64_e32 v[23:24], v[21:22]
	s_waitcnt_depctr 0xfff
	v_fma_f64 v[41:42], -v[21:22], v[23:24], 1.0
	v_fma_f64 v[23:24], v[23:24], v[41:42], v[23:24]
	s_delay_alu instid0(VALU_DEP_1) | instskip(NEXT) | instid1(VALU_DEP_1)
	v_fma_f64 v[41:42], -v[21:22], v[23:24], 1.0
	v_fma_f64 v[23:24], v[23:24], v[41:42], v[23:24]
	s_delay_alu instid0(VALU_DEP_1) | instskip(NEXT) | instid1(VALU_DEP_1)
	v_mul_f64 v[41:42], v[43:44], v[23:24]
	v_fma_f64 v[21:22], -v[21:22], v[41:42], v[43:44]
	s_delay_alu instid0(VALU_DEP_1) | instskip(NEXT) | instid1(VALU_DEP_1)
	v_div_fmas_f64 v[21:22], v[21:22], v[23:24], v[41:42]
	v_div_fixup_f64 v[21:22], v[21:22], v[17:18], v[19:20]
	s_delay_alu instid0(VALU_DEP_1) | instskip(NEXT) | instid1(VALU_DEP_1)
	v_fma_f64 v[17:18], v[19:20], v[21:22], v[17:18]
	v_div_scale_f64 v[19:20], null, v[17:18], v[17:18], 1.0
	v_div_scale_f64 v[43:44], vcc_lo, 1.0, v[17:18], 1.0
	s_delay_alu instid0(VALU_DEP_2) | instskip(SKIP_2) | instid1(VALU_DEP_1)
	v_rcp_f64_e32 v[23:24], v[19:20]
	s_waitcnt_depctr 0xfff
	v_fma_f64 v[41:42], -v[19:20], v[23:24], 1.0
	v_fma_f64 v[23:24], v[23:24], v[41:42], v[23:24]
	s_delay_alu instid0(VALU_DEP_1) | instskip(NEXT) | instid1(VALU_DEP_1)
	v_fma_f64 v[41:42], -v[19:20], v[23:24], 1.0
	v_fma_f64 v[23:24], v[23:24], v[41:42], v[23:24]
	s_delay_alu instid0(VALU_DEP_1) | instskip(NEXT) | instid1(VALU_DEP_1)
	v_mul_f64 v[41:42], v[43:44], v[23:24]
	v_fma_f64 v[19:20], -v[19:20], v[41:42], v[43:44]
	s_delay_alu instid0(VALU_DEP_1) | instskip(SKIP_1) | instid1(VALU_DEP_2)
	v_div_fmas_f64 v[19:20], v[19:20], v[23:24], v[41:42]
	v_fma_f64 v[23:24], s[10:11], v[21:22], s[8:9]
	v_div_fixup_f64 v[17:18], v[19:20], v[17:18], 1.0
	v_fma_f64 v[19:20], -s[8:9], v[21:22], s[10:11]
                                        ; implicit-def: $vgpr21_vgpr22
	s_delay_alu instid0(VALU_DEP_2) | instskip(NEXT) | instid1(VALU_DEP_2)
	v_mul_f64 v[41:42], v[23:24], v[17:18]
	v_mul_f64 v[43:44], v[19:20], v[17:18]
                                        ; implicit-def: $vgpr23_vgpr24
.LBB84_79:                              ;   in Loop: Header=BB84_5 Depth=1
	s_and_not1_saveexec_b32 s29, s2
	s_cbranch_execz .LBB84_81
; %bb.80:                               ;   in Loop: Header=BB84_5 Depth=1
	v_div_scale_f64 v[17:18], null, v[21:22], v[21:22], s[8:9]
	v_div_scale_f64 v[19:20], null, v[23:24], v[23:24], s[10:11]
	v_div_scale_f64 v[50:51], vcc_lo, s[8:9], v[21:22], s[8:9]
	s_delay_alu instid0(VALU_DEP_3) | instskip(NEXT) | instid1(VALU_DEP_2)
	v_rcp_f64_e32 v[41:42], v[17:18]
	v_rcp_f64_e32 v[43:44], v[19:20]
	s_waitcnt_depctr 0xfff
	v_fma_f64 v[46:47], -v[17:18], v[41:42], 1.0
	v_fma_f64 v[48:49], -v[19:20], v[43:44], 1.0
	s_delay_alu instid0(VALU_DEP_2) | instskip(NEXT) | instid1(VALU_DEP_2)
	v_fma_f64 v[41:42], v[41:42], v[46:47], v[41:42]
	v_fma_f64 v[43:44], v[43:44], v[48:49], v[43:44]
	s_delay_alu instid0(VALU_DEP_2) | instskip(NEXT) | instid1(VALU_DEP_2)
	v_fma_f64 v[46:47], -v[17:18], v[41:42], 1.0
	v_fma_f64 v[48:49], -v[19:20], v[43:44], 1.0
	s_delay_alu instid0(VALU_DEP_2) | instskip(SKIP_1) | instid1(VALU_DEP_3)
	v_fma_f64 v[41:42], v[41:42], v[46:47], v[41:42]
	v_div_scale_f64 v[46:47], s2, s[10:11], v[23:24], s[10:11]
	v_fma_f64 v[43:44], v[43:44], v[48:49], v[43:44]
	s_delay_alu instid0(VALU_DEP_3) | instskip(NEXT) | instid1(VALU_DEP_2)
	v_mul_f64 v[48:49], v[50:51], v[41:42]
	v_mul_f64 v[52:53], v[46:47], v[43:44]
	s_delay_alu instid0(VALU_DEP_2) | instskip(NEXT) | instid1(VALU_DEP_2)
	v_fma_f64 v[17:18], -v[17:18], v[48:49], v[50:51]
	v_fma_f64 v[19:20], -v[19:20], v[52:53], v[46:47]
	s_delay_alu instid0(VALU_DEP_2) | instskip(SKIP_1) | instid1(VALU_DEP_2)
	v_div_fmas_f64 v[17:18], v[17:18], v[41:42], v[48:49]
	s_mov_b32 vcc_lo, s2
	v_div_fmas_f64 v[19:20], v[19:20], v[43:44], v[52:53]
	s_delay_alu instid0(VALU_DEP_2) | instskip(NEXT) | instid1(VALU_DEP_2)
	v_div_fixup_f64 v[41:42], v[17:18], v[21:22], s[8:9]
	v_div_fixup_f64 v[43:44], v[19:20], v[23:24], s[10:11]
.LBB84_81:                              ;   in Loop: Header=BB84_5 Depth=1
	s_or_b32 exec_lo, exec_lo, s29
                                        ; implicit-def: $vgpr19_vgpr20
.LBB84_82:                              ;   in Loop: Header=BB84_5 Depth=1
	s_and_not1_saveexec_b32 s2, s3
	s_cbranch_execz .LBB84_3
; %bb.83:                               ;   in Loop: Header=BB84_5 Depth=1
	v_div_scale_f64 v[21:22], null, v[19:20], v[19:20], v[17:18]
	v_div_scale_f64 v[43:44], vcc_lo, v[17:18], v[19:20], v[17:18]
	s_delay_alu instid0(VALU_DEP_2) | instskip(SKIP_2) | instid1(VALU_DEP_1)
	v_rcp_f64_e32 v[23:24], v[21:22]
	s_waitcnt_depctr 0xfff
	v_fma_f64 v[41:42], -v[21:22], v[23:24], 1.0
	v_fma_f64 v[23:24], v[23:24], v[41:42], v[23:24]
	s_delay_alu instid0(VALU_DEP_1) | instskip(NEXT) | instid1(VALU_DEP_1)
	v_fma_f64 v[41:42], -v[21:22], v[23:24], 1.0
	v_fma_f64 v[23:24], v[23:24], v[41:42], v[23:24]
	s_delay_alu instid0(VALU_DEP_1) | instskip(NEXT) | instid1(VALU_DEP_1)
	v_mul_f64 v[41:42], v[43:44], v[23:24]
	v_fma_f64 v[21:22], -v[21:22], v[41:42], v[43:44]
	s_delay_alu instid0(VALU_DEP_1) | instskip(NEXT) | instid1(VALU_DEP_1)
	v_div_fmas_f64 v[21:22], v[21:22], v[23:24], v[41:42]
	v_div_fixup_f64 v[21:22], v[21:22], v[19:20], v[17:18]
	s_delay_alu instid0(VALU_DEP_1) | instskip(NEXT) | instid1(VALU_DEP_1)
	v_fma_f64 v[17:18], v[17:18], v[21:22], v[19:20]
	v_div_scale_f64 v[19:20], null, v[17:18], v[17:18], 1.0
	v_div_scale_f64 v[43:44], vcc_lo, 1.0, v[17:18], 1.0
	s_delay_alu instid0(VALU_DEP_2) | instskip(SKIP_2) | instid1(VALU_DEP_1)
	v_rcp_f64_e32 v[23:24], v[19:20]
	s_waitcnt_depctr 0xfff
	v_fma_f64 v[41:42], -v[19:20], v[23:24], 1.0
	v_fma_f64 v[23:24], v[23:24], v[41:42], v[23:24]
	s_delay_alu instid0(VALU_DEP_1) | instskip(NEXT) | instid1(VALU_DEP_1)
	v_fma_f64 v[41:42], -v[19:20], v[23:24], 1.0
	v_fma_f64 v[23:24], v[23:24], v[41:42], v[23:24]
	s_delay_alu instid0(VALU_DEP_1) | instskip(NEXT) | instid1(VALU_DEP_1)
	v_mul_f64 v[41:42], v[43:44], v[23:24]
	v_fma_f64 v[19:20], -v[19:20], v[41:42], v[43:44]
	s_delay_alu instid0(VALU_DEP_1) | instskip(SKIP_1) | instid1(VALU_DEP_2)
	v_div_fmas_f64 v[19:20], v[19:20], v[23:24], v[41:42]
	v_fma_f64 v[23:24], s[8:9], v[21:22], s[10:11]
	v_div_fixup_f64 v[17:18], v[19:20], v[17:18], 1.0
	v_fma_f64 v[19:20], s[10:11], v[21:22], -s[8:9]
	s_delay_alu instid0(VALU_DEP_2) | instskip(NEXT) | instid1(VALU_DEP_2)
	v_mul_f64 v[41:42], v[23:24], v[17:18]
	v_mul_f64 v[43:44], v[19:20], v[17:18]
	s_branch .LBB84_3
.LBB84_84:
	s_or_b32 exec_lo, exec_lo, s24
	s_mov_b32 s2, 0
.LBB84_85:
	s_delay_alu instid0(SALU_CYCLE_1)
	s_and_not1_b32 vcc_lo, exec_lo, s2
	s_cbranch_vccnz .LBB84_185
; %bb.86:
	v_cmp_lt_i64_e64 s2, s[14:15], 1
	s_delay_alu instid0(VALU_DEP_1)
	s_and_b32 vcc_lo, exec_lo, s2
	s_cbranch_vccnz .LBB84_185
; %bb.87:
	s_load_b32 s0, s[0:1], 0xc6c
	v_cmp_neq_f64_e64 s1, s[4:5], 1.0
	v_cmp_neq_f64_e64 s2, s[6:7], 0
	v_dual_mov_b32 v1, 0 :: v_dual_lshlrev_b32 v6, 4, v0
	v_cmp_gt_u64_e64 s16, 0x10000, s[14:15]
	s_mov_b32 s3, 0
	s_delay_alu instid0(VALU_DEP_2) | instskip(NEXT) | instid1(VALU_DEP_3)
	v_or_b32_e32 v2, 8, v6
	v_mov_b32_e32 v3, v1
	s_delay_alu instid0(VALU_DEP_2) | instskip(NEXT) | instid1(VALU_DEP_1)
	v_add_co_u32 v48, s17, s20, v2
	v_add_co_ci_u32_e64 v49, null, s21, 0, s17
	s_waitcnt lgkmcnt(0)
	s_and_b32 s22, s0, 0xffff
	v_add_co_u32 v50, s0, s18, v2
	v_add_lshl_u32 v7, v0, s22, 4
	v_mad_u64_u32 v[4:5], null, s22, 48, v[2:3]
	v_add_co_ci_u32_e64 v51, null, s19, 0, s0
	s_delay_alu instid0(VALU_DEP_3) | instskip(NEXT) | instid1(VALU_DEP_1)
	v_add_co_u32 v52, s0, s18, v7
	v_add_co_ci_u32_e64 v53, null, s19, 0, s0
	v_add_co_u32 v54, s0, s20, v7
	s_delay_alu instid0(VALU_DEP_1)
	v_add_co_ci_u32_e64 v55, null, s21, 0, s0
	v_add_co_u32 v56, vcc_lo, s20, v4
	v_add_co_ci_u32_e32 v57, vcc_lo, s21, v5, vcc_lo
	s_or_b32 s24, s1, s2
	s_and_b32 s0, s16, exec_lo
	s_cselect_b32 s17, s15, 0
	s_cselect_b32 s16, s14, 0x10000
	s_lshl_b32 s0, s22, 5
	v_add_co_u32 v58, vcc_lo, s18, v4
	v_add_co_u32 v2, s0, s0, v6
	s_delay_alu instid0(VALU_DEP_1) | instskip(SKIP_1) | instid1(VALU_DEP_3)
	v_add_co_ci_u32_e64 v3, null, 0, 0, s0
	v_add_co_ci_u32_e32 v59, vcc_lo, s19, v5, vcc_lo
	v_add_co_u32 v4, vcc_lo, v2, s20
	s_delay_alu instid0(VALU_DEP_3) | instskip(SKIP_2) | instid1(VALU_DEP_4)
	v_add_co_ci_u32_e32 v5, vcc_lo, s21, v3, vcc_lo
	v_add_co_u32 v60, vcc_lo, s18, v2
	v_add_co_ci_u32_e32 v61, vcc_lo, s19, v3, vcc_lo
	v_add_co_u32 v62, vcc_lo, v4, 8
	s_delay_alu instid0(VALU_DEP_4)
	v_add_co_ci_u32_e32 v63, vcc_lo, 0, v5, vcc_lo
	s_lshl_b32 s2, s22, 2
	s_mul_i32 s23, s22, 3
	s_lshl_b32 s25, s22, 1
	s_lshl_b32 s20, s22, 6
	s_mov_b64 s[18:19], s[2:3]
	s_branch .LBB84_89
.LBB84_88:                              ;   in Loop: Header=BB84_89 Depth=1
	s_or_b32 exec_lo, exec_lo, s0
	v_add_co_u32 v0, vcc_lo, v0, s2
	v_add_co_ci_u32_e32 v1, vcc_lo, 0, v1, vcc_lo
	v_add_co_u32 v48, vcc_lo, v48, s20
	v_add_co_ci_u32_e32 v49, vcc_lo, 0, v49, vcc_lo
	;; [unrolled: 2-line block ×7, first 2 shown]
	v_cmp_ge_i64_e64 s0, s[18:19], s[14:15]
	v_cmp_lt_u64_e64 s1, 0xffff, s[18:19]
	v_add_co_u32 v60, vcc_lo, v60, s20
	v_add_co_ci_u32_e32 v61, vcc_lo, 0, v61, vcc_lo
	v_add_co_u32 v62, vcc_lo, v62, s20
	v_add_co_ci_u32_e32 v63, vcc_lo, 0, v63, vcc_lo
	s_or_b32 s0, s0, s1
	s_add_u32 s18, s18, s2
	s_addc_u32 s19, s19, 0
	s_and_b32 vcc_lo, exec_lo, s0
	s_cbranch_vccnz .LBB84_185
.LBB84_89:                              ; =>This Inner Loop Header: Depth=1
	v_mov_b32_e32 v28, 0
	v_mov_b32_e32 v29, 0
	v_cmp_gt_i64_e32 vcc_lo, s[14:15], v[0:1]
	v_cmp_gt_u64_e64 s0, 0x10000, v[0:1]
	s_delay_alu instid0(VALU_DEP_4) | instskip(NEXT) | instid1(VALU_DEP_4)
	v_mov_b32_e32 v4, v28
	v_dual_mov_b32 v2, v28 :: v_dual_mov_b32 v3, v29
	v_dual_mov_b32 v33, v29 :: v_dual_mov_b32 v32, v28
	v_dual_mov_b32 v31, v29 :: v_dual_mov_b32 v30, v28
	v_mov_b32_e32 v5, v29
	s_and_b32 s1, vcc_lo, s0
	s_delay_alu instid0(SALU_CYCLE_1)
	s_and_saveexec_b32 s0, s1
	s_cbranch_execz .LBB84_91
; %bb.90:                               ;   in Loop: Header=BB84_89 Depth=1
	v_add_co_u32 v2, vcc_lo, v50, s12
	v_add_co_ci_u32_e32 v3, vcc_lo, s13, v51, vcc_lo
	v_add_co_u32 v6, vcc_lo, v48, s12
	v_add_co_ci_u32_e32 v7, vcc_lo, s13, v49, vcc_lo
	global_load_b128 v[2:5], v[2:3], off offset:-8
	global_load_b128 v[30:33], v[6:7], off offset:-8
.LBB84_91:                              ;   in Loop: Header=BB84_89 Depth=1
	s_or_b32 exec_lo, exec_lo, s0
	v_add_co_u32 v34, vcc_lo, s22, v0
	v_add_co_ci_u32_e32 v35, vcc_lo, 0, v1, vcc_lo
	v_dual_mov_b32 v26, v28 :: v_dual_mov_b32 v27, v29
	v_dual_mov_b32 v8, v28 :: v_dual_mov_b32 v9, v29
	s_delay_alu instid0(VALU_DEP_3) | instskip(SKIP_2) | instid1(VALU_DEP_2)
	v_cmp_gt_i64_e32 vcc_lo, s[14:15], v[34:35]
	v_cmp_gt_u64_e64 s0, 0x10000, v[34:35]
	v_dual_mov_b32 v6, v28 :: v_dual_mov_b32 v7, v29
	s_and_b32 s1, vcc_lo, s0
	s_delay_alu instid0(SALU_CYCLE_1)
	s_and_saveexec_b32 s0, s1
	s_cbranch_execz .LBB84_93
; %bb.92:                               ;   in Loop: Header=BB84_89 Depth=1
	v_add_co_u32 v6, vcc_lo, v52, s12
	v_add_co_ci_u32_e32 v7, vcc_lo, s13, v53, vcc_lo
	v_add_co_u32 v10, vcc_lo, v54, s12
	v_add_co_ci_u32_e32 v11, vcc_lo, s13, v55, vcc_lo
	global_load_b128 v[6:9], v[6:7], off
	global_load_b128 v[26:29], v[10:11], off
.LBB84_93:                              ;   in Loop: Header=BB84_89 Depth=1
	s_or_b32 exec_lo, exec_lo, s0
	v_add_co_u32 v36, vcc_lo, s25, v0
	v_add_co_ci_u32_e32 v37, vcc_lo, 0, v1, vcc_lo
	v_mov_b32_e32 v20, 0
	v_mov_b32_e32 v21, 0
	s_delay_alu instid0(VALU_DEP_2) | instskip(NEXT) | instid1(VALU_DEP_4)
	v_mov_b32_e32 v12, v20
	v_cmp_gt_i64_e32 vcc_lo, s[14:15], v[36:37]
	v_cmp_gt_u64_e64 s0, 0x10000, v[36:37]
	s_delay_alu instid0(VALU_DEP_4) | instskip(SKIP_4) | instid1(SALU_CYCLE_1)
	v_dual_mov_b32 v10, v20 :: v_dual_mov_b32 v11, v21
	v_dual_mov_b32 v25, v21 :: v_dual_mov_b32 v24, v20
	;; [unrolled: 1-line block ×3, first 2 shown]
	v_mov_b32_e32 v13, v21
	s_and_b32 s1, vcc_lo, s0
	s_and_saveexec_b32 s0, s1
	s_cbranch_execz .LBB84_95
; %bb.94:                               ;   in Loop: Header=BB84_89 Depth=1
	v_add_co_u32 v10, vcc_lo, v60, s12
	v_add_co_ci_u32_e32 v11, vcc_lo, s13, v61, vcc_lo
	v_add_co_u32 v14, vcc_lo, v62, s12
	v_add_co_ci_u32_e32 v15, vcc_lo, s13, v63, vcc_lo
	global_load_b128 v[10:13], v[10:11], off
	global_load_b128 v[22:25], v[14:15], off offset:-8
.LBB84_95:                              ;   in Loop: Header=BB84_89 Depth=1
	s_or_b32 exec_lo, exec_lo, s0
	v_add_co_u32 v38, vcc_lo, s23, v0
	v_add_co_ci_u32_e32 v39, vcc_lo, 0, v1, vcc_lo
	v_dual_mov_b32 v18, v20 :: v_dual_mov_b32 v19, v21
	v_dual_mov_b32 v16, v20 :: v_dual_mov_b32 v17, v21
	s_delay_alu instid0(VALU_DEP_3) | instskip(SKIP_2) | instid1(VALU_DEP_2)
	v_cmp_gt_i64_e32 vcc_lo, s[14:15], v[38:39]
	v_cmp_gt_u64_e64 s0, 0x10000, v[38:39]
	v_dual_mov_b32 v14, v20 :: v_dual_mov_b32 v15, v21
	s_and_b32 s1, vcc_lo, s0
	s_delay_alu instid0(SALU_CYCLE_1)
	s_and_saveexec_b32 s0, s1
	s_cbranch_execz .LBB84_97
; %bb.96:                               ;   in Loop: Header=BB84_89 Depth=1
	v_add_co_u32 v14, vcc_lo, v58, s12
	v_add_co_ci_u32_e32 v15, vcc_lo, s13, v59, vcc_lo
	v_add_co_u32 v18, vcc_lo, v56, s12
	v_add_co_ci_u32_e32 v19, vcc_lo, s13, v57, vcc_lo
	global_load_b128 v[14:17], v[14:15], off offset:-8
	global_load_b128 v[18:21], v[18:19], off offset:-8
.LBB84_97:                              ;   in Loop: Header=BB84_89 Depth=1
	s_or_b32 exec_lo, exec_lo, s0
	s_waitcnt vmcnt(0)
	v_cmp_gt_f64_e32 vcc_lo, 0, v[30:31]
	v_cmp_gt_f64_e64 s0, 0, v[32:33]
	v_xor_b32_e32 v40, 0x80000000, v31
	v_xor_b32_e32 v41, 0x80000000, v33
	s_delay_alu instid0(VALU_DEP_2) | instskip(NEXT) | instid1(VALU_DEP_2)
	v_dual_cndmask_b32 v45, v31, v40 :: v_dual_cndmask_b32 v44, v30, v30
	v_cndmask_b32_e64 v47, v33, v41, s0
	v_cndmask_b32_e64 v46, v32, v32, s0
	s_and_b32 vcc_lo, exec_lo, s24
	s_delay_alu instid0(VALU_DEP_1)
	v_cmp_ge_f64_e64 s0, v[44:45], v[46:47]
	s_cbranch_vccz .LBB84_107
; %bb.98:                               ;   in Loop: Header=BB84_89 Depth=1
                                        ; implicit-def: $vgpr40_vgpr41
                                        ; implicit-def: $vgpr42_vgpr43
	s_delay_alu instid0(VALU_DEP_1) | instskip(NEXT) | instid1(SALU_CYCLE_1)
	s_and_saveexec_b32 s1, s0
	s_xor_b32 s3, exec_lo, s1
	s_cbranch_execz .LBB84_104
; %bb.99:                               ;   in Loop: Header=BB84_89 Depth=1
	v_cmp_neq_f64_e32 vcc_lo, 0, v[30:31]
	v_cmp_neq_f64_e64 s1, 0, v[32:33]
                                        ; implicit-def: $vgpr40_vgpr41
                                        ; implicit-def: $vgpr42_vgpr43
	s_delay_alu instid0(VALU_DEP_1) | instskip(NEXT) | instid1(SALU_CYCLE_1)
	s_or_b32 s1, s1, vcc_lo
	s_and_saveexec_b32 s21, s1
	s_delay_alu instid0(SALU_CYCLE_1)
	s_xor_b32 s1, exec_lo, s21
	s_cbranch_execz .LBB84_101
; %bb.100:                              ;   in Loop: Header=BB84_89 Depth=1
	v_div_scale_f64 v[40:41], null, v[30:31], v[30:31], v[32:33]
	v_div_scale_f64 v[66:67], vcc_lo, v[32:33], v[30:31], v[32:33]
	s_delay_alu instid0(VALU_DEP_2) | instskip(SKIP_2) | instid1(VALU_DEP_1)
	v_rcp_f64_e32 v[42:43], v[40:41]
	s_waitcnt_depctr 0xfff
	v_fma_f64 v[64:65], -v[40:41], v[42:43], 1.0
	v_fma_f64 v[42:43], v[42:43], v[64:65], v[42:43]
	s_delay_alu instid0(VALU_DEP_1) | instskip(NEXT) | instid1(VALU_DEP_1)
	v_fma_f64 v[64:65], -v[40:41], v[42:43], 1.0
	v_fma_f64 v[42:43], v[42:43], v[64:65], v[42:43]
	s_delay_alu instid0(VALU_DEP_1) | instskip(NEXT) | instid1(VALU_DEP_1)
	v_mul_f64 v[64:65], v[66:67], v[42:43]
	v_fma_f64 v[40:41], -v[40:41], v[64:65], v[66:67]
	s_delay_alu instid0(VALU_DEP_1) | instskip(NEXT) | instid1(VALU_DEP_1)
	v_div_fmas_f64 v[40:41], v[40:41], v[42:43], v[64:65]
	v_div_fixup_f64 v[40:41], v[40:41], v[30:31], v[32:33]
	s_delay_alu instid0(VALU_DEP_1) | instskip(NEXT) | instid1(VALU_DEP_1)
	v_fma_f64 v[42:43], v[32:33], v[40:41], v[30:31]
	v_div_scale_f64 v[64:65], null, v[42:43], v[42:43], 1.0
	v_div_scale_f64 v[70:71], vcc_lo, 1.0, v[42:43], 1.0
	s_delay_alu instid0(VALU_DEP_2) | instskip(SKIP_2) | instid1(VALU_DEP_1)
	v_rcp_f64_e32 v[66:67], v[64:65]
	s_waitcnt_depctr 0xfff
	v_fma_f64 v[68:69], -v[64:65], v[66:67], 1.0
	v_fma_f64 v[66:67], v[66:67], v[68:69], v[66:67]
	s_delay_alu instid0(VALU_DEP_1) | instskip(NEXT) | instid1(VALU_DEP_1)
	v_fma_f64 v[68:69], -v[64:65], v[66:67], 1.0
	v_fma_f64 v[66:67], v[66:67], v[68:69], v[66:67]
	s_delay_alu instid0(VALU_DEP_1) | instskip(NEXT) | instid1(VALU_DEP_1)
	v_mul_f64 v[68:69], v[70:71], v[66:67]
	v_fma_f64 v[64:65], -v[64:65], v[68:69], v[70:71]
	s_delay_alu instid0(VALU_DEP_1) | instskip(SKIP_2) | instid1(VALU_DEP_3)
	v_div_fmas_f64 v[64:65], v[64:65], v[66:67], v[68:69]
	v_fma_f64 v[66:67], s[10:11], v[40:41], s[8:9]
	v_fma_f64 v[40:41], -s[8:9], v[40:41], s[10:11]
	v_div_fixup_f64 v[64:65], v[64:65], v[42:43], 1.0
	s_delay_alu instid0(VALU_DEP_1) | instskip(NEXT) | instid1(VALU_DEP_3)
	v_mul_f64 v[42:43], v[66:67], v[64:65]
	v_mul_f64 v[40:41], v[40:41], v[64:65]
.LBB84_101:                             ;   in Loop: Header=BB84_89 Depth=1
	s_and_not1_saveexec_b32 s21, s1
	s_cbranch_execz .LBB84_103
; %bb.102:                              ;   in Loop: Header=BB84_89 Depth=1
	v_div_scale_f64 v[40:41], null, v[44:45], v[44:45], s[8:9]
	v_div_scale_f64 v[42:43], null, v[46:47], v[46:47], s[10:11]
	v_div_scale_f64 v[72:73], vcc_lo, s[8:9], v[44:45], s[8:9]
	s_delay_alu instid0(VALU_DEP_3) | instskip(NEXT) | instid1(VALU_DEP_2)
	v_rcp_f64_e32 v[64:65], v[40:41]
	v_rcp_f64_e32 v[66:67], v[42:43]
	s_waitcnt_depctr 0xfff
	v_fma_f64 v[68:69], -v[40:41], v[64:65], 1.0
	v_fma_f64 v[70:71], -v[42:43], v[66:67], 1.0
	s_delay_alu instid0(VALU_DEP_2) | instskip(NEXT) | instid1(VALU_DEP_2)
	v_fma_f64 v[64:65], v[64:65], v[68:69], v[64:65]
	v_fma_f64 v[66:67], v[66:67], v[70:71], v[66:67]
	s_delay_alu instid0(VALU_DEP_2) | instskip(NEXT) | instid1(VALU_DEP_2)
	v_fma_f64 v[68:69], -v[40:41], v[64:65], 1.0
	v_fma_f64 v[70:71], -v[42:43], v[66:67], 1.0
	s_delay_alu instid0(VALU_DEP_2) | instskip(SKIP_1) | instid1(VALU_DEP_3)
	v_fma_f64 v[64:65], v[64:65], v[68:69], v[64:65]
	v_div_scale_f64 v[68:69], s1, s[10:11], v[46:47], s[10:11]
	v_fma_f64 v[66:67], v[66:67], v[70:71], v[66:67]
	s_delay_alu instid0(VALU_DEP_3) | instskip(NEXT) | instid1(VALU_DEP_2)
	v_mul_f64 v[70:71], v[72:73], v[64:65]
	v_mul_f64 v[74:75], v[68:69], v[66:67]
	s_delay_alu instid0(VALU_DEP_2) | instskip(NEXT) | instid1(VALU_DEP_2)
	v_fma_f64 v[40:41], -v[40:41], v[70:71], v[72:73]
	v_fma_f64 v[42:43], -v[42:43], v[74:75], v[68:69]
	s_delay_alu instid0(VALU_DEP_2) | instskip(SKIP_1) | instid1(VALU_DEP_2)
	v_div_fmas_f64 v[40:41], v[40:41], v[64:65], v[70:71]
	s_mov_b32 vcc_lo, s1
	v_div_fmas_f64 v[64:65], v[42:43], v[66:67], v[74:75]
	s_delay_alu instid0(VALU_DEP_2) | instskip(NEXT) | instid1(VALU_DEP_2)
	v_div_fixup_f64 v[42:43], v[40:41], v[44:45], s[8:9]
	v_div_fixup_f64 v[40:41], v[64:65], v[46:47], s[10:11]
.LBB84_103:                             ;   in Loop: Header=BB84_89 Depth=1
	s_or_b32 exec_lo, exec_lo, s21
.LBB84_104:                             ;   in Loop: Header=BB84_89 Depth=1
	s_and_not1_saveexec_b32 s1, s3
	s_cbranch_execz .LBB84_106
; %bb.105:                              ;   in Loop: Header=BB84_89 Depth=1
	v_div_scale_f64 v[40:41], null, v[32:33], v[32:33], v[30:31]
	v_div_scale_f64 v[66:67], vcc_lo, v[30:31], v[32:33], v[30:31]
	s_delay_alu instid0(VALU_DEP_2) | instskip(SKIP_2) | instid1(VALU_DEP_1)
	v_rcp_f64_e32 v[42:43], v[40:41]
	s_waitcnt_depctr 0xfff
	v_fma_f64 v[64:65], -v[40:41], v[42:43], 1.0
	v_fma_f64 v[42:43], v[42:43], v[64:65], v[42:43]
	s_delay_alu instid0(VALU_DEP_1) | instskip(NEXT) | instid1(VALU_DEP_1)
	v_fma_f64 v[64:65], -v[40:41], v[42:43], 1.0
	v_fma_f64 v[42:43], v[42:43], v[64:65], v[42:43]
	s_delay_alu instid0(VALU_DEP_1) | instskip(NEXT) | instid1(VALU_DEP_1)
	v_mul_f64 v[64:65], v[66:67], v[42:43]
	v_fma_f64 v[40:41], -v[40:41], v[64:65], v[66:67]
	s_delay_alu instid0(VALU_DEP_1) | instskip(NEXT) | instid1(VALU_DEP_1)
	v_div_fmas_f64 v[40:41], v[40:41], v[42:43], v[64:65]
	v_div_fixup_f64 v[40:41], v[40:41], v[32:33], v[30:31]
	s_delay_alu instid0(VALU_DEP_1) | instskip(NEXT) | instid1(VALU_DEP_1)
	v_fma_f64 v[42:43], v[30:31], v[40:41], v[32:33]
	v_div_scale_f64 v[64:65], null, v[42:43], v[42:43], 1.0
	v_div_scale_f64 v[70:71], vcc_lo, 1.0, v[42:43], 1.0
	s_delay_alu instid0(VALU_DEP_2) | instskip(SKIP_2) | instid1(VALU_DEP_1)
	v_rcp_f64_e32 v[66:67], v[64:65]
	s_waitcnt_depctr 0xfff
	v_fma_f64 v[68:69], -v[64:65], v[66:67], 1.0
	v_fma_f64 v[66:67], v[66:67], v[68:69], v[66:67]
	s_delay_alu instid0(VALU_DEP_1) | instskip(NEXT) | instid1(VALU_DEP_1)
	v_fma_f64 v[68:69], -v[64:65], v[66:67], 1.0
	v_fma_f64 v[66:67], v[66:67], v[68:69], v[66:67]
	s_delay_alu instid0(VALU_DEP_1) | instskip(NEXT) | instid1(VALU_DEP_1)
	v_mul_f64 v[68:69], v[70:71], v[66:67]
	v_fma_f64 v[64:65], -v[64:65], v[68:69], v[70:71]
	s_delay_alu instid0(VALU_DEP_1) | instskip(SKIP_2) | instid1(VALU_DEP_3)
	v_div_fmas_f64 v[64:65], v[64:65], v[66:67], v[68:69]
	v_fma_f64 v[66:67], s[8:9], v[40:41], s[10:11]
	v_fma_f64 v[40:41], s[10:11], v[40:41], -s[8:9]
	v_div_fixup_f64 v[64:65], v[64:65], v[42:43], 1.0
	s_delay_alu instid0(VALU_DEP_1) | instskip(NEXT) | instid1(VALU_DEP_3)
	v_mul_f64 v[42:43], v[66:67], v[64:65]
	v_mul_f64 v[40:41], v[40:41], v[64:65]
.LBB84_106:                             ;   in Loop: Header=BB84_89 Depth=1
	s_or_b32 exec_lo, exec_lo, s1
	s_delay_alu instid0(VALU_DEP_1) | instskip(SKIP_1) | instid1(VALU_DEP_2)
	v_mul_f64 v[64:65], s[6:7], v[40:41]
	v_mul_f64 v[66:67], s[4:5], v[40:41]
	v_fma_f64 v[40:41], s[4:5], v[42:43], -v[64:65]
	s_delay_alu instid0(VALU_DEP_2)
	v_fma_f64 v[42:43], s[6:7], v[42:43], v[66:67]
	s_branch .LBB84_117
.LBB84_107:                             ;   in Loop: Header=BB84_89 Depth=1
                                        ; implicit-def: $vgpr42_vgpr43
                                        ; implicit-def: $vgpr40_vgpr41
	s_cbranch_execz .LBB84_117
; %bb.108:                              ;   in Loop: Header=BB84_89 Depth=1
                                        ; implicit-def: $vgpr42_vgpr43
                                        ; implicit-def: $vgpr40_vgpr41
	s_delay_alu instid0(VALU_DEP_1) | instskip(NEXT) | instid1(SALU_CYCLE_1)
	s_and_saveexec_b32 s1, s0
	s_xor_b32 s1, exec_lo, s1
	s_cbranch_execz .LBB84_114
; %bb.109:                              ;   in Loop: Header=BB84_89 Depth=1
	v_cmp_neq_f64_e32 vcc_lo, 0, v[30:31]
	v_cmp_neq_f64_e64 s0, 0, v[32:33]
                                        ; implicit-def: $vgpr42_vgpr43
                                        ; implicit-def: $vgpr40_vgpr41
	s_delay_alu instid0(VALU_DEP_1) | instskip(NEXT) | instid1(SALU_CYCLE_1)
	s_or_b32 s0, s0, vcc_lo
	s_and_saveexec_b32 s3, s0
	s_delay_alu instid0(SALU_CYCLE_1)
	s_xor_b32 s0, exec_lo, s3
	s_cbranch_execz .LBB84_111
; %bb.110:                              ;   in Loop: Header=BB84_89 Depth=1
	v_div_scale_f64 v[40:41], null, v[30:31], v[30:31], v[32:33]
	v_div_scale_f64 v[46:47], vcc_lo, v[32:33], v[30:31], v[32:33]
	s_delay_alu instid0(VALU_DEP_2) | instskip(SKIP_2) | instid1(VALU_DEP_1)
	v_rcp_f64_e32 v[42:43], v[40:41]
	s_waitcnt_depctr 0xfff
	v_fma_f64 v[44:45], -v[40:41], v[42:43], 1.0
	v_fma_f64 v[42:43], v[42:43], v[44:45], v[42:43]
	s_delay_alu instid0(VALU_DEP_1) | instskip(NEXT) | instid1(VALU_DEP_1)
	v_fma_f64 v[44:45], -v[40:41], v[42:43], 1.0
	v_fma_f64 v[42:43], v[42:43], v[44:45], v[42:43]
	s_delay_alu instid0(VALU_DEP_1) | instskip(NEXT) | instid1(VALU_DEP_1)
	v_mul_f64 v[44:45], v[46:47], v[42:43]
	v_fma_f64 v[40:41], -v[40:41], v[44:45], v[46:47]
	s_delay_alu instid0(VALU_DEP_1) | instskip(NEXT) | instid1(VALU_DEP_1)
	v_div_fmas_f64 v[40:41], v[40:41], v[42:43], v[44:45]
	v_div_fixup_f64 v[40:41], v[40:41], v[30:31], v[32:33]
	s_delay_alu instid0(VALU_DEP_1) | instskip(NEXT) | instid1(VALU_DEP_1)
	v_fma_f64 v[30:31], v[32:33], v[40:41], v[30:31]
	v_div_scale_f64 v[32:33], null, v[30:31], v[30:31], 1.0
	v_div_scale_f64 v[46:47], vcc_lo, 1.0, v[30:31], 1.0
	s_delay_alu instid0(VALU_DEP_2) | instskip(SKIP_2) | instid1(VALU_DEP_1)
	v_rcp_f64_e32 v[42:43], v[32:33]
	s_waitcnt_depctr 0xfff
	v_fma_f64 v[44:45], -v[32:33], v[42:43], 1.0
	v_fma_f64 v[42:43], v[42:43], v[44:45], v[42:43]
	s_delay_alu instid0(VALU_DEP_1) | instskip(NEXT) | instid1(VALU_DEP_1)
	v_fma_f64 v[44:45], -v[32:33], v[42:43], 1.0
	v_fma_f64 v[42:43], v[42:43], v[44:45], v[42:43]
	s_delay_alu instid0(VALU_DEP_1) | instskip(NEXT) | instid1(VALU_DEP_1)
	v_mul_f64 v[44:45], v[46:47], v[42:43]
	v_fma_f64 v[32:33], -v[32:33], v[44:45], v[46:47]
                                        ; implicit-def: $vgpr46_vgpr47
	s_delay_alu instid0(VALU_DEP_1) | instskip(SKIP_1) | instid1(VALU_DEP_2)
	v_div_fmas_f64 v[32:33], v[32:33], v[42:43], v[44:45]
	v_fma_f64 v[42:43], s[10:11], v[40:41], s[8:9]
                                        ; implicit-def: $vgpr44_vgpr45
	v_div_fixup_f64 v[30:31], v[32:33], v[30:31], 1.0
	v_fma_f64 v[32:33], -s[8:9], v[40:41], s[10:11]
	s_delay_alu instid0(VALU_DEP_2) | instskip(NEXT) | instid1(VALU_DEP_2)
	v_mul_f64 v[40:41], v[42:43], v[30:31]
	v_mul_f64 v[42:43], v[32:33], v[30:31]
.LBB84_111:                             ;   in Loop: Header=BB84_89 Depth=1
	s_and_not1_saveexec_b32 s3, s0
	s_cbranch_execz .LBB84_113
; %bb.112:                              ;   in Loop: Header=BB84_89 Depth=1
	v_div_scale_f64 v[30:31], null, v[44:45], v[44:45], s[8:9]
	v_div_scale_f64 v[32:33], null, v[46:47], v[46:47], s[10:11]
	v_div_scale_f64 v[68:69], vcc_lo, s[8:9], v[44:45], s[8:9]
	s_delay_alu instid0(VALU_DEP_3) | instskip(NEXT) | instid1(VALU_DEP_2)
	v_rcp_f64_e32 v[40:41], v[30:31]
	v_rcp_f64_e32 v[42:43], v[32:33]
	s_waitcnt_depctr 0xfff
	v_fma_f64 v[64:65], -v[30:31], v[40:41], 1.0
	v_fma_f64 v[66:67], -v[32:33], v[42:43], 1.0
	s_delay_alu instid0(VALU_DEP_2) | instskip(NEXT) | instid1(VALU_DEP_2)
	v_fma_f64 v[40:41], v[40:41], v[64:65], v[40:41]
	v_fma_f64 v[42:43], v[42:43], v[66:67], v[42:43]
	s_delay_alu instid0(VALU_DEP_2) | instskip(NEXT) | instid1(VALU_DEP_2)
	v_fma_f64 v[64:65], -v[30:31], v[40:41], 1.0
	v_fma_f64 v[66:67], -v[32:33], v[42:43], 1.0
	s_delay_alu instid0(VALU_DEP_2) | instskip(SKIP_1) | instid1(VALU_DEP_3)
	v_fma_f64 v[40:41], v[40:41], v[64:65], v[40:41]
	v_div_scale_f64 v[64:65], s0, s[10:11], v[46:47], s[10:11]
	v_fma_f64 v[42:43], v[42:43], v[66:67], v[42:43]
	s_delay_alu instid0(VALU_DEP_3) | instskip(NEXT) | instid1(VALU_DEP_2)
	v_mul_f64 v[66:67], v[68:69], v[40:41]
	v_mul_f64 v[70:71], v[64:65], v[42:43]
	s_delay_alu instid0(VALU_DEP_2) | instskip(NEXT) | instid1(VALU_DEP_2)
	v_fma_f64 v[30:31], -v[30:31], v[66:67], v[68:69]
	v_fma_f64 v[32:33], -v[32:33], v[70:71], v[64:65]
	s_delay_alu instid0(VALU_DEP_2) | instskip(SKIP_1) | instid1(VALU_DEP_2)
	v_div_fmas_f64 v[30:31], v[30:31], v[40:41], v[66:67]
	s_mov_b32 vcc_lo, s0
	v_div_fmas_f64 v[32:33], v[32:33], v[42:43], v[70:71]
	s_delay_alu instid0(VALU_DEP_2) | instskip(NEXT) | instid1(VALU_DEP_2)
	v_div_fixup_f64 v[40:41], v[30:31], v[44:45], s[8:9]
	v_div_fixup_f64 v[42:43], v[32:33], v[46:47], s[10:11]
.LBB84_113:                             ;   in Loop: Header=BB84_89 Depth=1
	s_or_b32 exec_lo, exec_lo, s3
                                        ; implicit-def: $vgpr32_vgpr33
.LBB84_114:                             ;   in Loop: Header=BB84_89 Depth=1
	s_and_not1_saveexec_b32 s0, s1
	s_cbranch_execz .LBB84_116
; %bb.115:                              ;   in Loop: Header=BB84_89 Depth=1
	v_div_scale_f64 v[40:41], null, v[32:33], v[32:33], v[30:31]
	v_div_scale_f64 v[46:47], vcc_lo, v[30:31], v[32:33], v[30:31]
	s_delay_alu instid0(VALU_DEP_2) | instskip(SKIP_2) | instid1(VALU_DEP_1)
	v_rcp_f64_e32 v[42:43], v[40:41]
	s_waitcnt_depctr 0xfff
	v_fma_f64 v[44:45], -v[40:41], v[42:43], 1.0
	v_fma_f64 v[42:43], v[42:43], v[44:45], v[42:43]
	s_delay_alu instid0(VALU_DEP_1) | instskip(NEXT) | instid1(VALU_DEP_1)
	v_fma_f64 v[44:45], -v[40:41], v[42:43], 1.0
	v_fma_f64 v[42:43], v[42:43], v[44:45], v[42:43]
	s_delay_alu instid0(VALU_DEP_1) | instskip(NEXT) | instid1(VALU_DEP_1)
	v_mul_f64 v[44:45], v[46:47], v[42:43]
	v_fma_f64 v[40:41], -v[40:41], v[44:45], v[46:47]
	s_delay_alu instid0(VALU_DEP_1) | instskip(NEXT) | instid1(VALU_DEP_1)
	v_div_fmas_f64 v[40:41], v[40:41], v[42:43], v[44:45]
	v_div_fixup_f64 v[40:41], v[40:41], v[32:33], v[30:31]
	s_delay_alu instid0(VALU_DEP_1) | instskip(NEXT) | instid1(VALU_DEP_1)
	v_fma_f64 v[30:31], v[30:31], v[40:41], v[32:33]
	v_div_scale_f64 v[32:33], null, v[30:31], v[30:31], 1.0
	v_div_scale_f64 v[46:47], vcc_lo, 1.0, v[30:31], 1.0
	s_delay_alu instid0(VALU_DEP_2) | instskip(SKIP_2) | instid1(VALU_DEP_1)
	v_rcp_f64_e32 v[42:43], v[32:33]
	s_waitcnt_depctr 0xfff
	v_fma_f64 v[44:45], -v[32:33], v[42:43], 1.0
	v_fma_f64 v[42:43], v[42:43], v[44:45], v[42:43]
	s_delay_alu instid0(VALU_DEP_1) | instskip(NEXT) | instid1(VALU_DEP_1)
	v_fma_f64 v[44:45], -v[32:33], v[42:43], 1.0
	v_fma_f64 v[42:43], v[42:43], v[44:45], v[42:43]
	s_delay_alu instid0(VALU_DEP_1) | instskip(NEXT) | instid1(VALU_DEP_1)
	v_mul_f64 v[44:45], v[46:47], v[42:43]
	v_fma_f64 v[32:33], -v[32:33], v[44:45], v[46:47]
	s_delay_alu instid0(VALU_DEP_1) | instskip(SKIP_1) | instid1(VALU_DEP_2)
	v_div_fmas_f64 v[32:33], v[32:33], v[42:43], v[44:45]
	v_fma_f64 v[42:43], s[8:9], v[40:41], s[10:11]
	v_div_fixup_f64 v[30:31], v[32:33], v[30:31], 1.0
	v_fma_f64 v[32:33], s[10:11], v[40:41], -s[8:9]
	s_delay_alu instid0(VALU_DEP_2) | instskip(NEXT) | instid1(VALU_DEP_2)
	v_mul_f64 v[40:41], v[42:43], v[30:31]
	v_mul_f64 v[42:43], v[32:33], v[30:31]
.LBB84_116:                             ;   in Loop: Header=BB84_89 Depth=1
	s_or_b32 exec_lo, exec_lo, s0
.LBB84_117:                             ;   in Loop: Header=BB84_89 Depth=1
	v_cmp_gt_f64_e32 vcc_lo, 0, v[26:27]
	v_cmp_gt_f64_e64 s0, 0, v[28:29]
	v_xor_b32_e32 v30, 0x80000000, v27
	v_xor_b32_e32 v31, 0x80000000, v29
	s_delay_alu instid0(VALU_DEP_2) | instskip(NEXT) | instid1(VALU_DEP_2)
	v_cndmask_b32_e32 v45, v27, v30, vcc_lo
	v_cndmask_b32_e64 v47, v29, v31, s0
	v_cndmask_b32_e32 v44, v26, v26, vcc_lo
	v_cndmask_b32_e64 v46, v28, v28, s0
	s_and_not1_b32 vcc_lo, exec_lo, s24
	s_delay_alu instid0(VALU_DEP_1)
	v_cmp_ge_f64_e64 s0, v[44:45], v[46:47]
	s_cbranch_vccnz .LBB84_127
; %bb.118:                              ;   in Loop: Header=BB84_89 Depth=1
                                        ; implicit-def: $vgpr30_vgpr31
                                        ; implicit-def: $vgpr32_vgpr33
	s_delay_alu instid0(VALU_DEP_1) | instskip(NEXT) | instid1(SALU_CYCLE_1)
	s_and_saveexec_b32 s1, s0
	s_xor_b32 s3, exec_lo, s1
	s_cbranch_execz .LBB84_124
; %bb.119:                              ;   in Loop: Header=BB84_89 Depth=1
	v_cmp_neq_f64_e32 vcc_lo, 0, v[26:27]
	v_cmp_neq_f64_e64 s1, 0, v[28:29]
                                        ; implicit-def: $vgpr30_vgpr31
                                        ; implicit-def: $vgpr32_vgpr33
	s_delay_alu instid0(VALU_DEP_1) | instskip(NEXT) | instid1(SALU_CYCLE_1)
	s_or_b32 s1, s1, vcc_lo
	s_and_saveexec_b32 s21, s1
	s_delay_alu instid0(SALU_CYCLE_1)
	s_xor_b32 s1, exec_lo, s21
	s_cbranch_execz .LBB84_121
; %bb.120:                              ;   in Loop: Header=BB84_89 Depth=1
	v_div_scale_f64 v[30:31], null, v[26:27], v[26:27], v[28:29]
	v_div_scale_f64 v[66:67], vcc_lo, v[28:29], v[26:27], v[28:29]
	s_delay_alu instid0(VALU_DEP_2) | instskip(SKIP_2) | instid1(VALU_DEP_1)
	v_rcp_f64_e32 v[32:33], v[30:31]
	s_waitcnt_depctr 0xfff
	v_fma_f64 v[64:65], -v[30:31], v[32:33], 1.0
	v_fma_f64 v[32:33], v[32:33], v[64:65], v[32:33]
	s_delay_alu instid0(VALU_DEP_1) | instskip(NEXT) | instid1(VALU_DEP_1)
	v_fma_f64 v[64:65], -v[30:31], v[32:33], 1.0
	v_fma_f64 v[32:33], v[32:33], v[64:65], v[32:33]
	s_delay_alu instid0(VALU_DEP_1) | instskip(NEXT) | instid1(VALU_DEP_1)
	v_mul_f64 v[64:65], v[66:67], v[32:33]
	v_fma_f64 v[30:31], -v[30:31], v[64:65], v[66:67]
	s_delay_alu instid0(VALU_DEP_1) | instskip(NEXT) | instid1(VALU_DEP_1)
	v_div_fmas_f64 v[30:31], v[30:31], v[32:33], v[64:65]
	v_div_fixup_f64 v[30:31], v[30:31], v[26:27], v[28:29]
	s_delay_alu instid0(VALU_DEP_1) | instskip(NEXT) | instid1(VALU_DEP_1)
	v_fma_f64 v[32:33], v[28:29], v[30:31], v[26:27]
	v_div_scale_f64 v[64:65], null, v[32:33], v[32:33], 1.0
	v_div_scale_f64 v[70:71], vcc_lo, 1.0, v[32:33], 1.0
	s_delay_alu instid0(VALU_DEP_2) | instskip(SKIP_2) | instid1(VALU_DEP_1)
	v_rcp_f64_e32 v[66:67], v[64:65]
	s_waitcnt_depctr 0xfff
	v_fma_f64 v[68:69], -v[64:65], v[66:67], 1.0
	v_fma_f64 v[66:67], v[66:67], v[68:69], v[66:67]
	s_delay_alu instid0(VALU_DEP_1) | instskip(NEXT) | instid1(VALU_DEP_1)
	v_fma_f64 v[68:69], -v[64:65], v[66:67], 1.0
	v_fma_f64 v[66:67], v[66:67], v[68:69], v[66:67]
	s_delay_alu instid0(VALU_DEP_1) | instskip(NEXT) | instid1(VALU_DEP_1)
	v_mul_f64 v[68:69], v[70:71], v[66:67]
	v_fma_f64 v[64:65], -v[64:65], v[68:69], v[70:71]
	s_delay_alu instid0(VALU_DEP_1) | instskip(SKIP_2) | instid1(VALU_DEP_3)
	v_div_fmas_f64 v[64:65], v[64:65], v[66:67], v[68:69]
	v_fma_f64 v[66:67], s[10:11], v[30:31], s[8:9]
	v_fma_f64 v[30:31], -s[8:9], v[30:31], s[10:11]
	v_div_fixup_f64 v[64:65], v[64:65], v[32:33], 1.0
	s_delay_alu instid0(VALU_DEP_1) | instskip(NEXT) | instid1(VALU_DEP_3)
	v_mul_f64 v[32:33], v[66:67], v[64:65]
	v_mul_f64 v[30:31], v[30:31], v[64:65]
.LBB84_121:                             ;   in Loop: Header=BB84_89 Depth=1
	s_and_not1_saveexec_b32 s21, s1
	s_cbranch_execz .LBB84_123
; %bb.122:                              ;   in Loop: Header=BB84_89 Depth=1
	v_div_scale_f64 v[30:31], null, v[44:45], v[44:45], s[8:9]
	v_div_scale_f64 v[32:33], null, v[46:47], v[46:47], s[10:11]
	v_div_scale_f64 v[72:73], vcc_lo, s[8:9], v[44:45], s[8:9]
	s_delay_alu instid0(VALU_DEP_3) | instskip(NEXT) | instid1(VALU_DEP_2)
	v_rcp_f64_e32 v[64:65], v[30:31]
	v_rcp_f64_e32 v[66:67], v[32:33]
	s_waitcnt_depctr 0xfff
	v_fma_f64 v[68:69], -v[30:31], v[64:65], 1.0
	v_fma_f64 v[70:71], -v[32:33], v[66:67], 1.0
	s_delay_alu instid0(VALU_DEP_2) | instskip(NEXT) | instid1(VALU_DEP_2)
	v_fma_f64 v[64:65], v[64:65], v[68:69], v[64:65]
	v_fma_f64 v[66:67], v[66:67], v[70:71], v[66:67]
	s_delay_alu instid0(VALU_DEP_2) | instskip(NEXT) | instid1(VALU_DEP_2)
	v_fma_f64 v[68:69], -v[30:31], v[64:65], 1.0
	v_fma_f64 v[70:71], -v[32:33], v[66:67], 1.0
	s_delay_alu instid0(VALU_DEP_2) | instskip(SKIP_1) | instid1(VALU_DEP_3)
	v_fma_f64 v[64:65], v[64:65], v[68:69], v[64:65]
	v_div_scale_f64 v[68:69], s1, s[10:11], v[46:47], s[10:11]
	v_fma_f64 v[66:67], v[66:67], v[70:71], v[66:67]
	s_delay_alu instid0(VALU_DEP_3) | instskip(NEXT) | instid1(VALU_DEP_2)
	v_mul_f64 v[70:71], v[72:73], v[64:65]
	v_mul_f64 v[74:75], v[68:69], v[66:67]
	s_delay_alu instid0(VALU_DEP_2) | instskip(NEXT) | instid1(VALU_DEP_2)
	v_fma_f64 v[30:31], -v[30:31], v[70:71], v[72:73]
	v_fma_f64 v[32:33], -v[32:33], v[74:75], v[68:69]
	s_delay_alu instid0(VALU_DEP_2) | instskip(SKIP_1) | instid1(VALU_DEP_2)
	v_div_fmas_f64 v[30:31], v[30:31], v[64:65], v[70:71]
	s_mov_b32 vcc_lo, s1
	v_div_fmas_f64 v[64:65], v[32:33], v[66:67], v[74:75]
	s_delay_alu instid0(VALU_DEP_2) | instskip(NEXT) | instid1(VALU_DEP_2)
	v_div_fixup_f64 v[32:33], v[30:31], v[44:45], s[8:9]
	v_div_fixup_f64 v[30:31], v[64:65], v[46:47], s[10:11]
.LBB84_123:                             ;   in Loop: Header=BB84_89 Depth=1
	s_or_b32 exec_lo, exec_lo, s21
.LBB84_124:                             ;   in Loop: Header=BB84_89 Depth=1
	s_and_not1_saveexec_b32 s1, s3
	s_cbranch_execz .LBB84_126
; %bb.125:                              ;   in Loop: Header=BB84_89 Depth=1
	v_div_scale_f64 v[30:31], null, v[28:29], v[28:29], v[26:27]
	v_div_scale_f64 v[66:67], vcc_lo, v[26:27], v[28:29], v[26:27]
	s_delay_alu instid0(VALU_DEP_2) | instskip(SKIP_2) | instid1(VALU_DEP_1)
	v_rcp_f64_e32 v[32:33], v[30:31]
	s_waitcnt_depctr 0xfff
	v_fma_f64 v[64:65], -v[30:31], v[32:33], 1.0
	v_fma_f64 v[32:33], v[32:33], v[64:65], v[32:33]
	s_delay_alu instid0(VALU_DEP_1) | instskip(NEXT) | instid1(VALU_DEP_1)
	v_fma_f64 v[64:65], -v[30:31], v[32:33], 1.0
	v_fma_f64 v[32:33], v[32:33], v[64:65], v[32:33]
	s_delay_alu instid0(VALU_DEP_1) | instskip(NEXT) | instid1(VALU_DEP_1)
	v_mul_f64 v[64:65], v[66:67], v[32:33]
	v_fma_f64 v[30:31], -v[30:31], v[64:65], v[66:67]
	s_delay_alu instid0(VALU_DEP_1) | instskip(NEXT) | instid1(VALU_DEP_1)
	v_div_fmas_f64 v[30:31], v[30:31], v[32:33], v[64:65]
	v_div_fixup_f64 v[30:31], v[30:31], v[28:29], v[26:27]
	s_delay_alu instid0(VALU_DEP_1) | instskip(NEXT) | instid1(VALU_DEP_1)
	v_fma_f64 v[32:33], v[26:27], v[30:31], v[28:29]
	v_div_scale_f64 v[64:65], null, v[32:33], v[32:33], 1.0
	v_div_scale_f64 v[70:71], vcc_lo, 1.0, v[32:33], 1.0
	s_delay_alu instid0(VALU_DEP_2) | instskip(SKIP_2) | instid1(VALU_DEP_1)
	v_rcp_f64_e32 v[66:67], v[64:65]
	s_waitcnt_depctr 0xfff
	v_fma_f64 v[68:69], -v[64:65], v[66:67], 1.0
	v_fma_f64 v[66:67], v[66:67], v[68:69], v[66:67]
	s_delay_alu instid0(VALU_DEP_1) | instskip(NEXT) | instid1(VALU_DEP_1)
	v_fma_f64 v[68:69], -v[64:65], v[66:67], 1.0
	v_fma_f64 v[66:67], v[66:67], v[68:69], v[66:67]
	s_delay_alu instid0(VALU_DEP_1) | instskip(NEXT) | instid1(VALU_DEP_1)
	v_mul_f64 v[68:69], v[70:71], v[66:67]
	v_fma_f64 v[64:65], -v[64:65], v[68:69], v[70:71]
	s_delay_alu instid0(VALU_DEP_1) | instskip(SKIP_2) | instid1(VALU_DEP_3)
	v_div_fmas_f64 v[64:65], v[64:65], v[66:67], v[68:69]
	v_fma_f64 v[66:67], s[8:9], v[30:31], s[10:11]
	v_fma_f64 v[30:31], s[10:11], v[30:31], -s[8:9]
	v_div_fixup_f64 v[64:65], v[64:65], v[32:33], 1.0
	s_delay_alu instid0(VALU_DEP_1) | instskip(NEXT) | instid1(VALU_DEP_3)
	v_mul_f64 v[32:33], v[66:67], v[64:65]
	v_mul_f64 v[30:31], v[30:31], v[64:65]
.LBB84_126:                             ;   in Loop: Header=BB84_89 Depth=1
	s_or_b32 exec_lo, exec_lo, s1
	s_delay_alu instid0(VALU_DEP_1) | instskip(SKIP_1) | instid1(VALU_DEP_2)
	v_mul_f64 v[64:65], s[6:7], v[30:31]
	v_mul_f64 v[66:67], s[4:5], v[30:31]
	v_fma_f64 v[30:31], s[4:5], v[32:33], -v[64:65]
	s_delay_alu instid0(VALU_DEP_2)
	v_fma_f64 v[32:33], s[6:7], v[32:33], v[66:67]
	s_branch .LBB84_137
.LBB84_127:                             ;   in Loop: Header=BB84_89 Depth=1
                                        ; implicit-def: $vgpr32_vgpr33
                                        ; implicit-def: $vgpr30_vgpr31
	s_cbranch_execz .LBB84_137
; %bb.128:                              ;   in Loop: Header=BB84_89 Depth=1
                                        ; implicit-def: $vgpr32_vgpr33
                                        ; implicit-def: $vgpr30_vgpr31
	s_delay_alu instid0(VALU_DEP_1) | instskip(NEXT) | instid1(SALU_CYCLE_1)
	s_and_saveexec_b32 s1, s0
	s_xor_b32 s1, exec_lo, s1
	s_cbranch_execz .LBB84_134
; %bb.129:                              ;   in Loop: Header=BB84_89 Depth=1
	v_cmp_neq_f64_e32 vcc_lo, 0, v[26:27]
	v_cmp_neq_f64_e64 s0, 0, v[28:29]
                                        ; implicit-def: $vgpr32_vgpr33
                                        ; implicit-def: $vgpr30_vgpr31
	s_delay_alu instid0(VALU_DEP_1) | instskip(NEXT) | instid1(SALU_CYCLE_1)
	s_or_b32 s0, s0, vcc_lo
	s_and_saveexec_b32 s3, s0
	s_delay_alu instid0(SALU_CYCLE_1)
	s_xor_b32 s0, exec_lo, s3
	s_cbranch_execz .LBB84_131
; %bb.130:                              ;   in Loop: Header=BB84_89 Depth=1
	v_div_scale_f64 v[30:31], null, v[26:27], v[26:27], v[28:29]
	v_div_scale_f64 v[46:47], vcc_lo, v[28:29], v[26:27], v[28:29]
	s_delay_alu instid0(VALU_DEP_2) | instskip(SKIP_2) | instid1(VALU_DEP_1)
	v_rcp_f64_e32 v[32:33], v[30:31]
	s_waitcnt_depctr 0xfff
	v_fma_f64 v[44:45], -v[30:31], v[32:33], 1.0
	v_fma_f64 v[32:33], v[32:33], v[44:45], v[32:33]
	s_delay_alu instid0(VALU_DEP_1) | instskip(NEXT) | instid1(VALU_DEP_1)
	v_fma_f64 v[44:45], -v[30:31], v[32:33], 1.0
	v_fma_f64 v[32:33], v[32:33], v[44:45], v[32:33]
	s_delay_alu instid0(VALU_DEP_1) | instskip(NEXT) | instid1(VALU_DEP_1)
	v_mul_f64 v[44:45], v[46:47], v[32:33]
	v_fma_f64 v[30:31], -v[30:31], v[44:45], v[46:47]
	s_delay_alu instid0(VALU_DEP_1) | instskip(NEXT) | instid1(VALU_DEP_1)
	v_div_fmas_f64 v[30:31], v[30:31], v[32:33], v[44:45]
	v_div_fixup_f64 v[30:31], v[30:31], v[26:27], v[28:29]
	s_delay_alu instid0(VALU_DEP_1) | instskip(NEXT) | instid1(VALU_DEP_1)
	v_fma_f64 v[26:27], v[28:29], v[30:31], v[26:27]
	v_div_scale_f64 v[28:29], null, v[26:27], v[26:27], 1.0
	v_div_scale_f64 v[46:47], vcc_lo, 1.0, v[26:27], 1.0
	s_delay_alu instid0(VALU_DEP_2) | instskip(SKIP_2) | instid1(VALU_DEP_1)
	v_rcp_f64_e32 v[32:33], v[28:29]
	s_waitcnt_depctr 0xfff
	v_fma_f64 v[44:45], -v[28:29], v[32:33], 1.0
	v_fma_f64 v[32:33], v[32:33], v[44:45], v[32:33]
	s_delay_alu instid0(VALU_DEP_1) | instskip(NEXT) | instid1(VALU_DEP_1)
	v_fma_f64 v[44:45], -v[28:29], v[32:33], 1.0
	v_fma_f64 v[32:33], v[32:33], v[44:45], v[32:33]
	s_delay_alu instid0(VALU_DEP_1) | instskip(NEXT) | instid1(VALU_DEP_1)
	v_mul_f64 v[44:45], v[46:47], v[32:33]
	v_fma_f64 v[28:29], -v[28:29], v[44:45], v[46:47]
                                        ; implicit-def: $vgpr46_vgpr47
	s_delay_alu instid0(VALU_DEP_1) | instskip(SKIP_1) | instid1(VALU_DEP_2)
	v_div_fmas_f64 v[28:29], v[28:29], v[32:33], v[44:45]
	v_fma_f64 v[32:33], s[10:11], v[30:31], s[8:9]
                                        ; implicit-def: $vgpr44_vgpr45
	v_div_fixup_f64 v[26:27], v[28:29], v[26:27], 1.0
	v_fma_f64 v[28:29], -s[8:9], v[30:31], s[10:11]
	s_delay_alu instid0(VALU_DEP_2) | instskip(NEXT) | instid1(VALU_DEP_2)
	v_mul_f64 v[30:31], v[32:33], v[26:27]
	v_mul_f64 v[32:33], v[28:29], v[26:27]
.LBB84_131:                             ;   in Loop: Header=BB84_89 Depth=1
	s_and_not1_saveexec_b32 s3, s0
	s_cbranch_execz .LBB84_133
; %bb.132:                              ;   in Loop: Header=BB84_89 Depth=1
	v_div_scale_f64 v[26:27], null, v[44:45], v[44:45], s[8:9]
	v_div_scale_f64 v[28:29], null, v[46:47], v[46:47], s[10:11]
	v_div_scale_f64 v[68:69], vcc_lo, s[8:9], v[44:45], s[8:9]
	s_delay_alu instid0(VALU_DEP_3) | instskip(NEXT) | instid1(VALU_DEP_2)
	v_rcp_f64_e32 v[30:31], v[26:27]
	v_rcp_f64_e32 v[32:33], v[28:29]
	s_waitcnt_depctr 0xfff
	v_fma_f64 v[64:65], -v[26:27], v[30:31], 1.0
	v_fma_f64 v[66:67], -v[28:29], v[32:33], 1.0
	s_delay_alu instid0(VALU_DEP_2) | instskip(NEXT) | instid1(VALU_DEP_2)
	v_fma_f64 v[30:31], v[30:31], v[64:65], v[30:31]
	v_fma_f64 v[32:33], v[32:33], v[66:67], v[32:33]
	s_delay_alu instid0(VALU_DEP_2) | instskip(NEXT) | instid1(VALU_DEP_2)
	v_fma_f64 v[64:65], -v[26:27], v[30:31], 1.0
	v_fma_f64 v[66:67], -v[28:29], v[32:33], 1.0
	s_delay_alu instid0(VALU_DEP_2) | instskip(SKIP_1) | instid1(VALU_DEP_3)
	v_fma_f64 v[30:31], v[30:31], v[64:65], v[30:31]
	v_div_scale_f64 v[64:65], s0, s[10:11], v[46:47], s[10:11]
	v_fma_f64 v[32:33], v[32:33], v[66:67], v[32:33]
	s_delay_alu instid0(VALU_DEP_3) | instskip(NEXT) | instid1(VALU_DEP_2)
	v_mul_f64 v[66:67], v[68:69], v[30:31]
	v_mul_f64 v[70:71], v[64:65], v[32:33]
	s_delay_alu instid0(VALU_DEP_2) | instskip(NEXT) | instid1(VALU_DEP_2)
	v_fma_f64 v[26:27], -v[26:27], v[66:67], v[68:69]
	v_fma_f64 v[28:29], -v[28:29], v[70:71], v[64:65]
	s_delay_alu instid0(VALU_DEP_2) | instskip(SKIP_1) | instid1(VALU_DEP_2)
	v_div_fmas_f64 v[26:27], v[26:27], v[30:31], v[66:67]
	s_mov_b32 vcc_lo, s0
	v_div_fmas_f64 v[28:29], v[28:29], v[32:33], v[70:71]
	s_delay_alu instid0(VALU_DEP_2) | instskip(NEXT) | instid1(VALU_DEP_2)
	v_div_fixup_f64 v[30:31], v[26:27], v[44:45], s[8:9]
	v_div_fixup_f64 v[32:33], v[28:29], v[46:47], s[10:11]
.LBB84_133:                             ;   in Loop: Header=BB84_89 Depth=1
	s_or_b32 exec_lo, exec_lo, s3
                                        ; implicit-def: $vgpr28_vgpr29
.LBB84_134:                             ;   in Loop: Header=BB84_89 Depth=1
	s_and_not1_saveexec_b32 s0, s1
	s_cbranch_execz .LBB84_136
; %bb.135:                              ;   in Loop: Header=BB84_89 Depth=1
	v_div_scale_f64 v[30:31], null, v[28:29], v[28:29], v[26:27]
	v_div_scale_f64 v[46:47], vcc_lo, v[26:27], v[28:29], v[26:27]
	s_delay_alu instid0(VALU_DEP_2) | instskip(SKIP_2) | instid1(VALU_DEP_1)
	v_rcp_f64_e32 v[32:33], v[30:31]
	s_waitcnt_depctr 0xfff
	v_fma_f64 v[44:45], -v[30:31], v[32:33], 1.0
	v_fma_f64 v[32:33], v[32:33], v[44:45], v[32:33]
	s_delay_alu instid0(VALU_DEP_1) | instskip(NEXT) | instid1(VALU_DEP_1)
	v_fma_f64 v[44:45], -v[30:31], v[32:33], 1.0
	v_fma_f64 v[32:33], v[32:33], v[44:45], v[32:33]
	s_delay_alu instid0(VALU_DEP_1) | instskip(NEXT) | instid1(VALU_DEP_1)
	v_mul_f64 v[44:45], v[46:47], v[32:33]
	v_fma_f64 v[30:31], -v[30:31], v[44:45], v[46:47]
	s_delay_alu instid0(VALU_DEP_1) | instskip(NEXT) | instid1(VALU_DEP_1)
	v_div_fmas_f64 v[30:31], v[30:31], v[32:33], v[44:45]
	v_div_fixup_f64 v[30:31], v[30:31], v[28:29], v[26:27]
	s_delay_alu instid0(VALU_DEP_1) | instskip(NEXT) | instid1(VALU_DEP_1)
	v_fma_f64 v[26:27], v[26:27], v[30:31], v[28:29]
	v_div_scale_f64 v[28:29], null, v[26:27], v[26:27], 1.0
	v_div_scale_f64 v[46:47], vcc_lo, 1.0, v[26:27], 1.0
	s_delay_alu instid0(VALU_DEP_2) | instskip(SKIP_2) | instid1(VALU_DEP_1)
	v_rcp_f64_e32 v[32:33], v[28:29]
	s_waitcnt_depctr 0xfff
	v_fma_f64 v[44:45], -v[28:29], v[32:33], 1.0
	v_fma_f64 v[32:33], v[32:33], v[44:45], v[32:33]
	s_delay_alu instid0(VALU_DEP_1) | instskip(NEXT) | instid1(VALU_DEP_1)
	v_fma_f64 v[44:45], -v[28:29], v[32:33], 1.0
	v_fma_f64 v[32:33], v[32:33], v[44:45], v[32:33]
	s_delay_alu instid0(VALU_DEP_1) | instskip(NEXT) | instid1(VALU_DEP_1)
	v_mul_f64 v[44:45], v[46:47], v[32:33]
	v_fma_f64 v[28:29], -v[28:29], v[44:45], v[46:47]
	s_delay_alu instid0(VALU_DEP_1) | instskip(SKIP_1) | instid1(VALU_DEP_2)
	v_div_fmas_f64 v[28:29], v[28:29], v[32:33], v[44:45]
	v_fma_f64 v[32:33], s[8:9], v[30:31], s[10:11]
	v_div_fixup_f64 v[26:27], v[28:29], v[26:27], 1.0
	v_fma_f64 v[28:29], s[10:11], v[30:31], -s[8:9]
	s_delay_alu instid0(VALU_DEP_2) | instskip(NEXT) | instid1(VALU_DEP_2)
	v_mul_f64 v[30:31], v[32:33], v[26:27]
	v_mul_f64 v[32:33], v[28:29], v[26:27]
.LBB84_136:                             ;   in Loop: Header=BB84_89 Depth=1
	s_or_b32 exec_lo, exec_lo, s0
.LBB84_137:                             ;   in Loop: Header=BB84_89 Depth=1
	v_cmp_gt_f64_e32 vcc_lo, 0, v[22:23]
	v_cmp_gt_f64_e64 s0, 0, v[24:25]
	v_xor_b32_e32 v26, 0x80000000, v23
	v_xor_b32_e32 v27, 0x80000000, v25
	s_delay_alu instid0(VALU_DEP_2) | instskip(NEXT) | instid1(VALU_DEP_2)
	v_cndmask_b32_e32 v45, v23, v26, vcc_lo
	v_cndmask_b32_e64 v47, v25, v27, s0
	v_cndmask_b32_e32 v44, v22, v22, vcc_lo
	v_cndmask_b32_e64 v46, v24, v24, s0
	s_and_not1_b32 vcc_lo, exec_lo, s24
	s_delay_alu instid0(VALU_DEP_1)
	v_cmp_ge_f64_e64 s0, v[44:45], v[46:47]
	s_cbranch_vccnz .LBB84_147
; %bb.138:                              ;   in Loop: Header=BB84_89 Depth=1
                                        ; implicit-def: $vgpr26_vgpr27
                                        ; implicit-def: $vgpr28_vgpr29
	s_delay_alu instid0(VALU_DEP_1) | instskip(NEXT) | instid1(SALU_CYCLE_1)
	s_and_saveexec_b32 s1, s0
	s_xor_b32 s3, exec_lo, s1
	s_cbranch_execz .LBB84_144
; %bb.139:                              ;   in Loop: Header=BB84_89 Depth=1
	v_cmp_neq_f64_e32 vcc_lo, 0, v[22:23]
	v_cmp_neq_f64_e64 s1, 0, v[24:25]
                                        ; implicit-def: $vgpr26_vgpr27
                                        ; implicit-def: $vgpr28_vgpr29
	s_delay_alu instid0(VALU_DEP_1) | instskip(NEXT) | instid1(SALU_CYCLE_1)
	s_or_b32 s1, s1, vcc_lo
	s_and_saveexec_b32 s21, s1
	s_delay_alu instid0(SALU_CYCLE_1)
	s_xor_b32 s1, exec_lo, s21
	s_cbranch_execz .LBB84_141
; %bb.140:                              ;   in Loop: Header=BB84_89 Depth=1
	v_div_scale_f64 v[26:27], null, v[22:23], v[22:23], v[24:25]
	v_div_scale_f64 v[66:67], vcc_lo, v[24:25], v[22:23], v[24:25]
	s_delay_alu instid0(VALU_DEP_2) | instskip(SKIP_2) | instid1(VALU_DEP_1)
	v_rcp_f64_e32 v[28:29], v[26:27]
	s_waitcnt_depctr 0xfff
	v_fma_f64 v[64:65], -v[26:27], v[28:29], 1.0
	v_fma_f64 v[28:29], v[28:29], v[64:65], v[28:29]
	s_delay_alu instid0(VALU_DEP_1) | instskip(NEXT) | instid1(VALU_DEP_1)
	v_fma_f64 v[64:65], -v[26:27], v[28:29], 1.0
	v_fma_f64 v[28:29], v[28:29], v[64:65], v[28:29]
	s_delay_alu instid0(VALU_DEP_1) | instskip(NEXT) | instid1(VALU_DEP_1)
	v_mul_f64 v[64:65], v[66:67], v[28:29]
	v_fma_f64 v[26:27], -v[26:27], v[64:65], v[66:67]
	s_delay_alu instid0(VALU_DEP_1) | instskip(NEXT) | instid1(VALU_DEP_1)
	v_div_fmas_f64 v[26:27], v[26:27], v[28:29], v[64:65]
	v_div_fixup_f64 v[26:27], v[26:27], v[22:23], v[24:25]
	s_delay_alu instid0(VALU_DEP_1) | instskip(NEXT) | instid1(VALU_DEP_1)
	v_fma_f64 v[28:29], v[24:25], v[26:27], v[22:23]
	v_div_scale_f64 v[64:65], null, v[28:29], v[28:29], 1.0
	v_div_scale_f64 v[70:71], vcc_lo, 1.0, v[28:29], 1.0
	s_delay_alu instid0(VALU_DEP_2) | instskip(SKIP_2) | instid1(VALU_DEP_1)
	v_rcp_f64_e32 v[66:67], v[64:65]
	s_waitcnt_depctr 0xfff
	v_fma_f64 v[68:69], -v[64:65], v[66:67], 1.0
	v_fma_f64 v[66:67], v[66:67], v[68:69], v[66:67]
	s_delay_alu instid0(VALU_DEP_1) | instskip(NEXT) | instid1(VALU_DEP_1)
	v_fma_f64 v[68:69], -v[64:65], v[66:67], 1.0
	v_fma_f64 v[66:67], v[66:67], v[68:69], v[66:67]
	s_delay_alu instid0(VALU_DEP_1) | instskip(NEXT) | instid1(VALU_DEP_1)
	v_mul_f64 v[68:69], v[70:71], v[66:67]
	v_fma_f64 v[64:65], -v[64:65], v[68:69], v[70:71]
	s_delay_alu instid0(VALU_DEP_1) | instskip(SKIP_2) | instid1(VALU_DEP_3)
	v_div_fmas_f64 v[64:65], v[64:65], v[66:67], v[68:69]
	v_fma_f64 v[66:67], s[10:11], v[26:27], s[8:9]
	v_fma_f64 v[26:27], -s[8:9], v[26:27], s[10:11]
	v_div_fixup_f64 v[64:65], v[64:65], v[28:29], 1.0
	s_delay_alu instid0(VALU_DEP_1) | instskip(NEXT) | instid1(VALU_DEP_3)
	v_mul_f64 v[28:29], v[66:67], v[64:65]
	v_mul_f64 v[26:27], v[26:27], v[64:65]
.LBB84_141:                             ;   in Loop: Header=BB84_89 Depth=1
	s_and_not1_saveexec_b32 s21, s1
	s_cbranch_execz .LBB84_143
; %bb.142:                              ;   in Loop: Header=BB84_89 Depth=1
	v_div_scale_f64 v[26:27], null, v[44:45], v[44:45], s[8:9]
	v_div_scale_f64 v[28:29], null, v[46:47], v[46:47], s[10:11]
	v_div_scale_f64 v[72:73], vcc_lo, s[8:9], v[44:45], s[8:9]
	s_delay_alu instid0(VALU_DEP_3) | instskip(NEXT) | instid1(VALU_DEP_2)
	v_rcp_f64_e32 v[64:65], v[26:27]
	v_rcp_f64_e32 v[66:67], v[28:29]
	s_waitcnt_depctr 0xfff
	v_fma_f64 v[68:69], -v[26:27], v[64:65], 1.0
	v_fma_f64 v[70:71], -v[28:29], v[66:67], 1.0
	s_delay_alu instid0(VALU_DEP_2) | instskip(NEXT) | instid1(VALU_DEP_2)
	v_fma_f64 v[64:65], v[64:65], v[68:69], v[64:65]
	v_fma_f64 v[66:67], v[66:67], v[70:71], v[66:67]
	s_delay_alu instid0(VALU_DEP_2) | instskip(NEXT) | instid1(VALU_DEP_2)
	v_fma_f64 v[68:69], -v[26:27], v[64:65], 1.0
	v_fma_f64 v[70:71], -v[28:29], v[66:67], 1.0
	s_delay_alu instid0(VALU_DEP_2) | instskip(SKIP_1) | instid1(VALU_DEP_3)
	v_fma_f64 v[64:65], v[64:65], v[68:69], v[64:65]
	v_div_scale_f64 v[68:69], s1, s[10:11], v[46:47], s[10:11]
	v_fma_f64 v[66:67], v[66:67], v[70:71], v[66:67]
	s_delay_alu instid0(VALU_DEP_3) | instskip(NEXT) | instid1(VALU_DEP_2)
	v_mul_f64 v[70:71], v[72:73], v[64:65]
	v_mul_f64 v[74:75], v[68:69], v[66:67]
	s_delay_alu instid0(VALU_DEP_2) | instskip(NEXT) | instid1(VALU_DEP_2)
	v_fma_f64 v[26:27], -v[26:27], v[70:71], v[72:73]
	v_fma_f64 v[28:29], -v[28:29], v[74:75], v[68:69]
	s_delay_alu instid0(VALU_DEP_2) | instskip(SKIP_1) | instid1(VALU_DEP_2)
	v_div_fmas_f64 v[26:27], v[26:27], v[64:65], v[70:71]
	s_mov_b32 vcc_lo, s1
	v_div_fmas_f64 v[64:65], v[28:29], v[66:67], v[74:75]
	s_delay_alu instid0(VALU_DEP_2) | instskip(NEXT) | instid1(VALU_DEP_2)
	v_div_fixup_f64 v[28:29], v[26:27], v[44:45], s[8:9]
	v_div_fixup_f64 v[26:27], v[64:65], v[46:47], s[10:11]
.LBB84_143:                             ;   in Loop: Header=BB84_89 Depth=1
	s_or_b32 exec_lo, exec_lo, s21
.LBB84_144:                             ;   in Loop: Header=BB84_89 Depth=1
	s_and_not1_saveexec_b32 s1, s3
	s_cbranch_execz .LBB84_146
; %bb.145:                              ;   in Loop: Header=BB84_89 Depth=1
	v_div_scale_f64 v[26:27], null, v[24:25], v[24:25], v[22:23]
	v_div_scale_f64 v[66:67], vcc_lo, v[22:23], v[24:25], v[22:23]
	s_delay_alu instid0(VALU_DEP_2) | instskip(SKIP_2) | instid1(VALU_DEP_1)
	v_rcp_f64_e32 v[28:29], v[26:27]
	s_waitcnt_depctr 0xfff
	v_fma_f64 v[64:65], -v[26:27], v[28:29], 1.0
	v_fma_f64 v[28:29], v[28:29], v[64:65], v[28:29]
	s_delay_alu instid0(VALU_DEP_1) | instskip(NEXT) | instid1(VALU_DEP_1)
	v_fma_f64 v[64:65], -v[26:27], v[28:29], 1.0
	v_fma_f64 v[28:29], v[28:29], v[64:65], v[28:29]
	s_delay_alu instid0(VALU_DEP_1) | instskip(NEXT) | instid1(VALU_DEP_1)
	v_mul_f64 v[64:65], v[66:67], v[28:29]
	v_fma_f64 v[26:27], -v[26:27], v[64:65], v[66:67]
	s_delay_alu instid0(VALU_DEP_1) | instskip(NEXT) | instid1(VALU_DEP_1)
	v_div_fmas_f64 v[26:27], v[26:27], v[28:29], v[64:65]
	v_div_fixup_f64 v[26:27], v[26:27], v[24:25], v[22:23]
	s_delay_alu instid0(VALU_DEP_1) | instskip(NEXT) | instid1(VALU_DEP_1)
	v_fma_f64 v[28:29], v[22:23], v[26:27], v[24:25]
	v_div_scale_f64 v[64:65], null, v[28:29], v[28:29], 1.0
	v_div_scale_f64 v[70:71], vcc_lo, 1.0, v[28:29], 1.0
	s_delay_alu instid0(VALU_DEP_2) | instskip(SKIP_2) | instid1(VALU_DEP_1)
	v_rcp_f64_e32 v[66:67], v[64:65]
	s_waitcnt_depctr 0xfff
	v_fma_f64 v[68:69], -v[64:65], v[66:67], 1.0
	v_fma_f64 v[66:67], v[66:67], v[68:69], v[66:67]
	s_delay_alu instid0(VALU_DEP_1) | instskip(NEXT) | instid1(VALU_DEP_1)
	v_fma_f64 v[68:69], -v[64:65], v[66:67], 1.0
	v_fma_f64 v[66:67], v[66:67], v[68:69], v[66:67]
	s_delay_alu instid0(VALU_DEP_1) | instskip(NEXT) | instid1(VALU_DEP_1)
	v_mul_f64 v[68:69], v[70:71], v[66:67]
	v_fma_f64 v[64:65], -v[64:65], v[68:69], v[70:71]
	s_delay_alu instid0(VALU_DEP_1) | instskip(SKIP_2) | instid1(VALU_DEP_3)
	v_div_fmas_f64 v[64:65], v[64:65], v[66:67], v[68:69]
	v_fma_f64 v[66:67], s[8:9], v[26:27], s[10:11]
	v_fma_f64 v[26:27], s[10:11], v[26:27], -s[8:9]
	v_div_fixup_f64 v[64:65], v[64:65], v[28:29], 1.0
	s_delay_alu instid0(VALU_DEP_1) | instskip(NEXT) | instid1(VALU_DEP_3)
	v_mul_f64 v[28:29], v[66:67], v[64:65]
	v_mul_f64 v[26:27], v[26:27], v[64:65]
.LBB84_146:                             ;   in Loop: Header=BB84_89 Depth=1
	s_or_b32 exec_lo, exec_lo, s1
	s_delay_alu instid0(VALU_DEP_1) | instskip(SKIP_1) | instid1(VALU_DEP_2)
	v_mul_f64 v[64:65], s[6:7], v[26:27]
	v_mul_f64 v[66:67], s[4:5], v[26:27]
	v_fma_f64 v[26:27], s[4:5], v[28:29], -v[64:65]
	s_delay_alu instid0(VALU_DEP_2)
	v_fma_f64 v[28:29], s[6:7], v[28:29], v[66:67]
	s_branch .LBB84_157
.LBB84_147:                             ;   in Loop: Header=BB84_89 Depth=1
                                        ; implicit-def: $vgpr28_vgpr29
                                        ; implicit-def: $vgpr26_vgpr27
	s_cbranch_execz .LBB84_157
; %bb.148:                              ;   in Loop: Header=BB84_89 Depth=1
                                        ; implicit-def: $vgpr28_vgpr29
                                        ; implicit-def: $vgpr26_vgpr27
	s_delay_alu instid0(VALU_DEP_1) | instskip(NEXT) | instid1(SALU_CYCLE_1)
	s_and_saveexec_b32 s1, s0
	s_xor_b32 s1, exec_lo, s1
	s_cbranch_execz .LBB84_154
; %bb.149:                              ;   in Loop: Header=BB84_89 Depth=1
	v_cmp_neq_f64_e32 vcc_lo, 0, v[22:23]
	v_cmp_neq_f64_e64 s0, 0, v[24:25]
                                        ; implicit-def: $vgpr28_vgpr29
                                        ; implicit-def: $vgpr26_vgpr27
	s_delay_alu instid0(VALU_DEP_1) | instskip(NEXT) | instid1(SALU_CYCLE_1)
	s_or_b32 s0, s0, vcc_lo
	s_and_saveexec_b32 s3, s0
	s_delay_alu instid0(SALU_CYCLE_1)
	s_xor_b32 s0, exec_lo, s3
	s_cbranch_execz .LBB84_151
; %bb.150:                              ;   in Loop: Header=BB84_89 Depth=1
	v_div_scale_f64 v[26:27], null, v[22:23], v[22:23], v[24:25]
	v_div_scale_f64 v[46:47], vcc_lo, v[24:25], v[22:23], v[24:25]
	s_delay_alu instid0(VALU_DEP_2) | instskip(SKIP_2) | instid1(VALU_DEP_1)
	v_rcp_f64_e32 v[28:29], v[26:27]
	s_waitcnt_depctr 0xfff
	v_fma_f64 v[44:45], -v[26:27], v[28:29], 1.0
	v_fma_f64 v[28:29], v[28:29], v[44:45], v[28:29]
	s_delay_alu instid0(VALU_DEP_1) | instskip(NEXT) | instid1(VALU_DEP_1)
	v_fma_f64 v[44:45], -v[26:27], v[28:29], 1.0
	v_fma_f64 v[28:29], v[28:29], v[44:45], v[28:29]
	s_delay_alu instid0(VALU_DEP_1) | instskip(NEXT) | instid1(VALU_DEP_1)
	v_mul_f64 v[44:45], v[46:47], v[28:29]
	v_fma_f64 v[26:27], -v[26:27], v[44:45], v[46:47]
	s_delay_alu instid0(VALU_DEP_1) | instskip(NEXT) | instid1(VALU_DEP_1)
	v_div_fmas_f64 v[26:27], v[26:27], v[28:29], v[44:45]
	v_div_fixup_f64 v[26:27], v[26:27], v[22:23], v[24:25]
	s_delay_alu instid0(VALU_DEP_1) | instskip(NEXT) | instid1(VALU_DEP_1)
	v_fma_f64 v[22:23], v[24:25], v[26:27], v[22:23]
	v_div_scale_f64 v[24:25], null, v[22:23], v[22:23], 1.0
	v_div_scale_f64 v[46:47], vcc_lo, 1.0, v[22:23], 1.0
	s_delay_alu instid0(VALU_DEP_2) | instskip(SKIP_2) | instid1(VALU_DEP_1)
	v_rcp_f64_e32 v[28:29], v[24:25]
	s_waitcnt_depctr 0xfff
	v_fma_f64 v[44:45], -v[24:25], v[28:29], 1.0
	v_fma_f64 v[28:29], v[28:29], v[44:45], v[28:29]
	s_delay_alu instid0(VALU_DEP_1) | instskip(NEXT) | instid1(VALU_DEP_1)
	v_fma_f64 v[44:45], -v[24:25], v[28:29], 1.0
	v_fma_f64 v[28:29], v[28:29], v[44:45], v[28:29]
	s_delay_alu instid0(VALU_DEP_1) | instskip(NEXT) | instid1(VALU_DEP_1)
	v_mul_f64 v[44:45], v[46:47], v[28:29]
	v_fma_f64 v[24:25], -v[24:25], v[44:45], v[46:47]
                                        ; implicit-def: $vgpr46_vgpr47
	s_delay_alu instid0(VALU_DEP_1) | instskip(SKIP_1) | instid1(VALU_DEP_2)
	v_div_fmas_f64 v[24:25], v[24:25], v[28:29], v[44:45]
	v_fma_f64 v[28:29], s[10:11], v[26:27], s[8:9]
                                        ; implicit-def: $vgpr44_vgpr45
	v_div_fixup_f64 v[22:23], v[24:25], v[22:23], 1.0
	v_fma_f64 v[24:25], -s[8:9], v[26:27], s[10:11]
	s_delay_alu instid0(VALU_DEP_2) | instskip(NEXT) | instid1(VALU_DEP_2)
	v_mul_f64 v[26:27], v[28:29], v[22:23]
	v_mul_f64 v[28:29], v[24:25], v[22:23]
.LBB84_151:                             ;   in Loop: Header=BB84_89 Depth=1
	s_and_not1_saveexec_b32 s3, s0
	s_cbranch_execz .LBB84_153
; %bb.152:                              ;   in Loop: Header=BB84_89 Depth=1
	v_div_scale_f64 v[22:23], null, v[44:45], v[44:45], s[8:9]
	v_div_scale_f64 v[24:25], null, v[46:47], v[46:47], s[10:11]
	v_div_scale_f64 v[68:69], vcc_lo, s[8:9], v[44:45], s[8:9]
	s_delay_alu instid0(VALU_DEP_3) | instskip(NEXT) | instid1(VALU_DEP_2)
	v_rcp_f64_e32 v[26:27], v[22:23]
	v_rcp_f64_e32 v[28:29], v[24:25]
	s_waitcnt_depctr 0xfff
	v_fma_f64 v[64:65], -v[22:23], v[26:27], 1.0
	v_fma_f64 v[66:67], -v[24:25], v[28:29], 1.0
	s_delay_alu instid0(VALU_DEP_2) | instskip(NEXT) | instid1(VALU_DEP_2)
	v_fma_f64 v[26:27], v[26:27], v[64:65], v[26:27]
	v_fma_f64 v[28:29], v[28:29], v[66:67], v[28:29]
	s_delay_alu instid0(VALU_DEP_2) | instskip(NEXT) | instid1(VALU_DEP_2)
	v_fma_f64 v[64:65], -v[22:23], v[26:27], 1.0
	v_fma_f64 v[66:67], -v[24:25], v[28:29], 1.0
	s_delay_alu instid0(VALU_DEP_2) | instskip(SKIP_1) | instid1(VALU_DEP_3)
	v_fma_f64 v[26:27], v[26:27], v[64:65], v[26:27]
	v_div_scale_f64 v[64:65], s0, s[10:11], v[46:47], s[10:11]
	v_fma_f64 v[28:29], v[28:29], v[66:67], v[28:29]
	s_delay_alu instid0(VALU_DEP_3) | instskip(NEXT) | instid1(VALU_DEP_2)
	v_mul_f64 v[66:67], v[68:69], v[26:27]
	v_mul_f64 v[70:71], v[64:65], v[28:29]
	s_delay_alu instid0(VALU_DEP_2) | instskip(NEXT) | instid1(VALU_DEP_2)
	v_fma_f64 v[22:23], -v[22:23], v[66:67], v[68:69]
	v_fma_f64 v[24:25], -v[24:25], v[70:71], v[64:65]
	s_delay_alu instid0(VALU_DEP_2) | instskip(SKIP_1) | instid1(VALU_DEP_2)
	v_div_fmas_f64 v[22:23], v[22:23], v[26:27], v[66:67]
	s_mov_b32 vcc_lo, s0
	v_div_fmas_f64 v[24:25], v[24:25], v[28:29], v[70:71]
	s_delay_alu instid0(VALU_DEP_2) | instskip(NEXT) | instid1(VALU_DEP_2)
	v_div_fixup_f64 v[26:27], v[22:23], v[44:45], s[8:9]
	v_div_fixup_f64 v[28:29], v[24:25], v[46:47], s[10:11]
.LBB84_153:                             ;   in Loop: Header=BB84_89 Depth=1
	s_or_b32 exec_lo, exec_lo, s3
                                        ; implicit-def: $vgpr24_vgpr25
.LBB84_154:                             ;   in Loop: Header=BB84_89 Depth=1
	s_and_not1_saveexec_b32 s0, s1
	s_cbranch_execz .LBB84_156
; %bb.155:                              ;   in Loop: Header=BB84_89 Depth=1
	v_div_scale_f64 v[26:27], null, v[24:25], v[24:25], v[22:23]
	v_div_scale_f64 v[46:47], vcc_lo, v[22:23], v[24:25], v[22:23]
	s_delay_alu instid0(VALU_DEP_2) | instskip(SKIP_2) | instid1(VALU_DEP_1)
	v_rcp_f64_e32 v[28:29], v[26:27]
	s_waitcnt_depctr 0xfff
	v_fma_f64 v[44:45], -v[26:27], v[28:29], 1.0
	v_fma_f64 v[28:29], v[28:29], v[44:45], v[28:29]
	s_delay_alu instid0(VALU_DEP_1) | instskip(NEXT) | instid1(VALU_DEP_1)
	v_fma_f64 v[44:45], -v[26:27], v[28:29], 1.0
	v_fma_f64 v[28:29], v[28:29], v[44:45], v[28:29]
	s_delay_alu instid0(VALU_DEP_1) | instskip(NEXT) | instid1(VALU_DEP_1)
	v_mul_f64 v[44:45], v[46:47], v[28:29]
	v_fma_f64 v[26:27], -v[26:27], v[44:45], v[46:47]
	s_delay_alu instid0(VALU_DEP_1) | instskip(NEXT) | instid1(VALU_DEP_1)
	v_div_fmas_f64 v[26:27], v[26:27], v[28:29], v[44:45]
	v_div_fixup_f64 v[26:27], v[26:27], v[24:25], v[22:23]
	s_delay_alu instid0(VALU_DEP_1) | instskip(NEXT) | instid1(VALU_DEP_1)
	v_fma_f64 v[22:23], v[22:23], v[26:27], v[24:25]
	v_div_scale_f64 v[24:25], null, v[22:23], v[22:23], 1.0
	v_div_scale_f64 v[46:47], vcc_lo, 1.0, v[22:23], 1.0
	s_delay_alu instid0(VALU_DEP_2) | instskip(SKIP_2) | instid1(VALU_DEP_1)
	v_rcp_f64_e32 v[28:29], v[24:25]
	s_waitcnt_depctr 0xfff
	v_fma_f64 v[44:45], -v[24:25], v[28:29], 1.0
	v_fma_f64 v[28:29], v[28:29], v[44:45], v[28:29]
	s_delay_alu instid0(VALU_DEP_1) | instskip(NEXT) | instid1(VALU_DEP_1)
	v_fma_f64 v[44:45], -v[24:25], v[28:29], 1.0
	v_fma_f64 v[28:29], v[28:29], v[44:45], v[28:29]
	s_delay_alu instid0(VALU_DEP_1) | instskip(NEXT) | instid1(VALU_DEP_1)
	v_mul_f64 v[44:45], v[46:47], v[28:29]
	v_fma_f64 v[24:25], -v[24:25], v[44:45], v[46:47]
	s_delay_alu instid0(VALU_DEP_1) | instskip(SKIP_1) | instid1(VALU_DEP_2)
	v_div_fmas_f64 v[24:25], v[24:25], v[28:29], v[44:45]
	v_fma_f64 v[28:29], s[8:9], v[26:27], s[10:11]
	v_div_fixup_f64 v[22:23], v[24:25], v[22:23], 1.0
	v_fma_f64 v[24:25], s[10:11], v[26:27], -s[8:9]
	s_delay_alu instid0(VALU_DEP_2) | instskip(NEXT) | instid1(VALU_DEP_2)
	v_mul_f64 v[26:27], v[28:29], v[22:23]
	v_mul_f64 v[28:29], v[24:25], v[22:23]
.LBB84_156:                             ;   in Loop: Header=BB84_89 Depth=1
	s_or_b32 exec_lo, exec_lo, s0
.LBB84_157:                             ;   in Loop: Header=BB84_89 Depth=1
	v_cmp_gt_f64_e32 vcc_lo, 0, v[18:19]
	v_cmp_gt_f64_e64 s0, 0, v[20:21]
	v_xor_b32_e32 v22, 0x80000000, v19
	v_xor_b32_e32 v24, 0x80000000, v21
	s_delay_alu instid0(VALU_DEP_2) | instskip(NEXT) | instid1(VALU_DEP_2)
	v_cndmask_b32_e32 v23, v19, v22, vcc_lo
	v_cndmask_b32_e64 v25, v21, v24, s0
	v_cndmask_b32_e32 v22, v18, v18, vcc_lo
	v_cndmask_b32_e64 v24, v20, v20, s0
	s_and_not1_b32 vcc_lo, exec_lo, s24
	s_delay_alu instid0(VALU_DEP_1)
	v_cmp_ge_f64_e64 s0, v[22:23], v[24:25]
	s_cbranch_vccnz .LBB84_167
; %bb.158:                              ;   in Loop: Header=BB84_89 Depth=1
                                        ; implicit-def: $vgpr44_vgpr45
                                        ; implicit-def: $vgpr46_vgpr47
	s_delay_alu instid0(VALU_DEP_1) | instskip(NEXT) | instid1(SALU_CYCLE_1)
	s_and_saveexec_b32 s1, s0
	s_xor_b32 s3, exec_lo, s1
	s_cbranch_execz .LBB84_164
; %bb.159:                              ;   in Loop: Header=BB84_89 Depth=1
	v_cmp_neq_f64_e32 vcc_lo, 0, v[18:19]
	v_cmp_neq_f64_e64 s1, 0, v[20:21]
                                        ; implicit-def: $vgpr44_vgpr45
                                        ; implicit-def: $vgpr46_vgpr47
	s_delay_alu instid0(VALU_DEP_1) | instskip(NEXT) | instid1(SALU_CYCLE_1)
	s_or_b32 s1, s1, vcc_lo
	s_and_saveexec_b32 s21, s1
	s_delay_alu instid0(SALU_CYCLE_1)
	s_xor_b32 s1, exec_lo, s21
	s_cbranch_execz .LBB84_161
; %bb.160:                              ;   in Loop: Header=BB84_89 Depth=1
	v_div_scale_f64 v[44:45], null, v[18:19], v[18:19], v[20:21]
	v_div_scale_f64 v[66:67], vcc_lo, v[20:21], v[18:19], v[20:21]
	s_delay_alu instid0(VALU_DEP_2) | instskip(SKIP_2) | instid1(VALU_DEP_1)
	v_rcp_f64_e32 v[46:47], v[44:45]
	s_waitcnt_depctr 0xfff
	v_fma_f64 v[64:65], -v[44:45], v[46:47], 1.0
	v_fma_f64 v[46:47], v[46:47], v[64:65], v[46:47]
	s_delay_alu instid0(VALU_DEP_1) | instskip(NEXT) | instid1(VALU_DEP_1)
	v_fma_f64 v[64:65], -v[44:45], v[46:47], 1.0
	v_fma_f64 v[46:47], v[46:47], v[64:65], v[46:47]
	s_delay_alu instid0(VALU_DEP_1) | instskip(NEXT) | instid1(VALU_DEP_1)
	v_mul_f64 v[64:65], v[66:67], v[46:47]
	v_fma_f64 v[44:45], -v[44:45], v[64:65], v[66:67]
	s_delay_alu instid0(VALU_DEP_1) | instskip(NEXT) | instid1(VALU_DEP_1)
	v_div_fmas_f64 v[44:45], v[44:45], v[46:47], v[64:65]
	v_div_fixup_f64 v[44:45], v[44:45], v[18:19], v[20:21]
	s_delay_alu instid0(VALU_DEP_1) | instskip(NEXT) | instid1(VALU_DEP_1)
	v_fma_f64 v[46:47], v[20:21], v[44:45], v[18:19]
	v_div_scale_f64 v[64:65], null, v[46:47], v[46:47], 1.0
	v_div_scale_f64 v[70:71], vcc_lo, 1.0, v[46:47], 1.0
	s_delay_alu instid0(VALU_DEP_2) | instskip(SKIP_2) | instid1(VALU_DEP_1)
	v_rcp_f64_e32 v[66:67], v[64:65]
	s_waitcnt_depctr 0xfff
	v_fma_f64 v[68:69], -v[64:65], v[66:67], 1.0
	v_fma_f64 v[66:67], v[66:67], v[68:69], v[66:67]
	s_delay_alu instid0(VALU_DEP_1) | instskip(NEXT) | instid1(VALU_DEP_1)
	v_fma_f64 v[68:69], -v[64:65], v[66:67], 1.0
	v_fma_f64 v[66:67], v[66:67], v[68:69], v[66:67]
	s_delay_alu instid0(VALU_DEP_1) | instskip(NEXT) | instid1(VALU_DEP_1)
	v_mul_f64 v[68:69], v[70:71], v[66:67]
	v_fma_f64 v[64:65], -v[64:65], v[68:69], v[70:71]
	s_delay_alu instid0(VALU_DEP_1) | instskip(SKIP_2) | instid1(VALU_DEP_3)
	v_div_fmas_f64 v[64:65], v[64:65], v[66:67], v[68:69]
	v_fma_f64 v[66:67], s[10:11], v[44:45], s[8:9]
	v_fma_f64 v[44:45], -s[8:9], v[44:45], s[10:11]
	v_div_fixup_f64 v[64:65], v[64:65], v[46:47], 1.0
	s_delay_alu instid0(VALU_DEP_1) | instskip(NEXT) | instid1(VALU_DEP_3)
	v_mul_f64 v[46:47], v[66:67], v[64:65]
	v_mul_f64 v[44:45], v[44:45], v[64:65]
.LBB84_161:                             ;   in Loop: Header=BB84_89 Depth=1
	s_and_not1_saveexec_b32 s21, s1
	s_cbranch_execz .LBB84_163
; %bb.162:                              ;   in Loop: Header=BB84_89 Depth=1
	v_div_scale_f64 v[44:45], null, v[22:23], v[22:23], s[8:9]
	v_div_scale_f64 v[46:47], null, v[24:25], v[24:25], s[10:11]
	v_div_scale_f64 v[72:73], vcc_lo, s[8:9], v[22:23], s[8:9]
	s_delay_alu instid0(VALU_DEP_3) | instskip(NEXT) | instid1(VALU_DEP_2)
	v_rcp_f64_e32 v[64:65], v[44:45]
	v_rcp_f64_e32 v[66:67], v[46:47]
	s_waitcnt_depctr 0xfff
	v_fma_f64 v[68:69], -v[44:45], v[64:65], 1.0
	v_fma_f64 v[70:71], -v[46:47], v[66:67], 1.0
	s_delay_alu instid0(VALU_DEP_2) | instskip(NEXT) | instid1(VALU_DEP_2)
	v_fma_f64 v[64:65], v[64:65], v[68:69], v[64:65]
	v_fma_f64 v[66:67], v[66:67], v[70:71], v[66:67]
	s_delay_alu instid0(VALU_DEP_2) | instskip(NEXT) | instid1(VALU_DEP_2)
	v_fma_f64 v[68:69], -v[44:45], v[64:65], 1.0
	v_fma_f64 v[70:71], -v[46:47], v[66:67], 1.0
	s_delay_alu instid0(VALU_DEP_2) | instskip(SKIP_1) | instid1(VALU_DEP_3)
	v_fma_f64 v[64:65], v[64:65], v[68:69], v[64:65]
	v_div_scale_f64 v[68:69], s1, s[10:11], v[24:25], s[10:11]
	v_fma_f64 v[66:67], v[66:67], v[70:71], v[66:67]
	s_delay_alu instid0(VALU_DEP_3) | instskip(NEXT) | instid1(VALU_DEP_2)
	v_mul_f64 v[70:71], v[72:73], v[64:65]
	v_mul_f64 v[74:75], v[68:69], v[66:67]
	s_delay_alu instid0(VALU_DEP_2) | instskip(NEXT) | instid1(VALU_DEP_2)
	v_fma_f64 v[44:45], -v[44:45], v[70:71], v[72:73]
	v_fma_f64 v[46:47], -v[46:47], v[74:75], v[68:69]
	s_delay_alu instid0(VALU_DEP_2) | instskip(SKIP_1) | instid1(VALU_DEP_2)
	v_div_fmas_f64 v[44:45], v[44:45], v[64:65], v[70:71]
	s_mov_b32 vcc_lo, s1
	v_div_fmas_f64 v[64:65], v[46:47], v[66:67], v[74:75]
	s_delay_alu instid0(VALU_DEP_2) | instskip(NEXT) | instid1(VALU_DEP_2)
	v_div_fixup_f64 v[46:47], v[44:45], v[22:23], s[8:9]
	v_div_fixup_f64 v[44:45], v[64:65], v[24:25], s[10:11]
.LBB84_163:                             ;   in Loop: Header=BB84_89 Depth=1
	s_or_b32 exec_lo, exec_lo, s21
.LBB84_164:                             ;   in Loop: Header=BB84_89 Depth=1
	s_and_not1_saveexec_b32 s1, s3
	s_cbranch_execz .LBB84_166
; %bb.165:                              ;   in Loop: Header=BB84_89 Depth=1
	v_div_scale_f64 v[44:45], null, v[20:21], v[20:21], v[18:19]
	v_div_scale_f64 v[66:67], vcc_lo, v[18:19], v[20:21], v[18:19]
	s_delay_alu instid0(VALU_DEP_2) | instskip(SKIP_2) | instid1(VALU_DEP_1)
	v_rcp_f64_e32 v[46:47], v[44:45]
	s_waitcnt_depctr 0xfff
	v_fma_f64 v[64:65], -v[44:45], v[46:47], 1.0
	v_fma_f64 v[46:47], v[46:47], v[64:65], v[46:47]
	s_delay_alu instid0(VALU_DEP_1) | instskip(NEXT) | instid1(VALU_DEP_1)
	v_fma_f64 v[64:65], -v[44:45], v[46:47], 1.0
	v_fma_f64 v[46:47], v[46:47], v[64:65], v[46:47]
	s_delay_alu instid0(VALU_DEP_1) | instskip(NEXT) | instid1(VALU_DEP_1)
	v_mul_f64 v[64:65], v[66:67], v[46:47]
	v_fma_f64 v[44:45], -v[44:45], v[64:65], v[66:67]
	s_delay_alu instid0(VALU_DEP_1) | instskip(NEXT) | instid1(VALU_DEP_1)
	v_div_fmas_f64 v[44:45], v[44:45], v[46:47], v[64:65]
	v_div_fixup_f64 v[44:45], v[44:45], v[20:21], v[18:19]
	s_delay_alu instid0(VALU_DEP_1) | instskip(NEXT) | instid1(VALU_DEP_1)
	v_fma_f64 v[46:47], v[18:19], v[44:45], v[20:21]
	v_div_scale_f64 v[64:65], null, v[46:47], v[46:47], 1.0
	v_div_scale_f64 v[70:71], vcc_lo, 1.0, v[46:47], 1.0
	s_delay_alu instid0(VALU_DEP_2) | instskip(SKIP_2) | instid1(VALU_DEP_1)
	v_rcp_f64_e32 v[66:67], v[64:65]
	s_waitcnt_depctr 0xfff
	v_fma_f64 v[68:69], -v[64:65], v[66:67], 1.0
	v_fma_f64 v[66:67], v[66:67], v[68:69], v[66:67]
	s_delay_alu instid0(VALU_DEP_1) | instskip(NEXT) | instid1(VALU_DEP_1)
	v_fma_f64 v[68:69], -v[64:65], v[66:67], 1.0
	v_fma_f64 v[66:67], v[66:67], v[68:69], v[66:67]
	s_delay_alu instid0(VALU_DEP_1) | instskip(NEXT) | instid1(VALU_DEP_1)
	v_mul_f64 v[68:69], v[70:71], v[66:67]
	v_fma_f64 v[64:65], -v[64:65], v[68:69], v[70:71]
	s_delay_alu instid0(VALU_DEP_1) | instskip(SKIP_2) | instid1(VALU_DEP_3)
	v_div_fmas_f64 v[64:65], v[64:65], v[66:67], v[68:69]
	v_fma_f64 v[66:67], s[8:9], v[44:45], s[10:11]
	v_fma_f64 v[44:45], s[10:11], v[44:45], -s[8:9]
	v_div_fixup_f64 v[64:65], v[64:65], v[46:47], 1.0
	s_delay_alu instid0(VALU_DEP_1) | instskip(NEXT) | instid1(VALU_DEP_3)
	v_mul_f64 v[46:47], v[66:67], v[64:65]
	v_mul_f64 v[44:45], v[44:45], v[64:65]
.LBB84_166:                             ;   in Loop: Header=BB84_89 Depth=1
	s_or_b32 exec_lo, exec_lo, s1
	s_delay_alu instid0(VALU_DEP_1) | instskip(SKIP_1) | instid1(VALU_DEP_2)
	v_mul_f64 v[64:65], s[6:7], v[44:45]
	v_mul_f64 v[66:67], s[4:5], v[44:45]
	v_fma_f64 v[44:45], s[4:5], v[46:47], -v[64:65]
	s_delay_alu instid0(VALU_DEP_2)
	v_fma_f64 v[46:47], s[6:7], v[46:47], v[66:67]
	s_branch .LBB84_177
.LBB84_167:                             ;   in Loop: Header=BB84_89 Depth=1
                                        ; implicit-def: $vgpr46_vgpr47
                                        ; implicit-def: $vgpr44_vgpr45
	s_cbranch_execz .LBB84_177
; %bb.168:                              ;   in Loop: Header=BB84_89 Depth=1
                                        ; implicit-def: $vgpr46_vgpr47
                                        ; implicit-def: $vgpr44_vgpr45
	s_delay_alu instid0(VALU_DEP_1) | instskip(NEXT) | instid1(SALU_CYCLE_1)
	s_and_saveexec_b32 s1, s0
	s_xor_b32 s1, exec_lo, s1
	s_cbranch_execz .LBB84_174
; %bb.169:                              ;   in Loop: Header=BB84_89 Depth=1
	v_cmp_neq_f64_e32 vcc_lo, 0, v[18:19]
	v_cmp_neq_f64_e64 s0, 0, v[20:21]
                                        ; implicit-def: $vgpr46_vgpr47
                                        ; implicit-def: $vgpr44_vgpr45
	s_delay_alu instid0(VALU_DEP_1) | instskip(NEXT) | instid1(SALU_CYCLE_1)
	s_or_b32 s0, s0, vcc_lo
	s_and_saveexec_b32 s3, s0
	s_delay_alu instid0(SALU_CYCLE_1)
	s_xor_b32 s0, exec_lo, s3
	s_cbranch_execz .LBB84_171
; %bb.170:                              ;   in Loop: Header=BB84_89 Depth=1
	v_div_scale_f64 v[22:23], null, v[18:19], v[18:19], v[20:21]
	v_div_scale_f64 v[46:47], vcc_lo, v[20:21], v[18:19], v[20:21]
	s_delay_alu instid0(VALU_DEP_2) | instskip(SKIP_2) | instid1(VALU_DEP_1)
	v_rcp_f64_e32 v[24:25], v[22:23]
	s_waitcnt_depctr 0xfff
	v_fma_f64 v[44:45], -v[22:23], v[24:25], 1.0
	v_fma_f64 v[24:25], v[24:25], v[44:45], v[24:25]
	s_delay_alu instid0(VALU_DEP_1) | instskip(NEXT) | instid1(VALU_DEP_1)
	v_fma_f64 v[44:45], -v[22:23], v[24:25], 1.0
	v_fma_f64 v[24:25], v[24:25], v[44:45], v[24:25]
	s_delay_alu instid0(VALU_DEP_1) | instskip(NEXT) | instid1(VALU_DEP_1)
	v_mul_f64 v[44:45], v[46:47], v[24:25]
	v_fma_f64 v[22:23], -v[22:23], v[44:45], v[46:47]
	s_delay_alu instid0(VALU_DEP_1) | instskip(NEXT) | instid1(VALU_DEP_1)
	v_div_fmas_f64 v[22:23], v[22:23], v[24:25], v[44:45]
	v_div_fixup_f64 v[22:23], v[22:23], v[18:19], v[20:21]
	s_delay_alu instid0(VALU_DEP_1) | instskip(NEXT) | instid1(VALU_DEP_1)
	v_fma_f64 v[18:19], v[20:21], v[22:23], v[18:19]
	v_div_scale_f64 v[20:21], null, v[18:19], v[18:19], 1.0
	v_div_scale_f64 v[46:47], vcc_lo, 1.0, v[18:19], 1.0
	s_delay_alu instid0(VALU_DEP_2) | instskip(SKIP_2) | instid1(VALU_DEP_1)
	v_rcp_f64_e32 v[24:25], v[20:21]
	s_waitcnt_depctr 0xfff
	v_fma_f64 v[44:45], -v[20:21], v[24:25], 1.0
	v_fma_f64 v[24:25], v[24:25], v[44:45], v[24:25]
	s_delay_alu instid0(VALU_DEP_1) | instskip(NEXT) | instid1(VALU_DEP_1)
	v_fma_f64 v[44:45], -v[20:21], v[24:25], 1.0
	v_fma_f64 v[24:25], v[24:25], v[44:45], v[24:25]
	s_delay_alu instid0(VALU_DEP_1) | instskip(NEXT) | instid1(VALU_DEP_1)
	v_mul_f64 v[44:45], v[46:47], v[24:25]
	v_fma_f64 v[20:21], -v[20:21], v[44:45], v[46:47]
	s_delay_alu instid0(VALU_DEP_1) | instskip(SKIP_1) | instid1(VALU_DEP_2)
	v_div_fmas_f64 v[20:21], v[20:21], v[24:25], v[44:45]
	v_fma_f64 v[24:25], s[10:11], v[22:23], s[8:9]
	v_div_fixup_f64 v[18:19], v[20:21], v[18:19], 1.0
	v_fma_f64 v[20:21], -s[8:9], v[22:23], s[10:11]
                                        ; implicit-def: $vgpr22_vgpr23
	s_delay_alu instid0(VALU_DEP_2) | instskip(NEXT) | instid1(VALU_DEP_2)
	v_mul_f64 v[44:45], v[24:25], v[18:19]
	v_mul_f64 v[46:47], v[20:21], v[18:19]
                                        ; implicit-def: $vgpr24_vgpr25
.LBB84_171:                             ;   in Loop: Header=BB84_89 Depth=1
	s_and_not1_saveexec_b32 s3, s0
	s_cbranch_execz .LBB84_173
; %bb.172:                              ;   in Loop: Header=BB84_89 Depth=1
	v_div_scale_f64 v[18:19], null, v[22:23], v[22:23], s[8:9]
	v_div_scale_f64 v[20:21], null, v[24:25], v[24:25], s[10:11]
	v_div_scale_f64 v[68:69], vcc_lo, s[8:9], v[22:23], s[8:9]
	s_delay_alu instid0(VALU_DEP_3) | instskip(NEXT) | instid1(VALU_DEP_2)
	v_rcp_f64_e32 v[44:45], v[18:19]
	v_rcp_f64_e32 v[46:47], v[20:21]
	s_waitcnt_depctr 0xfff
	v_fma_f64 v[64:65], -v[18:19], v[44:45], 1.0
	v_fma_f64 v[66:67], -v[20:21], v[46:47], 1.0
	s_delay_alu instid0(VALU_DEP_2) | instskip(NEXT) | instid1(VALU_DEP_2)
	v_fma_f64 v[44:45], v[44:45], v[64:65], v[44:45]
	v_fma_f64 v[46:47], v[46:47], v[66:67], v[46:47]
	s_delay_alu instid0(VALU_DEP_2) | instskip(NEXT) | instid1(VALU_DEP_2)
	v_fma_f64 v[64:65], -v[18:19], v[44:45], 1.0
	v_fma_f64 v[66:67], -v[20:21], v[46:47], 1.0
	s_delay_alu instid0(VALU_DEP_2) | instskip(SKIP_1) | instid1(VALU_DEP_3)
	v_fma_f64 v[44:45], v[44:45], v[64:65], v[44:45]
	v_div_scale_f64 v[64:65], s0, s[10:11], v[24:25], s[10:11]
	v_fma_f64 v[46:47], v[46:47], v[66:67], v[46:47]
	s_delay_alu instid0(VALU_DEP_3) | instskip(NEXT) | instid1(VALU_DEP_2)
	v_mul_f64 v[66:67], v[68:69], v[44:45]
	v_mul_f64 v[70:71], v[64:65], v[46:47]
	s_delay_alu instid0(VALU_DEP_2) | instskip(NEXT) | instid1(VALU_DEP_2)
	v_fma_f64 v[18:19], -v[18:19], v[66:67], v[68:69]
	v_fma_f64 v[20:21], -v[20:21], v[70:71], v[64:65]
	s_delay_alu instid0(VALU_DEP_2) | instskip(SKIP_1) | instid1(VALU_DEP_2)
	v_div_fmas_f64 v[18:19], v[18:19], v[44:45], v[66:67]
	s_mov_b32 vcc_lo, s0
	v_div_fmas_f64 v[20:21], v[20:21], v[46:47], v[70:71]
	s_delay_alu instid0(VALU_DEP_2) | instskip(NEXT) | instid1(VALU_DEP_2)
	v_div_fixup_f64 v[44:45], v[18:19], v[22:23], s[8:9]
	v_div_fixup_f64 v[46:47], v[20:21], v[24:25], s[10:11]
.LBB84_173:                             ;   in Loop: Header=BB84_89 Depth=1
	s_or_b32 exec_lo, exec_lo, s3
                                        ; implicit-def: $vgpr20_vgpr21
.LBB84_174:                             ;   in Loop: Header=BB84_89 Depth=1
	s_and_not1_saveexec_b32 s0, s1
	s_cbranch_execz .LBB84_176
; %bb.175:                              ;   in Loop: Header=BB84_89 Depth=1
	v_div_scale_f64 v[22:23], null, v[20:21], v[20:21], v[18:19]
	v_div_scale_f64 v[46:47], vcc_lo, v[18:19], v[20:21], v[18:19]
	s_delay_alu instid0(VALU_DEP_2) | instskip(SKIP_2) | instid1(VALU_DEP_1)
	v_rcp_f64_e32 v[24:25], v[22:23]
	s_waitcnt_depctr 0xfff
	v_fma_f64 v[44:45], -v[22:23], v[24:25], 1.0
	v_fma_f64 v[24:25], v[24:25], v[44:45], v[24:25]
	s_delay_alu instid0(VALU_DEP_1) | instskip(NEXT) | instid1(VALU_DEP_1)
	v_fma_f64 v[44:45], -v[22:23], v[24:25], 1.0
	v_fma_f64 v[24:25], v[24:25], v[44:45], v[24:25]
	s_delay_alu instid0(VALU_DEP_1) | instskip(NEXT) | instid1(VALU_DEP_1)
	v_mul_f64 v[44:45], v[46:47], v[24:25]
	v_fma_f64 v[22:23], -v[22:23], v[44:45], v[46:47]
	s_delay_alu instid0(VALU_DEP_1) | instskip(NEXT) | instid1(VALU_DEP_1)
	v_div_fmas_f64 v[22:23], v[22:23], v[24:25], v[44:45]
	v_div_fixup_f64 v[22:23], v[22:23], v[20:21], v[18:19]
	s_delay_alu instid0(VALU_DEP_1) | instskip(NEXT) | instid1(VALU_DEP_1)
	v_fma_f64 v[18:19], v[18:19], v[22:23], v[20:21]
	v_div_scale_f64 v[20:21], null, v[18:19], v[18:19], 1.0
	v_div_scale_f64 v[46:47], vcc_lo, 1.0, v[18:19], 1.0
	s_delay_alu instid0(VALU_DEP_2) | instskip(SKIP_2) | instid1(VALU_DEP_1)
	v_rcp_f64_e32 v[24:25], v[20:21]
	s_waitcnt_depctr 0xfff
	v_fma_f64 v[44:45], -v[20:21], v[24:25], 1.0
	v_fma_f64 v[24:25], v[24:25], v[44:45], v[24:25]
	s_delay_alu instid0(VALU_DEP_1) | instskip(NEXT) | instid1(VALU_DEP_1)
	v_fma_f64 v[44:45], -v[20:21], v[24:25], 1.0
	v_fma_f64 v[24:25], v[24:25], v[44:45], v[24:25]
	s_delay_alu instid0(VALU_DEP_1) | instskip(NEXT) | instid1(VALU_DEP_1)
	v_mul_f64 v[44:45], v[46:47], v[24:25]
	v_fma_f64 v[20:21], -v[20:21], v[44:45], v[46:47]
	s_delay_alu instid0(VALU_DEP_1) | instskip(SKIP_1) | instid1(VALU_DEP_2)
	v_div_fmas_f64 v[20:21], v[20:21], v[24:25], v[44:45]
	v_fma_f64 v[24:25], s[8:9], v[22:23], s[10:11]
	v_div_fixup_f64 v[18:19], v[20:21], v[18:19], 1.0
	v_fma_f64 v[20:21], s[10:11], v[22:23], -s[8:9]
	s_delay_alu instid0(VALU_DEP_2) | instskip(NEXT) | instid1(VALU_DEP_2)
	v_mul_f64 v[44:45], v[24:25], v[18:19]
	v_mul_f64 v[46:47], v[20:21], v[18:19]
.LBB84_176:                             ;   in Loop: Header=BB84_89 Depth=1
	s_or_b32 exec_lo, exec_lo, s0
.LBB84_177:                             ;   in Loop: Header=BB84_89 Depth=1
	s_delay_alu instid0(SALU_CYCLE_1)
	s_mov_b32 s0, exec_lo
	v_cmpx_gt_u64_e64 s[16:17], v[0:1]
	s_xor_b32 s0, exec_lo, s0
	s_cbranch_execz .LBB84_179
; %bb.178:                              ;   in Loop: Header=BB84_89 Depth=1
	v_add_f64 v[4:5], v[4:5], v[42:43]
	v_add_f64 v[2:3], v[2:3], v[40:41]
	v_add_co_u32 v18, vcc_lo, v50, s12
	v_add_co_ci_u32_e32 v19, vcc_lo, s13, v51, vcc_lo
	global_store_b128 v[18:19], v[2:5], off offset:-8
.LBB84_179:                             ;   in Loop: Header=BB84_89 Depth=1
	s_or_b32 exec_lo, exec_lo, s0
	s_delay_alu instid0(SALU_CYCLE_1)
	s_mov_b32 s0, exec_lo
	v_cmpx_gt_u64_e64 s[16:17], v[34:35]
	s_cbranch_execnz .LBB84_182
; %bb.180:                              ;   in Loop: Header=BB84_89 Depth=1
	s_or_b32 exec_lo, exec_lo, s0
	s_delay_alu instid0(SALU_CYCLE_1)
	s_mov_b32 s0, exec_lo
	v_cmpx_gt_u64_e64 s[16:17], v[36:37]
	s_cbranch_execnz .LBB84_183
.LBB84_181:                             ;   in Loop: Header=BB84_89 Depth=1
	s_or_b32 exec_lo, exec_lo, s0
	s_delay_alu instid0(SALU_CYCLE_1)
	s_mov_b32 s0, exec_lo
	v_cmpx_gt_u64_e64 s[16:17], v[38:39]
	s_cbranch_execz .LBB84_88
	s_branch .LBB84_184
.LBB84_182:                             ;   in Loop: Header=BB84_89 Depth=1
	v_add_f64 v[4:5], v[8:9], v[32:33]
	v_add_f64 v[2:3], v[6:7], v[30:31]
	v_add_co_u32 v6, vcc_lo, v52, s12
	v_add_co_ci_u32_e32 v7, vcc_lo, s13, v53, vcc_lo
	global_store_b128 v[6:7], v[2:5], off
	s_or_b32 exec_lo, exec_lo, s0
	s_delay_alu instid0(SALU_CYCLE_1)
	s_mov_b32 s0, exec_lo
	v_cmpx_gt_u64_e64 s[16:17], v[36:37]
	s_cbranch_execz .LBB84_181
.LBB84_183:                             ;   in Loop: Header=BB84_89 Depth=1
	v_add_f64 v[4:5], v[12:13], v[28:29]
	v_add_f64 v[2:3], v[10:11], v[26:27]
	v_add_co_u32 v6, vcc_lo, v60, s12
	v_add_co_ci_u32_e32 v7, vcc_lo, s13, v61, vcc_lo
	global_store_b128 v[6:7], v[2:5], off
	s_or_b32 exec_lo, exec_lo, s0
	s_delay_alu instid0(SALU_CYCLE_1)
	s_mov_b32 s0, exec_lo
	v_cmpx_gt_u64_e64 s[16:17], v[38:39]
	s_cbranch_execz .LBB84_88
.LBB84_184:                             ;   in Loop: Header=BB84_89 Depth=1
	v_add_f64 v[4:5], v[16:17], v[46:47]
	v_add_f64 v[2:3], v[14:15], v[44:45]
	v_add_co_u32 v6, vcc_lo, v58, s12
	v_add_co_ci_u32_e32 v7, vcc_lo, s13, v59, vcc_lo
	global_store_b128 v[6:7], v[2:5], off offset:-8
	s_branch .LBB84_88
.LBB84_185:
	s_nop 0
	s_sendmsg sendmsg(MSG_DEALLOC_VGPRS)
	s_endpgm
	.section	.rodata,"a",@progbits
	.p2align	6, 0x0
	.amdhsa_kernel _ZN2at6native12_GLOBAL__N_125multi_tensor_apply_kernelINS1_18TensorListMetadataILi3EEENS1_32PointwiseOpScalar0dTensorFunctorIN3c107complexIdEELi3ELi2ELi0EEEJSt7dividesIS8_ES8_EEEvT_T0_DpT1_
		.amdhsa_group_segment_fixed_size 0
		.amdhsa_private_segment_fixed_size 0
		.amdhsa_kernarg_size 3424
		.amdhsa_user_sgpr_count 15
		.amdhsa_user_sgpr_dispatch_ptr 0
		.amdhsa_user_sgpr_queue_ptr 0
		.amdhsa_user_sgpr_kernarg_segment_ptr 1
		.amdhsa_user_sgpr_dispatch_id 0
		.amdhsa_user_sgpr_private_segment_size 0
		.amdhsa_wavefront_size32 1
		.amdhsa_uses_dynamic_stack 0
		.amdhsa_enable_private_segment 0
		.amdhsa_system_sgpr_workgroup_id_x 1
		.amdhsa_system_sgpr_workgroup_id_y 0
		.amdhsa_system_sgpr_workgroup_id_z 0
		.amdhsa_system_sgpr_workgroup_info 0
		.amdhsa_system_vgpr_workitem_id 0
		.amdhsa_next_free_vgpr 76
		.amdhsa_next_free_sgpr 31
		.amdhsa_reserve_vcc 1
		.amdhsa_float_round_mode_32 0
		.amdhsa_float_round_mode_16_64 0
		.amdhsa_float_denorm_mode_32 3
		.amdhsa_float_denorm_mode_16_64 3
		.amdhsa_dx10_clamp 1
		.amdhsa_ieee_mode 1
		.amdhsa_fp16_overflow 0
		.amdhsa_workgroup_processor_mode 1
		.amdhsa_memory_ordered 1
		.amdhsa_forward_progress 0
		.amdhsa_shared_vgpr_count 0
		.amdhsa_exception_fp_ieee_invalid_op 0
		.amdhsa_exception_fp_denorm_src 0
		.amdhsa_exception_fp_ieee_div_zero 0
		.amdhsa_exception_fp_ieee_overflow 0
		.amdhsa_exception_fp_ieee_underflow 0
		.amdhsa_exception_fp_ieee_inexact 0
		.amdhsa_exception_int_div_zero 0
	.end_amdhsa_kernel
	.section	.text._ZN2at6native12_GLOBAL__N_125multi_tensor_apply_kernelINS1_18TensorListMetadataILi3EEENS1_32PointwiseOpScalar0dTensorFunctorIN3c107complexIdEELi3ELi2ELi0EEEJSt7dividesIS8_ES8_EEEvT_T0_DpT1_,"axG",@progbits,_ZN2at6native12_GLOBAL__N_125multi_tensor_apply_kernelINS1_18TensorListMetadataILi3EEENS1_32PointwiseOpScalar0dTensorFunctorIN3c107complexIdEELi3ELi2ELi0EEEJSt7dividesIS8_ES8_EEEvT_T0_DpT1_,comdat
.Lfunc_end84:
	.size	_ZN2at6native12_GLOBAL__N_125multi_tensor_apply_kernelINS1_18TensorListMetadataILi3EEENS1_32PointwiseOpScalar0dTensorFunctorIN3c107complexIdEELi3ELi2ELi0EEEJSt7dividesIS8_ES8_EEEvT_T0_DpT1_, .Lfunc_end84-_ZN2at6native12_GLOBAL__N_125multi_tensor_apply_kernelINS1_18TensorListMetadataILi3EEENS1_32PointwiseOpScalar0dTensorFunctorIN3c107complexIdEELi3ELi2ELi0EEEJSt7dividesIS8_ES8_EEEvT_T0_DpT1_
                                        ; -- End function
	.section	.AMDGPU.csdata,"",@progbits
; Kernel info:
; codeLenInByte = 15592
; NumSgprs: 33
; NumVgprs: 76
; ScratchSize: 0
; MemoryBound: 1
; FloatMode: 240
; IeeeMode: 1
; LDSByteSize: 0 bytes/workgroup (compile time only)
; SGPRBlocks: 4
; VGPRBlocks: 9
; NumSGPRsForWavesPerEU: 33
; NumVGPRsForWavesPerEU: 76
; Occupancy: 16
; WaveLimiterHint : 0
; COMPUTE_PGM_RSRC2:SCRATCH_EN: 0
; COMPUTE_PGM_RSRC2:USER_SGPR: 15
; COMPUTE_PGM_RSRC2:TRAP_HANDLER: 0
; COMPUTE_PGM_RSRC2:TGID_X_EN: 1
; COMPUTE_PGM_RSRC2:TGID_Y_EN: 0
; COMPUTE_PGM_RSRC2:TGID_Z_EN: 0
; COMPUTE_PGM_RSRC2:TIDIG_COMP_CNT: 0
	.section	.text._ZN2at6native12_GLOBAL__N_125multi_tensor_apply_kernelINS1_18TensorListMetadataILi3EEENS1_32PointwiseOpScalar0dTensorFunctorIN3c107complexIfEELi3ELi2ELi0EEEJSt7dividesIS8_ES8_EEEvT_T0_DpT1_,"axG",@progbits,_ZN2at6native12_GLOBAL__N_125multi_tensor_apply_kernelINS1_18TensorListMetadataILi3EEENS1_32PointwiseOpScalar0dTensorFunctorIN3c107complexIfEELi3ELi2ELi0EEEJSt7dividesIS8_ES8_EEEvT_T0_DpT1_,comdat
	.globl	_ZN2at6native12_GLOBAL__N_125multi_tensor_apply_kernelINS1_18TensorListMetadataILi3EEENS1_32PointwiseOpScalar0dTensorFunctorIN3c107complexIfEELi3ELi2ELi0EEEJSt7dividesIS8_ES8_EEEvT_T0_DpT1_ ; -- Begin function _ZN2at6native12_GLOBAL__N_125multi_tensor_apply_kernelINS1_18TensorListMetadataILi3EEENS1_32PointwiseOpScalar0dTensorFunctorIN3c107complexIfEELi3ELi2ELi0EEEJSt7dividesIS8_ES8_EEEvT_T0_DpT1_
	.p2align	8
	.type	_ZN2at6native12_GLOBAL__N_125multi_tensor_apply_kernelINS1_18TensorListMetadataILi3EEENS1_32PointwiseOpScalar0dTensorFunctorIN3c107complexIfEELi3ELi2ELi0EEEJSt7dividesIS8_ES8_EEEvT_T0_DpT1_,@function
_ZN2at6native12_GLOBAL__N_125multi_tensor_apply_kernelINS1_18TensorListMetadataILi3EEENS1_32PointwiseOpScalar0dTensorFunctorIN3c107complexIfEELi3ELi2ELi0EEEJSt7dividesIS8_ES8_EEEvT_T0_DpT1_: ; @_ZN2at6native12_GLOBAL__N_125multi_tensor_apply_kernelINS1_18TensorListMetadataILi3EEENS1_32PointwiseOpScalar0dTensorFunctorIN3c107complexIfEELi3ELi2ELi0EEEJSt7dividesIS8_ES8_EEEvT_T0_DpT1_
; %bb.0:
	v_mov_b32_e32 v1, s15
	s_add_u32 s2, s0, s15
	s_mul_hi_u32 s3, s15, 3
	s_mul_i32 s15, s15, 3
	s_addc_u32 s4, s1, 0
	global_load_u8 v1, v1, s[0:1] offset:1536
	s_add_u32 s2, s2, s15
	s_addc_u32 s3, s4, s3
	s_clause 0x1
	s_load_b64 s[4:5], s[0:1], 0xc50
	s_load_b32 s2, s[2:3], 0x740
	s_mov_b32 s23, 0
	s_delay_alu instid0(SALU_CYCLE_1) | instskip(SKIP_2) | instid1(VALU_DEP_1)
	s_mov_b32 s25, s23
	s_waitcnt vmcnt(0)
	v_lshlrev_b32_e32 v1, 3, v1
	v_readfirstlane_b32 s3, v1
	s_clause 0x3
	s_load_b64 s[14:15], s[0:1], s3 offset:0x0
	s_load_b64 s[10:11], s[0:1], s3 offset:0x180
	;; [unrolled: 1-line block ×4, first 2 shown]
	s_waitcnt lgkmcnt(0)
	s_ashr_i32 s3, s2, 31
	s_delay_alu instid0(SALU_CYCLE_1) | instskip(NEXT) | instid1(SALU_CYCLE_1)
	s_lshl_b64 s[6:7], s[2:3], 19
	s_add_u32 s12, s14, s6
	s_addc_u32 s13, s15, s7
	s_add_u32 s8, s10, s6
	s_add_u32 s18, s16, s6
	s_load_b64 s[10:11], s[10:11], 0x0
	s_addc_u32 s19, s17, s7
	s_or_b32 s8, s18, s8
	s_lshl_b64 s[2:3], s[2:3], 16
	s_and_b32 s8, s8, 31
	s_and_b32 s22, s12, 31
	s_cmp_lg_u32 s8, 0
	s_cselect_b32 s26, -1, 0
	s_sub_u32 s8, s20, s2
	s_subb_u32 s9, s21, s3
	s_and_b32 s24, s20, 3
	s_delay_alu instid0(SALU_CYCLE_1) | instskip(NEXT) | instid1(SALU_CYCLE_1)
	s_or_b64 s[2:3], s[22:23], s[24:25]
	s_cmp_lg_u64 s[2:3], 0
	s_cselect_b32 s2, -1, 0
	s_delay_alu instid0(SALU_CYCLE_1) | instskip(NEXT) | instid1(SALU_CYCLE_1)
	s_or_b32 s2, s26, s2
	s_and_not1_b32 vcc_lo, exec_lo, s2
	s_mov_b32 s2, -1
	s_cbranch_vccz .LBB85_85
; %bb.1:
	v_dual_mov_b32 v18, 0 :: v_dual_lshlrev_b32 v17, 2, v0
	s_mov_b32 s20, exec_lo
	s_delay_alu instid0(VALU_DEP_1)
	v_cmpx_gt_i64_e64 s[8:9], v[17:18]
	s_cbranch_execz .LBB85_84
; %bb.2:
	s_load_b32 s2, s[0:1], 0xc64
	s_and_b32 s3, s5, 0x7fffffff
	v_lshlrev_b32_e32 v21, 5, v0
	s_cmp_lg_u32 s3, 0
	v_cmp_neq_f32_e64 s3, s4, 1.0
	s_cselect_b32 s22, -1, 0
	s_mov_b32 s21, 0
	s_delay_alu instid0(VALU_DEP_1) | instskip(SKIP_2) | instid1(SALU_CYCLE_1)
	s_or_b32 s22, s3, s22
	s_waitcnt lgkmcnt(0)
	s_and_b32 s2, s2, 0xffff
	v_add_lshl_u32 v17, v0, s2, 2
	s_lshl_b32 s23, s2, 2
	s_lshl_b32 s24, s2, 5
	s_branch .LBB85_5
.LBB85_3:                               ;   in Loop: Header=BB85_5 Depth=1
	s_or_b32 exec_lo, exec_lo, s2
.LBB85_4:                               ;   in Loop: Header=BB85_5 Depth=1
	v_cmp_le_i64_e32 vcc_lo, s[8:9], v[17:18]
	v_cmp_lt_u64_e64 s2, 0xffff, v[17:18]
	s_waitcnt vmcnt(0)
	v_dual_add_f32 v7, v7, v25 :: v_dual_add_f32 v8, v8, v24
	v_dual_add_f32 v5, v5, v23 :: v_dual_add_f32 v6, v6, v22
	;; [unrolled: 1-line block ×3, first 2 shown]
	s_delay_alu instid0(VALU_DEP_4)
	s_or_b32 s2, vcc_lo, s2
	s_add_u32 s12, s12, s24
	v_add_co_u32 v17, vcc_lo, v17, s23
	s_addc_u32 s13, s13, 0
	s_add_u32 s18, s18, s24
	v_add_co_ci_u32_e32 v18, vcc_lo, 0, v18, vcc_lo
	s_addc_u32 s19, s19, 0
	v_dual_add_f32 v3, v3, v16 :: v_dual_add_f32 v4, v4, v15
	s_and_b32 s2, exec_lo, s2
	s_clause 0x1
	global_store_b128 v[19:20], v[5:8], off
	global_store_b128 v[19:20], v[1:4], off offset:16
	s_or_b32 s21, s2, s21
	s_delay_alu instid0(SALU_CYCLE_1)
	s_and_not1_b32 exec_lo, exec_lo, s21
	s_cbranch_execz .LBB85_84
.LBB85_5:                               ; =>This Inner Loop Header: Depth=1
	v_add_co_u32 v1, s2, s18, v21
	s_delay_alu instid0(VALU_DEP_1) | instskip(SKIP_1) | instid1(VALU_DEP_1)
	v_add_co_ci_u32_e64 v2, null, s19, 0, s2
	v_add_co_u32 v19, s2, s12, v21
	v_add_co_ci_u32_e64 v20, null, s13, 0, s2
	s_clause 0x1
	global_load_b128 v[13:16], v[1:2], off
	global_load_b128 v[9:12], v[1:2], off offset:16
	s_clause 0x1
	global_load_b128 v[1:4], v[19:20], off offset:16
	global_load_b128 v[5:8], v[19:20], off
	s_waitcnt vmcnt(3)
	v_cmp_gt_f32_e32 vcc_lo, 0, v13
	v_cndmask_b32_e64 v24, v13, -v13, vcc_lo
	v_cmp_gt_f32_e32 vcc_lo, 0, v14
	v_cndmask_b32_e64 v25, v14, -v14, vcc_lo
	s_and_b32 vcc_lo, exec_lo, s22
	s_delay_alu instid0(VALU_DEP_1)
	v_cmp_ge_f32_e64 s2, v24, v25
	s_cbranch_vccz .LBB85_15
; %bb.6:                                ;   in Loop: Header=BB85_5 Depth=1
                                        ; implicit-def: $vgpr22
                                        ; implicit-def: $vgpr26
	s_delay_alu instid0(VALU_DEP_1) | instskip(NEXT) | instid1(SALU_CYCLE_1)
	s_and_saveexec_b32 s3, s2
	s_xor_b32 s25, exec_lo, s3
	s_cbranch_execz .LBB85_12
; %bb.7:                                ;   in Loop: Header=BB85_5 Depth=1
	v_cmp_neq_f32_e32 vcc_lo, 0, v13
	v_cmp_neq_f32_e64 s3, 0, v14
                                        ; implicit-def: $vgpr22
                                        ; implicit-def: $vgpr26
	s_delay_alu instid0(VALU_DEP_1) | instskip(NEXT) | instid1(SALU_CYCLE_1)
	s_or_b32 s3, vcc_lo, s3
	s_and_saveexec_b32 s26, s3
	s_delay_alu instid0(SALU_CYCLE_1)
	s_xor_b32 s3, exec_lo, s26
	s_cbranch_execz .LBB85_9
; %bb.8:                                ;   in Loop: Header=BB85_5 Depth=1
	v_div_scale_f32 v22, null, v13, v13, v14
	v_div_scale_f32 v27, vcc_lo, v14, v13, v14
	s_delay_alu instid0(VALU_DEP_2) | instskip(SKIP_2) | instid1(VALU_DEP_1)
	v_rcp_f32_e32 v23, v22
	s_waitcnt_depctr 0xfff
	v_fma_f32 v26, -v22, v23, 1.0
	v_fmac_f32_e32 v23, v26, v23
	s_delay_alu instid0(VALU_DEP_1) | instskip(NEXT) | instid1(VALU_DEP_1)
	v_mul_f32_e32 v26, v27, v23
	v_fma_f32 v28, -v22, v26, v27
	s_delay_alu instid0(VALU_DEP_1) | instskip(NEXT) | instid1(VALU_DEP_1)
	v_fmac_f32_e32 v26, v28, v23
	v_fma_f32 v22, -v22, v26, v27
	s_delay_alu instid0(VALU_DEP_1) | instskip(NEXT) | instid1(VALU_DEP_1)
	v_div_fmas_f32 v22, v22, v23, v26
	v_div_fixup_f32 v22, v22, v13, v14
	s_delay_alu instid0(VALU_DEP_1) | instskip(NEXT) | instid1(VALU_DEP_1)
	v_fma_f32 v23, v14, v22, v13
	v_div_scale_f32 v26, null, v23, v23, 1.0
	v_div_scale_f32 v29, vcc_lo, 1.0, v23, 1.0
	s_delay_alu instid0(VALU_DEP_2) | instskip(SKIP_2) | instid1(VALU_DEP_1)
	v_rcp_f32_e32 v27, v26
	s_waitcnt_depctr 0xfff
	v_fma_f32 v28, -v26, v27, 1.0
	v_fmac_f32_e32 v27, v28, v27
	s_delay_alu instid0(VALU_DEP_1) | instskip(NEXT) | instid1(VALU_DEP_1)
	v_mul_f32_e32 v28, v29, v27
	v_fma_f32 v30, -v26, v28, v29
	s_delay_alu instid0(VALU_DEP_1) | instskip(NEXT) | instid1(VALU_DEP_1)
	v_fmac_f32_e32 v28, v30, v27
	v_fma_f32 v26, -v26, v28, v29
	s_delay_alu instid0(VALU_DEP_1) | instskip(SKIP_2) | instid1(VALU_DEP_3)
	v_div_fmas_f32 v26, v26, v27, v28
	v_fma_f32 v27, v22, s11, s10
	v_fma_f32 v22, -v22, s10, s11
	v_div_fixup_f32 v23, v26, v23, 1.0
	s_delay_alu instid0(VALU_DEP_1) | instskip(NEXT) | instid1(VALU_DEP_3)
	v_mul_f32_e32 v26, v27, v23
	v_mul_f32_e32 v22, v22, v23
.LBB85_9:                               ;   in Loop: Header=BB85_5 Depth=1
	s_and_not1_saveexec_b32 s26, s3
	s_cbranch_execz .LBB85_11
; %bb.10:                               ;   in Loop: Header=BB85_5 Depth=1
	v_div_scale_f32 v22, null, v24, v24, s10
	v_div_scale_f32 v23, null, v25, v25, s11
	v_div_scale_f32 v30, vcc_lo, s10, v24, s10
	s_delay_alu instid0(VALU_DEP_3) | instskip(NEXT) | instid1(VALU_DEP_2)
	v_rcp_f32_e32 v26, v22
	v_rcp_f32_e32 v27, v23
	s_waitcnt_depctr 0xfff
	v_fma_f32 v28, -v22, v26, 1.0
	v_fma_f32 v29, -v23, v27, 1.0
	s_delay_alu instid0(VALU_DEP_1) | instskip(SKIP_1) | instid1(VALU_DEP_2)
	v_dual_fmac_f32 v26, v28, v26 :: v_dual_fmac_f32 v27, v29, v27
	v_div_scale_f32 v28, s3, s11, v25, s11
	v_mul_f32_e32 v29, v30, v26
	s_delay_alu instid0(VALU_DEP_2) | instskip(NEXT) | instid1(VALU_DEP_2)
	v_mul_f32_e32 v31, v28, v27
	v_fma_f32 v32, -v22, v29, v30
	s_delay_alu instid0(VALU_DEP_2) | instskip(NEXT) | instid1(VALU_DEP_2)
	v_fma_f32 v33, -v23, v31, v28
	v_fmac_f32_e32 v29, v32, v26
	s_delay_alu instid0(VALU_DEP_2) | instskip(NEXT) | instid1(VALU_DEP_2)
	v_fmac_f32_e32 v31, v33, v27
	v_fma_f32 v22, -v22, v29, v30
	s_delay_alu instid0(VALU_DEP_2) | instskip(NEXT) | instid1(VALU_DEP_2)
	v_fma_f32 v23, -v23, v31, v28
	v_div_fmas_f32 v22, v22, v26, v29
	s_mov_b32 vcc_lo, s3
	s_delay_alu instid0(VALU_DEP_2) | instskip(NEXT) | instid1(VALU_DEP_2)
	v_div_fmas_f32 v23, v23, v27, v31
	v_div_fixup_f32 v26, v22, v24, s10
	s_delay_alu instid0(VALU_DEP_2)
	v_div_fixup_f32 v22, v23, v25, s11
.LBB85_11:                              ;   in Loop: Header=BB85_5 Depth=1
	s_or_b32 exec_lo, exec_lo, s26
.LBB85_12:                              ;   in Loop: Header=BB85_5 Depth=1
	s_and_not1_saveexec_b32 s3, s25
	s_cbranch_execz .LBB85_14
; %bb.13:                               ;   in Loop: Header=BB85_5 Depth=1
	v_div_scale_f32 v22, null, v14, v14, v13
	v_div_scale_f32 v27, vcc_lo, v13, v14, v13
	s_delay_alu instid0(VALU_DEP_2) | instskip(SKIP_2) | instid1(VALU_DEP_1)
	v_rcp_f32_e32 v23, v22
	s_waitcnt_depctr 0xfff
	v_fma_f32 v26, -v22, v23, 1.0
	v_fmac_f32_e32 v23, v26, v23
	s_delay_alu instid0(VALU_DEP_1) | instskip(NEXT) | instid1(VALU_DEP_1)
	v_mul_f32_e32 v26, v27, v23
	v_fma_f32 v28, -v22, v26, v27
	s_delay_alu instid0(VALU_DEP_1) | instskip(NEXT) | instid1(VALU_DEP_1)
	v_fmac_f32_e32 v26, v28, v23
	v_fma_f32 v22, -v22, v26, v27
	s_delay_alu instid0(VALU_DEP_1) | instskip(NEXT) | instid1(VALU_DEP_1)
	v_div_fmas_f32 v22, v22, v23, v26
	v_div_fixup_f32 v22, v22, v14, v13
	s_delay_alu instid0(VALU_DEP_1) | instskip(NEXT) | instid1(VALU_DEP_1)
	v_fma_f32 v23, v13, v22, v14
	v_div_scale_f32 v26, null, v23, v23, 1.0
	v_div_scale_f32 v29, vcc_lo, 1.0, v23, 1.0
	s_delay_alu instid0(VALU_DEP_2) | instskip(SKIP_2) | instid1(VALU_DEP_1)
	v_rcp_f32_e32 v27, v26
	s_waitcnt_depctr 0xfff
	v_fma_f32 v28, -v26, v27, 1.0
	v_fmac_f32_e32 v27, v28, v27
	s_delay_alu instid0(VALU_DEP_1) | instskip(NEXT) | instid1(VALU_DEP_1)
	v_mul_f32_e32 v28, v29, v27
	v_fma_f32 v30, -v26, v28, v29
	s_delay_alu instid0(VALU_DEP_1) | instskip(NEXT) | instid1(VALU_DEP_1)
	v_fmac_f32_e32 v28, v30, v27
	v_fma_f32 v26, -v26, v28, v29
	s_delay_alu instid0(VALU_DEP_1) | instskip(SKIP_2) | instid1(VALU_DEP_3)
	v_div_fmas_f32 v26, v26, v27, v28
	v_fma_f32 v27, v22, s10, s11
	v_fma_f32 v22, v22, s11, -s10
	v_div_fixup_f32 v23, v26, v23, 1.0
	s_delay_alu instid0(VALU_DEP_1) | instskip(NEXT) | instid1(VALU_DEP_3)
	v_mul_f32_e32 v26, v27, v23
	v_mul_f32_e32 v22, v22, v23
.LBB85_14:                              ;   in Loop: Header=BB85_5 Depth=1
	s_or_b32 exec_lo, exec_lo, s3
	s_delay_alu instid0(VALU_DEP_1) | instskip(SKIP_1) | instid1(VALU_DEP_2)
	v_mul_f32_e32 v23, s5, v22
	v_mul_f32_e32 v22, s4, v22
	v_fma_f32 v23, v26, s4, -v23
	s_delay_alu instid0(VALU_DEP_2)
	v_fmac_f32_e32 v22, s5, v26
	s_branch .LBB85_25
.LBB85_15:                              ;   in Loop: Header=BB85_5 Depth=1
                                        ; implicit-def: $vgpr22
                                        ; implicit-def: $vgpr23
	s_cbranch_execz .LBB85_25
; %bb.16:                               ;   in Loop: Header=BB85_5 Depth=1
                                        ; implicit-def: $vgpr22
                                        ; implicit-def: $vgpr23
	s_delay_alu instid0(VALU_DEP_1) | instskip(NEXT) | instid1(SALU_CYCLE_1)
	s_and_saveexec_b32 s3, s2
	s_xor_b32 s3, exec_lo, s3
	s_cbranch_execz .LBB85_22
; %bb.17:                               ;   in Loop: Header=BB85_5 Depth=1
	v_cmp_neq_f32_e32 vcc_lo, 0, v13
	v_cmp_neq_f32_e64 s2, 0, v14
                                        ; implicit-def: $vgpr22
                                        ; implicit-def: $vgpr23
	s_delay_alu instid0(VALU_DEP_1) | instskip(NEXT) | instid1(SALU_CYCLE_1)
	s_or_b32 s2, vcc_lo, s2
	s_and_saveexec_b32 s25, s2
	s_delay_alu instid0(SALU_CYCLE_1)
	s_xor_b32 s2, exec_lo, s25
	s_cbranch_execz .LBB85_19
; %bb.18:                               ;   in Loop: Header=BB85_5 Depth=1
	v_div_scale_f32 v22, null, v13, v13, v14
	v_div_scale_f32 v25, vcc_lo, v14, v13, v14
	s_delay_alu instid0(VALU_DEP_2) | instskip(SKIP_2) | instid1(VALU_DEP_1)
	v_rcp_f32_e32 v23, v22
	s_waitcnt_depctr 0xfff
	v_fma_f32 v24, -v22, v23, 1.0
	v_fmac_f32_e32 v23, v24, v23
	s_delay_alu instid0(VALU_DEP_1) | instskip(NEXT) | instid1(VALU_DEP_1)
	v_mul_f32_e32 v24, v25, v23
	v_fma_f32 v26, -v22, v24, v25
	s_delay_alu instid0(VALU_DEP_1) | instskip(NEXT) | instid1(VALU_DEP_1)
	v_fmac_f32_e32 v24, v26, v23
	v_fma_f32 v22, -v22, v24, v25
	s_delay_alu instid0(VALU_DEP_1) | instskip(NEXT) | instid1(VALU_DEP_1)
	v_div_fmas_f32 v22, v22, v23, v24
	v_div_fixup_f32 v22, v22, v13, v14
	s_delay_alu instid0(VALU_DEP_1) | instskip(NEXT) | instid1(VALU_DEP_1)
	v_fma_f32 v23, v14, v22, v13
	v_div_scale_f32 v24, null, v23, v23, 1.0
	v_div_scale_f32 v27, vcc_lo, 1.0, v23, 1.0
	s_delay_alu instid0(VALU_DEP_2) | instskip(SKIP_2) | instid1(VALU_DEP_1)
	v_rcp_f32_e32 v25, v24
	s_waitcnt_depctr 0xfff
	v_fma_f32 v26, -v24, v25, 1.0
	v_fmac_f32_e32 v25, v26, v25
	s_delay_alu instid0(VALU_DEP_1) | instskip(NEXT) | instid1(VALU_DEP_1)
	v_mul_f32_e32 v26, v27, v25
	v_fma_f32 v28, -v24, v26, v27
	s_delay_alu instid0(VALU_DEP_1) | instskip(NEXT) | instid1(VALU_DEP_1)
	v_fmac_f32_e32 v26, v28, v25
	v_fma_f32 v24, -v24, v26, v27
	s_delay_alu instid0(VALU_DEP_1) | instskip(SKIP_2) | instid1(VALU_DEP_3)
	v_div_fmas_f32 v24, v24, v25, v26
	v_fma_f32 v25, v22, s11, s10
	v_fma_f32 v22, -v22, s10, s11
	v_div_fixup_f32 v24, v24, v23, 1.0
	s_delay_alu instid0(VALU_DEP_1) | instskip(NEXT) | instid1(VALU_DEP_3)
	v_mul_f32_e32 v23, v25, v24
	v_mul_f32_e32 v22, v22, v24
                                        ; implicit-def: $vgpr24
                                        ; implicit-def: $vgpr25
.LBB85_19:                              ;   in Loop: Header=BB85_5 Depth=1
	s_and_not1_saveexec_b32 s25, s2
	s_cbranch_execz .LBB85_21
; %bb.20:                               ;   in Loop: Header=BB85_5 Depth=1
	v_div_scale_f32 v22, null, v24, v24, s10
	v_div_scale_f32 v23, null, v25, v25, s11
	v_div_scale_f32 v30, vcc_lo, s10, v24, s10
	s_delay_alu instid0(VALU_DEP_3) | instskip(NEXT) | instid1(VALU_DEP_2)
	v_rcp_f32_e32 v26, v22
	v_rcp_f32_e32 v27, v23
	s_waitcnt_depctr 0xfff
	v_fma_f32 v28, -v22, v26, 1.0
	v_fma_f32 v29, -v23, v27, 1.0
	s_delay_alu instid0(VALU_DEP_1) | instskip(SKIP_1) | instid1(VALU_DEP_2)
	v_dual_fmac_f32 v26, v28, v26 :: v_dual_fmac_f32 v27, v29, v27
	v_div_scale_f32 v28, s2, s11, v25, s11
	v_mul_f32_e32 v29, v30, v26
	s_delay_alu instid0(VALU_DEP_2) | instskip(NEXT) | instid1(VALU_DEP_2)
	v_mul_f32_e32 v31, v28, v27
	v_fma_f32 v32, -v22, v29, v30
	s_delay_alu instid0(VALU_DEP_2) | instskip(NEXT) | instid1(VALU_DEP_2)
	v_fma_f32 v33, -v23, v31, v28
	v_fmac_f32_e32 v29, v32, v26
	s_delay_alu instid0(VALU_DEP_2) | instskip(NEXT) | instid1(VALU_DEP_2)
	v_fmac_f32_e32 v31, v33, v27
	v_fma_f32 v22, -v22, v29, v30
	s_delay_alu instid0(VALU_DEP_2) | instskip(NEXT) | instid1(VALU_DEP_2)
	v_fma_f32 v23, -v23, v31, v28
	v_div_fmas_f32 v22, v22, v26, v29
	s_mov_b32 vcc_lo, s2
	s_delay_alu instid0(VALU_DEP_2) | instskip(NEXT) | instid1(VALU_DEP_2)
	v_div_fmas_f32 v26, v23, v27, v31
	v_div_fixup_f32 v23, v22, v24, s10
	s_delay_alu instid0(VALU_DEP_2)
	v_div_fixup_f32 v22, v26, v25, s11
.LBB85_21:                              ;   in Loop: Header=BB85_5 Depth=1
	s_or_b32 exec_lo, exec_lo, s25
.LBB85_22:                              ;   in Loop: Header=BB85_5 Depth=1
	s_and_not1_saveexec_b32 s2, s3
	s_cbranch_execz .LBB85_24
; %bb.23:                               ;   in Loop: Header=BB85_5 Depth=1
	v_div_scale_f32 v22, null, v14, v14, v13
	v_div_scale_f32 v25, vcc_lo, v13, v14, v13
	s_delay_alu instid0(VALU_DEP_2) | instskip(SKIP_2) | instid1(VALU_DEP_1)
	v_rcp_f32_e32 v23, v22
	s_waitcnt_depctr 0xfff
	v_fma_f32 v24, -v22, v23, 1.0
	v_fmac_f32_e32 v23, v24, v23
	s_delay_alu instid0(VALU_DEP_1) | instskip(NEXT) | instid1(VALU_DEP_1)
	v_mul_f32_e32 v24, v25, v23
	v_fma_f32 v26, -v22, v24, v25
	s_delay_alu instid0(VALU_DEP_1) | instskip(NEXT) | instid1(VALU_DEP_1)
	v_fmac_f32_e32 v24, v26, v23
	v_fma_f32 v22, -v22, v24, v25
	s_delay_alu instid0(VALU_DEP_1) | instskip(NEXT) | instid1(VALU_DEP_1)
	v_div_fmas_f32 v22, v22, v23, v24
	v_div_fixup_f32 v22, v22, v14, v13
	s_delay_alu instid0(VALU_DEP_1) | instskip(NEXT) | instid1(VALU_DEP_1)
	v_fma_f32 v13, v13, v22, v14
	v_div_scale_f32 v14, null, v13, v13, 1.0
	v_div_scale_f32 v25, vcc_lo, 1.0, v13, 1.0
	s_delay_alu instid0(VALU_DEP_2) | instskip(SKIP_2) | instid1(VALU_DEP_1)
	v_rcp_f32_e32 v23, v14
	s_waitcnt_depctr 0xfff
	v_fma_f32 v24, -v14, v23, 1.0
	v_fmac_f32_e32 v23, v24, v23
	s_delay_alu instid0(VALU_DEP_1) | instskip(NEXT) | instid1(VALU_DEP_1)
	v_mul_f32_e32 v24, v25, v23
	v_fma_f32 v26, -v14, v24, v25
	s_delay_alu instid0(VALU_DEP_1) | instskip(NEXT) | instid1(VALU_DEP_1)
	v_fmac_f32_e32 v24, v26, v23
	v_fma_f32 v14, -v14, v24, v25
	s_delay_alu instid0(VALU_DEP_1) | instskip(SKIP_1) | instid1(VALU_DEP_2)
	v_div_fmas_f32 v14, v14, v23, v24
	v_fma_f32 v23, v22, s10, s11
	v_div_fixup_f32 v13, v14, v13, 1.0
	v_fma_f32 v14, v22, s11, -s10
	s_delay_alu instid0(VALU_DEP_2) | instskip(NEXT) | instid1(VALU_DEP_2)
	v_mul_f32_e32 v23, v23, v13
	v_mul_f32_e32 v22, v14, v13
.LBB85_24:                              ;   in Loop: Header=BB85_5 Depth=1
	s_or_b32 exec_lo, exec_lo, s2
.LBB85_25:                              ;   in Loop: Header=BB85_5 Depth=1
	v_cmp_gt_f32_e32 vcc_lo, 0, v15
	v_cndmask_b32_e64 v13, v15, -v15, vcc_lo
	v_cmp_gt_f32_e32 vcc_lo, 0, v16
	v_cndmask_b32_e64 v14, v16, -v16, vcc_lo
	s_and_not1_b32 vcc_lo, exec_lo, s22
	s_delay_alu instid0(VALU_DEP_1)
	v_cmp_ge_f32_e64 s2, v13, v14
	s_cbranch_vccnz .LBB85_35
; %bb.26:                               ;   in Loop: Header=BB85_5 Depth=1
                                        ; implicit-def: $vgpr24
                                        ; implicit-def: $vgpr26
	s_delay_alu instid0(VALU_DEP_1) | instskip(NEXT) | instid1(SALU_CYCLE_1)
	s_and_saveexec_b32 s3, s2
	s_xor_b32 s25, exec_lo, s3
	s_cbranch_execz .LBB85_32
; %bb.27:                               ;   in Loop: Header=BB85_5 Depth=1
	v_cmp_neq_f32_e32 vcc_lo, 0, v15
	v_cmp_neq_f32_e64 s3, 0, v16
                                        ; implicit-def: $vgpr24
                                        ; implicit-def: $vgpr26
	s_delay_alu instid0(VALU_DEP_1) | instskip(NEXT) | instid1(SALU_CYCLE_1)
	s_or_b32 s3, vcc_lo, s3
	s_and_saveexec_b32 s26, s3
	s_delay_alu instid0(SALU_CYCLE_1)
	s_xor_b32 s3, exec_lo, s26
	s_cbranch_execz .LBB85_29
; %bb.28:                               ;   in Loop: Header=BB85_5 Depth=1
	v_div_scale_f32 v24, null, v15, v15, v16
	v_div_scale_f32 v27, vcc_lo, v16, v15, v16
	s_delay_alu instid0(VALU_DEP_2) | instskip(SKIP_2) | instid1(VALU_DEP_1)
	v_rcp_f32_e32 v25, v24
	s_waitcnt_depctr 0xfff
	v_fma_f32 v26, -v24, v25, 1.0
	v_fmac_f32_e32 v25, v26, v25
	s_delay_alu instid0(VALU_DEP_1) | instskip(NEXT) | instid1(VALU_DEP_1)
	v_mul_f32_e32 v26, v27, v25
	v_fma_f32 v28, -v24, v26, v27
	s_delay_alu instid0(VALU_DEP_1) | instskip(NEXT) | instid1(VALU_DEP_1)
	v_fmac_f32_e32 v26, v28, v25
	v_fma_f32 v24, -v24, v26, v27
	s_delay_alu instid0(VALU_DEP_1) | instskip(NEXT) | instid1(VALU_DEP_1)
	v_div_fmas_f32 v24, v24, v25, v26
	v_div_fixup_f32 v24, v24, v15, v16
	s_delay_alu instid0(VALU_DEP_1) | instskip(NEXT) | instid1(VALU_DEP_1)
	v_fma_f32 v25, v16, v24, v15
	v_div_scale_f32 v26, null, v25, v25, 1.0
	v_div_scale_f32 v29, vcc_lo, 1.0, v25, 1.0
	s_delay_alu instid0(VALU_DEP_2) | instskip(SKIP_2) | instid1(VALU_DEP_1)
	v_rcp_f32_e32 v27, v26
	s_waitcnt_depctr 0xfff
	v_fma_f32 v28, -v26, v27, 1.0
	v_fmac_f32_e32 v27, v28, v27
	s_delay_alu instid0(VALU_DEP_1) | instskip(NEXT) | instid1(VALU_DEP_1)
	v_mul_f32_e32 v28, v29, v27
	v_fma_f32 v30, -v26, v28, v29
	s_delay_alu instid0(VALU_DEP_1) | instskip(NEXT) | instid1(VALU_DEP_1)
	v_fmac_f32_e32 v28, v30, v27
	v_fma_f32 v26, -v26, v28, v29
	s_delay_alu instid0(VALU_DEP_1) | instskip(SKIP_2) | instid1(VALU_DEP_3)
	v_div_fmas_f32 v26, v26, v27, v28
	v_fma_f32 v27, v24, s11, s10
	v_fma_f32 v24, -v24, s10, s11
	v_div_fixup_f32 v25, v26, v25, 1.0
	s_delay_alu instid0(VALU_DEP_1) | instskip(NEXT) | instid1(VALU_DEP_3)
	v_mul_f32_e32 v26, v27, v25
	v_mul_f32_e32 v24, v24, v25
.LBB85_29:                              ;   in Loop: Header=BB85_5 Depth=1
	s_and_not1_saveexec_b32 s26, s3
	s_cbranch_execz .LBB85_31
; %bb.30:                               ;   in Loop: Header=BB85_5 Depth=1
	v_div_scale_f32 v24, null, v13, v13, s10
	v_div_scale_f32 v25, null, v14, v14, s11
	v_div_scale_f32 v30, vcc_lo, s10, v13, s10
	s_delay_alu instid0(VALU_DEP_3) | instskip(NEXT) | instid1(VALU_DEP_2)
	v_rcp_f32_e32 v26, v24
	v_rcp_f32_e32 v27, v25
	s_waitcnt_depctr 0xfff
	v_fma_f32 v28, -v24, v26, 1.0
	v_fma_f32 v29, -v25, v27, 1.0
	s_delay_alu instid0(VALU_DEP_1) | instskip(SKIP_1) | instid1(VALU_DEP_2)
	v_dual_fmac_f32 v26, v28, v26 :: v_dual_fmac_f32 v27, v29, v27
	v_div_scale_f32 v28, s3, s11, v14, s11
	v_mul_f32_e32 v29, v30, v26
	s_delay_alu instid0(VALU_DEP_2) | instskip(NEXT) | instid1(VALU_DEP_2)
	v_mul_f32_e32 v31, v28, v27
	v_fma_f32 v32, -v24, v29, v30
	s_delay_alu instid0(VALU_DEP_2) | instskip(NEXT) | instid1(VALU_DEP_2)
	v_fma_f32 v33, -v25, v31, v28
	v_fmac_f32_e32 v29, v32, v26
	s_delay_alu instid0(VALU_DEP_2) | instskip(NEXT) | instid1(VALU_DEP_2)
	v_fmac_f32_e32 v31, v33, v27
	v_fma_f32 v24, -v24, v29, v30
	s_delay_alu instid0(VALU_DEP_2) | instskip(NEXT) | instid1(VALU_DEP_2)
	v_fma_f32 v25, -v25, v31, v28
	v_div_fmas_f32 v24, v24, v26, v29
	s_mov_b32 vcc_lo, s3
	s_delay_alu instid0(VALU_DEP_2) | instskip(NEXT) | instid1(VALU_DEP_2)
	v_div_fmas_f32 v25, v25, v27, v31
	v_div_fixup_f32 v26, v24, v13, s10
	s_delay_alu instid0(VALU_DEP_2)
	v_div_fixup_f32 v24, v25, v14, s11
.LBB85_31:                              ;   in Loop: Header=BB85_5 Depth=1
	s_or_b32 exec_lo, exec_lo, s26
.LBB85_32:                              ;   in Loop: Header=BB85_5 Depth=1
	s_and_not1_saveexec_b32 s3, s25
	s_cbranch_execz .LBB85_34
; %bb.33:                               ;   in Loop: Header=BB85_5 Depth=1
	v_div_scale_f32 v24, null, v16, v16, v15
	v_div_scale_f32 v27, vcc_lo, v15, v16, v15
	s_delay_alu instid0(VALU_DEP_2) | instskip(SKIP_2) | instid1(VALU_DEP_1)
	v_rcp_f32_e32 v25, v24
	s_waitcnt_depctr 0xfff
	v_fma_f32 v26, -v24, v25, 1.0
	v_fmac_f32_e32 v25, v26, v25
	s_delay_alu instid0(VALU_DEP_1) | instskip(NEXT) | instid1(VALU_DEP_1)
	v_mul_f32_e32 v26, v27, v25
	v_fma_f32 v28, -v24, v26, v27
	s_delay_alu instid0(VALU_DEP_1) | instskip(NEXT) | instid1(VALU_DEP_1)
	v_fmac_f32_e32 v26, v28, v25
	v_fma_f32 v24, -v24, v26, v27
	s_delay_alu instid0(VALU_DEP_1) | instskip(NEXT) | instid1(VALU_DEP_1)
	v_div_fmas_f32 v24, v24, v25, v26
	v_div_fixup_f32 v24, v24, v16, v15
	s_delay_alu instid0(VALU_DEP_1) | instskip(NEXT) | instid1(VALU_DEP_1)
	v_fma_f32 v25, v15, v24, v16
	v_div_scale_f32 v26, null, v25, v25, 1.0
	v_div_scale_f32 v29, vcc_lo, 1.0, v25, 1.0
	s_delay_alu instid0(VALU_DEP_2) | instskip(SKIP_2) | instid1(VALU_DEP_1)
	v_rcp_f32_e32 v27, v26
	s_waitcnt_depctr 0xfff
	v_fma_f32 v28, -v26, v27, 1.0
	v_fmac_f32_e32 v27, v28, v27
	s_delay_alu instid0(VALU_DEP_1) | instskip(NEXT) | instid1(VALU_DEP_1)
	v_mul_f32_e32 v28, v29, v27
	v_fma_f32 v30, -v26, v28, v29
	s_delay_alu instid0(VALU_DEP_1) | instskip(NEXT) | instid1(VALU_DEP_1)
	v_fmac_f32_e32 v28, v30, v27
	v_fma_f32 v26, -v26, v28, v29
	s_delay_alu instid0(VALU_DEP_1) | instskip(SKIP_2) | instid1(VALU_DEP_3)
	v_div_fmas_f32 v26, v26, v27, v28
	v_fma_f32 v27, v24, s10, s11
	v_fma_f32 v24, v24, s11, -s10
	v_div_fixup_f32 v25, v26, v25, 1.0
	s_delay_alu instid0(VALU_DEP_1) | instskip(NEXT) | instid1(VALU_DEP_3)
	v_mul_f32_e32 v26, v27, v25
	v_mul_f32_e32 v24, v24, v25
.LBB85_34:                              ;   in Loop: Header=BB85_5 Depth=1
	s_or_b32 exec_lo, exec_lo, s3
	s_delay_alu instid0(VALU_DEP_1) | instskip(SKIP_1) | instid1(VALU_DEP_1)
	v_mul_f32_e32 v25, s5, v24
	v_mul_f32_e32 v24, s4, v24
	v_fmac_f32_e32 v24, s5, v26
	s_delay_alu instid0(VALU_DEP_3)
	v_fma_f32 v25, v26, s4, -v25
	s_branch .LBB85_45
.LBB85_35:                              ;   in Loop: Header=BB85_5 Depth=1
                                        ; implicit-def: $vgpr24
                                        ; implicit-def: $vgpr25
	s_cbranch_execz .LBB85_45
; %bb.36:                               ;   in Loop: Header=BB85_5 Depth=1
                                        ; implicit-def: $vgpr24
                                        ; implicit-def: $vgpr25
	s_delay_alu instid0(VALU_DEP_1) | instskip(NEXT) | instid1(SALU_CYCLE_1)
	s_and_saveexec_b32 s3, s2
	s_xor_b32 s3, exec_lo, s3
	s_cbranch_execz .LBB85_42
; %bb.37:                               ;   in Loop: Header=BB85_5 Depth=1
	v_cmp_neq_f32_e32 vcc_lo, 0, v15
	v_cmp_neq_f32_e64 s2, 0, v16
                                        ; implicit-def: $vgpr24
                                        ; implicit-def: $vgpr25
	s_delay_alu instid0(VALU_DEP_1) | instskip(NEXT) | instid1(SALU_CYCLE_1)
	s_or_b32 s2, vcc_lo, s2
	s_and_saveexec_b32 s25, s2
	s_delay_alu instid0(SALU_CYCLE_1)
	s_xor_b32 s2, exec_lo, s25
	s_cbranch_execz .LBB85_39
; %bb.38:                               ;   in Loop: Header=BB85_5 Depth=1
	v_div_scale_f32 v13, null, v15, v15, v16
	v_div_scale_f32 v25, vcc_lo, v16, v15, v16
	s_delay_alu instid0(VALU_DEP_2) | instskip(SKIP_2) | instid1(VALU_DEP_1)
	v_rcp_f32_e32 v14, v13
	s_waitcnt_depctr 0xfff
	v_fma_f32 v24, -v13, v14, 1.0
	v_fmac_f32_e32 v14, v24, v14
	s_delay_alu instid0(VALU_DEP_1) | instskip(NEXT) | instid1(VALU_DEP_1)
	v_mul_f32_e32 v24, v25, v14
	v_fma_f32 v26, -v13, v24, v25
	s_delay_alu instid0(VALU_DEP_1) | instskip(NEXT) | instid1(VALU_DEP_1)
	v_fmac_f32_e32 v24, v26, v14
	v_fma_f32 v13, -v13, v24, v25
	s_delay_alu instid0(VALU_DEP_1) | instskip(NEXT) | instid1(VALU_DEP_1)
	v_div_fmas_f32 v13, v13, v14, v24
	v_div_fixup_f32 v13, v13, v15, v16
	s_delay_alu instid0(VALU_DEP_1) | instskip(NEXT) | instid1(VALU_DEP_1)
	v_fmac_f32_e32 v15, v16, v13
	v_div_scale_f32 v14, null, v15, v15, 1.0
	v_div_scale_f32 v25, vcc_lo, 1.0, v15, 1.0
	s_delay_alu instid0(VALU_DEP_2) | instskip(SKIP_2) | instid1(VALU_DEP_1)
	v_rcp_f32_e32 v16, v14
	s_waitcnt_depctr 0xfff
	v_fma_f32 v24, -v14, v16, 1.0
	v_fmac_f32_e32 v16, v24, v16
	s_delay_alu instid0(VALU_DEP_1) | instskip(NEXT) | instid1(VALU_DEP_1)
	v_mul_f32_e32 v24, v25, v16
	v_fma_f32 v26, -v14, v24, v25
	s_delay_alu instid0(VALU_DEP_1) | instskip(NEXT) | instid1(VALU_DEP_1)
	v_fmac_f32_e32 v24, v26, v16
	v_fma_f32 v14, -v14, v24, v25
	s_delay_alu instid0(VALU_DEP_1) | instskip(SKIP_2) | instid1(VALU_DEP_3)
	v_div_fmas_f32 v14, v14, v16, v24
	v_fma_f32 v16, v13, s11, s10
	v_fma_f32 v13, -v13, s10, s11
	v_div_fixup_f32 v14, v14, v15, 1.0
	s_delay_alu instid0(VALU_DEP_1) | instskip(NEXT) | instid1(VALU_DEP_3)
	v_mul_f32_e32 v25, v16, v14
	v_mul_f32_e32 v24, v13, v14
                                        ; implicit-def: $vgpr13
                                        ; implicit-def: $vgpr14
.LBB85_39:                              ;   in Loop: Header=BB85_5 Depth=1
	s_and_not1_saveexec_b32 s25, s2
	s_cbranch_execz .LBB85_41
; %bb.40:                               ;   in Loop: Header=BB85_5 Depth=1
	v_div_scale_f32 v15, null, v13, v13, s10
	v_div_scale_f32 v16, null, v14, v14, s11
	v_div_scale_f32 v28, vcc_lo, s10, v13, s10
	s_delay_alu instid0(VALU_DEP_3) | instskip(NEXT) | instid1(VALU_DEP_2)
	v_rcp_f32_e32 v24, v15
	v_rcp_f32_e32 v25, v16
	s_waitcnt_depctr 0xfff
	v_fma_f32 v26, -v15, v24, 1.0
	v_fma_f32 v27, -v16, v25, 1.0
	s_delay_alu instid0(VALU_DEP_1) | instskip(SKIP_1) | instid1(VALU_DEP_2)
	v_dual_fmac_f32 v24, v26, v24 :: v_dual_fmac_f32 v25, v27, v25
	v_div_scale_f32 v26, s2, s11, v14, s11
	v_mul_f32_e32 v27, v28, v24
	s_delay_alu instid0(VALU_DEP_2) | instskip(NEXT) | instid1(VALU_DEP_2)
	v_mul_f32_e32 v29, v26, v25
	v_fma_f32 v30, -v15, v27, v28
	s_delay_alu instid0(VALU_DEP_2) | instskip(NEXT) | instid1(VALU_DEP_2)
	v_fma_f32 v31, -v16, v29, v26
	v_fmac_f32_e32 v27, v30, v24
	s_delay_alu instid0(VALU_DEP_2) | instskip(NEXT) | instid1(VALU_DEP_2)
	v_fmac_f32_e32 v29, v31, v25
	v_fma_f32 v15, -v15, v27, v28
	s_delay_alu instid0(VALU_DEP_2) | instskip(NEXT) | instid1(VALU_DEP_2)
	v_fma_f32 v16, -v16, v29, v26
	v_div_fmas_f32 v15, v15, v24, v27
	s_mov_b32 vcc_lo, s2
	s_delay_alu instid0(VALU_DEP_2) | instskip(NEXT) | instid1(VALU_DEP_2)
	v_div_fmas_f32 v16, v16, v25, v29
	v_div_fixup_f32 v25, v15, v13, s10
	s_delay_alu instid0(VALU_DEP_2)
	v_div_fixup_f32 v24, v16, v14, s11
.LBB85_41:                              ;   in Loop: Header=BB85_5 Depth=1
	s_or_b32 exec_lo, exec_lo, s25
                                        ; implicit-def: $vgpr13_vgpr14_vgpr15_vgpr16
.LBB85_42:                              ;   in Loop: Header=BB85_5 Depth=1
	s_and_not1_saveexec_b32 s2, s3
	s_cbranch_execz .LBB85_44
; %bb.43:                               ;   in Loop: Header=BB85_5 Depth=1
	v_div_scale_f32 v13, null, v16, v16, v15
	v_div_scale_f32 v25, vcc_lo, v15, v16, v15
	s_delay_alu instid0(VALU_DEP_2) | instskip(SKIP_2) | instid1(VALU_DEP_1)
	v_rcp_f32_e32 v14, v13
	s_waitcnt_depctr 0xfff
	v_fma_f32 v24, -v13, v14, 1.0
	v_fmac_f32_e32 v14, v24, v14
	s_delay_alu instid0(VALU_DEP_1) | instskip(NEXT) | instid1(VALU_DEP_1)
	v_mul_f32_e32 v24, v25, v14
	v_fma_f32 v26, -v13, v24, v25
	s_delay_alu instid0(VALU_DEP_1) | instskip(NEXT) | instid1(VALU_DEP_1)
	v_fmac_f32_e32 v24, v26, v14
	v_fma_f32 v13, -v13, v24, v25
	s_delay_alu instid0(VALU_DEP_1) | instskip(NEXT) | instid1(VALU_DEP_1)
	v_div_fmas_f32 v13, v13, v14, v24
	v_div_fixup_f32 v13, v13, v16, v15
	s_delay_alu instid0(VALU_DEP_1) | instskip(NEXT) | instid1(VALU_DEP_1)
	v_fmac_f32_e32 v16, v15, v13
	v_div_scale_f32 v14, null, v16, v16, 1.0
	s_delay_alu instid0(VALU_DEP_1) | instskip(SKIP_2) | instid1(VALU_DEP_1)
	v_rcp_f32_e32 v15, v14
	s_waitcnt_depctr 0xfff
	v_fma_f32 v24, -v14, v15, 1.0
	v_fmac_f32_e32 v15, v24, v15
	v_div_scale_f32 v25, vcc_lo, 1.0, v16, 1.0
	s_delay_alu instid0(VALU_DEP_1) | instskip(NEXT) | instid1(VALU_DEP_1)
	v_mul_f32_e32 v24, v25, v15
	v_fma_f32 v26, -v14, v24, v25
	s_delay_alu instid0(VALU_DEP_1) | instskip(NEXT) | instid1(VALU_DEP_1)
	v_fmac_f32_e32 v24, v26, v15
	v_fma_f32 v14, -v14, v24, v25
	s_delay_alu instid0(VALU_DEP_1) | instskip(SKIP_2) | instid1(VALU_DEP_3)
	v_div_fmas_f32 v14, v14, v15, v24
	v_fma_f32 v15, v13, s10, s11
	v_fma_f32 v13, v13, s11, -s10
	v_div_fixup_f32 v14, v14, v16, 1.0
	s_delay_alu instid0(VALU_DEP_1) | instskip(NEXT) | instid1(VALU_DEP_3)
	v_mul_f32_e32 v25, v15, v14
	v_mul_f32_e32 v24, v13, v14
.LBB85_44:                              ;   in Loop: Header=BB85_5 Depth=1
	s_or_b32 exec_lo, exec_lo, s2
.LBB85_45:                              ;   in Loop: Header=BB85_5 Depth=1
	s_waitcnt vmcnt(2)
	v_cmp_gt_f32_e32 vcc_lo, 0, v9
	v_cndmask_b32_e64 v15, v9, -v9, vcc_lo
	v_cmp_gt_f32_e32 vcc_lo, 0, v10
	v_cndmask_b32_e64 v16, v10, -v10, vcc_lo
	s_and_not1_b32 vcc_lo, exec_lo, s22
	s_delay_alu instid0(VALU_DEP_1)
	v_cmp_ge_f32_e64 s2, v15, v16
	s_cbranch_vccnz .LBB85_55
; %bb.46:                               ;   in Loop: Header=BB85_5 Depth=1
                                        ; implicit-def: $vgpr13
                                        ; implicit-def: $vgpr26
	s_delay_alu instid0(VALU_DEP_1) | instskip(NEXT) | instid1(SALU_CYCLE_1)
	s_and_saveexec_b32 s3, s2
	s_xor_b32 s25, exec_lo, s3
	s_cbranch_execz .LBB85_52
; %bb.47:                               ;   in Loop: Header=BB85_5 Depth=1
	v_cmp_neq_f32_e32 vcc_lo, 0, v9
	v_cmp_neq_f32_e64 s3, 0, v10
                                        ; implicit-def: $vgpr13
                                        ; implicit-def: $vgpr26
	s_delay_alu instid0(VALU_DEP_1) | instskip(NEXT) | instid1(SALU_CYCLE_1)
	s_or_b32 s3, vcc_lo, s3
	s_and_saveexec_b32 s26, s3
	s_delay_alu instid0(SALU_CYCLE_1)
	s_xor_b32 s3, exec_lo, s26
	s_cbranch_execz .LBB85_49
; %bb.48:                               ;   in Loop: Header=BB85_5 Depth=1
	v_div_scale_f32 v13, null, v9, v9, v10
	v_div_scale_f32 v27, vcc_lo, v10, v9, v10
	s_delay_alu instid0(VALU_DEP_2) | instskip(SKIP_2) | instid1(VALU_DEP_1)
	v_rcp_f32_e32 v14, v13
	s_waitcnt_depctr 0xfff
	v_fma_f32 v26, -v13, v14, 1.0
	v_fmac_f32_e32 v14, v26, v14
	s_delay_alu instid0(VALU_DEP_1) | instskip(NEXT) | instid1(VALU_DEP_1)
	v_mul_f32_e32 v26, v27, v14
	v_fma_f32 v28, -v13, v26, v27
	s_delay_alu instid0(VALU_DEP_1) | instskip(NEXT) | instid1(VALU_DEP_1)
	v_fmac_f32_e32 v26, v28, v14
	v_fma_f32 v13, -v13, v26, v27
	s_delay_alu instid0(VALU_DEP_1) | instskip(NEXT) | instid1(VALU_DEP_1)
	v_div_fmas_f32 v13, v13, v14, v26
	v_div_fixup_f32 v13, v13, v9, v10
	s_delay_alu instid0(VALU_DEP_1) | instskip(NEXT) | instid1(VALU_DEP_1)
	v_fma_f32 v14, v10, v13, v9
	v_div_scale_f32 v26, null, v14, v14, 1.0
	v_div_scale_f32 v29, vcc_lo, 1.0, v14, 1.0
	s_delay_alu instid0(VALU_DEP_2) | instskip(SKIP_2) | instid1(VALU_DEP_1)
	v_rcp_f32_e32 v27, v26
	s_waitcnt_depctr 0xfff
	v_fma_f32 v28, -v26, v27, 1.0
	v_fmac_f32_e32 v27, v28, v27
	s_delay_alu instid0(VALU_DEP_1) | instskip(NEXT) | instid1(VALU_DEP_1)
	v_mul_f32_e32 v28, v29, v27
	v_fma_f32 v30, -v26, v28, v29
	s_delay_alu instid0(VALU_DEP_1) | instskip(NEXT) | instid1(VALU_DEP_1)
	v_fmac_f32_e32 v28, v30, v27
	v_fma_f32 v26, -v26, v28, v29
	s_delay_alu instid0(VALU_DEP_1) | instskip(SKIP_2) | instid1(VALU_DEP_3)
	v_div_fmas_f32 v26, v26, v27, v28
	v_fma_f32 v27, v13, s11, s10
	v_fma_f32 v13, -v13, s10, s11
	v_div_fixup_f32 v14, v26, v14, 1.0
	s_delay_alu instid0(VALU_DEP_1) | instskip(NEXT) | instid1(VALU_DEP_4)
	v_mul_f32_e32 v13, v13, v14
	v_mul_f32_e32 v26, v27, v14
.LBB85_49:                              ;   in Loop: Header=BB85_5 Depth=1
	s_and_not1_saveexec_b32 s26, s3
	s_cbranch_execz .LBB85_51
; %bb.50:                               ;   in Loop: Header=BB85_5 Depth=1
	v_div_scale_f32 v13, null, v15, v15, s10
	v_div_scale_f32 v14, null, v16, v16, s11
	v_div_scale_f32 v30, vcc_lo, s10, v15, s10
	s_delay_alu instid0(VALU_DEP_3) | instskip(NEXT) | instid1(VALU_DEP_2)
	v_rcp_f32_e32 v26, v13
	v_rcp_f32_e32 v27, v14
	s_waitcnt_depctr 0xfff
	v_fma_f32 v28, -v13, v26, 1.0
	v_fma_f32 v29, -v14, v27, 1.0
	s_delay_alu instid0(VALU_DEP_1) | instskip(SKIP_1) | instid1(VALU_DEP_2)
	v_dual_fmac_f32 v26, v28, v26 :: v_dual_fmac_f32 v27, v29, v27
	v_div_scale_f32 v28, s3, s11, v16, s11
	v_mul_f32_e32 v29, v30, v26
	s_delay_alu instid0(VALU_DEP_2) | instskip(NEXT) | instid1(VALU_DEP_2)
	v_mul_f32_e32 v31, v28, v27
	v_fma_f32 v32, -v13, v29, v30
	s_delay_alu instid0(VALU_DEP_2) | instskip(NEXT) | instid1(VALU_DEP_2)
	v_fma_f32 v33, -v14, v31, v28
	v_fmac_f32_e32 v29, v32, v26
	s_delay_alu instid0(VALU_DEP_2) | instskip(NEXT) | instid1(VALU_DEP_2)
	v_fmac_f32_e32 v31, v33, v27
	v_fma_f32 v13, -v13, v29, v30
	s_delay_alu instid0(VALU_DEP_2) | instskip(NEXT) | instid1(VALU_DEP_2)
	v_fma_f32 v14, -v14, v31, v28
	v_div_fmas_f32 v13, v13, v26, v29
	s_mov_b32 vcc_lo, s3
	s_delay_alu instid0(VALU_DEP_2) | instskip(NEXT) | instid1(VALU_DEP_2)
	v_div_fmas_f32 v14, v14, v27, v31
	v_div_fixup_f32 v26, v13, v15, s10
	s_delay_alu instid0(VALU_DEP_2)
	v_div_fixup_f32 v13, v14, v16, s11
.LBB85_51:                              ;   in Loop: Header=BB85_5 Depth=1
	s_or_b32 exec_lo, exec_lo, s26
.LBB85_52:                              ;   in Loop: Header=BB85_5 Depth=1
	s_and_not1_saveexec_b32 s3, s25
	s_cbranch_execz .LBB85_54
; %bb.53:                               ;   in Loop: Header=BB85_5 Depth=1
	v_div_scale_f32 v13, null, v10, v10, v9
	v_div_scale_f32 v27, vcc_lo, v9, v10, v9
	s_delay_alu instid0(VALU_DEP_2) | instskip(SKIP_2) | instid1(VALU_DEP_1)
	v_rcp_f32_e32 v14, v13
	s_waitcnt_depctr 0xfff
	v_fma_f32 v26, -v13, v14, 1.0
	v_fmac_f32_e32 v14, v26, v14
	s_delay_alu instid0(VALU_DEP_1) | instskip(NEXT) | instid1(VALU_DEP_1)
	v_mul_f32_e32 v26, v27, v14
	v_fma_f32 v28, -v13, v26, v27
	s_delay_alu instid0(VALU_DEP_1) | instskip(NEXT) | instid1(VALU_DEP_1)
	v_fmac_f32_e32 v26, v28, v14
	v_fma_f32 v13, -v13, v26, v27
	s_delay_alu instid0(VALU_DEP_1) | instskip(NEXT) | instid1(VALU_DEP_1)
	v_div_fmas_f32 v13, v13, v14, v26
	v_div_fixup_f32 v13, v13, v10, v9
	s_delay_alu instid0(VALU_DEP_1) | instskip(NEXT) | instid1(VALU_DEP_1)
	v_fma_f32 v14, v9, v13, v10
	v_div_scale_f32 v26, null, v14, v14, 1.0
	v_div_scale_f32 v29, vcc_lo, 1.0, v14, 1.0
	s_delay_alu instid0(VALU_DEP_2) | instskip(SKIP_2) | instid1(VALU_DEP_1)
	v_rcp_f32_e32 v27, v26
	s_waitcnt_depctr 0xfff
	v_fma_f32 v28, -v26, v27, 1.0
	v_fmac_f32_e32 v27, v28, v27
	s_delay_alu instid0(VALU_DEP_1) | instskip(NEXT) | instid1(VALU_DEP_1)
	v_mul_f32_e32 v28, v29, v27
	v_fma_f32 v30, -v26, v28, v29
	s_delay_alu instid0(VALU_DEP_1) | instskip(NEXT) | instid1(VALU_DEP_1)
	v_fmac_f32_e32 v28, v30, v27
	v_fma_f32 v26, -v26, v28, v29
	s_delay_alu instid0(VALU_DEP_1) | instskip(SKIP_2) | instid1(VALU_DEP_3)
	v_div_fmas_f32 v26, v26, v27, v28
	v_fma_f32 v27, v13, s10, s11
	v_fma_f32 v13, v13, s11, -s10
	v_div_fixup_f32 v14, v26, v14, 1.0
	s_delay_alu instid0(VALU_DEP_1) | instskip(NEXT) | instid1(VALU_DEP_4)
	v_mul_f32_e32 v13, v13, v14
	v_mul_f32_e32 v26, v27, v14
.LBB85_54:                              ;   in Loop: Header=BB85_5 Depth=1
	s_or_b32 exec_lo, exec_lo, s3
	s_delay_alu instid0(VALU_DEP_1) | instskip(SKIP_1) | instid1(VALU_DEP_1)
	v_mul_f32_e32 v14, s5, v13
	v_mul_f32_e32 v13, s4, v13
	v_fmac_f32_e32 v13, s5, v26
	s_delay_alu instid0(VALU_DEP_3)
	v_fma_f32 v14, v26, s4, -v14
	s_branch .LBB85_65
.LBB85_55:                              ;   in Loop: Header=BB85_5 Depth=1
                                        ; implicit-def: $vgpr13
                                        ; implicit-def: $vgpr14
	s_cbranch_execz .LBB85_65
; %bb.56:                               ;   in Loop: Header=BB85_5 Depth=1
                                        ; implicit-def: $vgpr13
                                        ; implicit-def: $vgpr14
	s_delay_alu instid0(VALU_DEP_1) | instskip(NEXT) | instid1(SALU_CYCLE_1)
	s_and_saveexec_b32 s3, s2
	s_xor_b32 s3, exec_lo, s3
	s_cbranch_execz .LBB85_62
; %bb.57:                               ;   in Loop: Header=BB85_5 Depth=1
	v_cmp_neq_f32_e32 vcc_lo, 0, v9
	v_cmp_neq_f32_e64 s2, 0, v10
                                        ; implicit-def: $vgpr13
                                        ; implicit-def: $vgpr14
	s_delay_alu instid0(VALU_DEP_1) | instskip(NEXT) | instid1(SALU_CYCLE_1)
	s_or_b32 s2, vcc_lo, s2
	s_and_saveexec_b32 s25, s2
	s_delay_alu instid0(SALU_CYCLE_1)
	s_xor_b32 s2, exec_lo, s25
	s_cbranch_execz .LBB85_59
; %bb.58:                               ;   in Loop: Header=BB85_5 Depth=1
	v_div_scale_f32 v13, null, v9, v9, v10
	v_div_scale_f32 v16, vcc_lo, v10, v9, v10
	s_delay_alu instid0(VALU_DEP_2) | instskip(SKIP_2) | instid1(VALU_DEP_1)
	v_rcp_f32_e32 v14, v13
	s_waitcnt_depctr 0xfff
	v_fma_f32 v15, -v13, v14, 1.0
	v_fmac_f32_e32 v14, v15, v14
	s_delay_alu instid0(VALU_DEP_1) | instskip(NEXT) | instid1(VALU_DEP_1)
	v_mul_f32_e32 v15, v16, v14
	v_fma_f32 v26, -v13, v15, v16
	s_delay_alu instid0(VALU_DEP_1) | instskip(NEXT) | instid1(VALU_DEP_1)
	v_fmac_f32_e32 v15, v26, v14
	v_fma_f32 v13, -v13, v15, v16
	s_delay_alu instid0(VALU_DEP_1) | instskip(NEXT) | instid1(VALU_DEP_1)
	v_div_fmas_f32 v13, v13, v14, v15
	v_div_fixup_f32 v13, v13, v9, v10
	s_delay_alu instid0(VALU_DEP_1) | instskip(NEXT) | instid1(VALU_DEP_1)
	v_fma_f32 v14, v10, v13, v9
	v_div_scale_f32 v15, null, v14, v14, 1.0
	v_div_scale_f32 v27, vcc_lo, 1.0, v14, 1.0
	s_delay_alu instid0(VALU_DEP_2) | instskip(SKIP_2) | instid1(VALU_DEP_1)
	v_rcp_f32_e32 v16, v15
	s_waitcnt_depctr 0xfff
	v_fma_f32 v26, -v15, v16, 1.0
	v_fmac_f32_e32 v16, v26, v16
	s_delay_alu instid0(VALU_DEP_1) | instskip(NEXT) | instid1(VALU_DEP_1)
	v_mul_f32_e32 v26, v27, v16
	v_fma_f32 v28, -v15, v26, v27
	s_delay_alu instid0(VALU_DEP_1) | instskip(NEXT) | instid1(VALU_DEP_1)
	v_fmac_f32_e32 v26, v28, v16
	v_fma_f32 v15, -v15, v26, v27
	s_delay_alu instid0(VALU_DEP_1) | instskip(SKIP_2) | instid1(VALU_DEP_3)
	v_div_fmas_f32 v15, v15, v16, v26
	v_fma_f32 v16, v13, s11, s10
	v_fma_f32 v13, -v13, s10, s11
	v_div_fixup_f32 v15, v15, v14, 1.0
	s_delay_alu instid0(VALU_DEP_1) | instskip(NEXT) | instid1(VALU_DEP_3)
	v_mul_f32_e32 v14, v16, v15
	v_mul_f32_e32 v13, v13, v15
                                        ; implicit-def: $vgpr15
                                        ; implicit-def: $vgpr16
.LBB85_59:                              ;   in Loop: Header=BB85_5 Depth=1
	s_and_not1_saveexec_b32 s25, s2
	s_cbranch_execz .LBB85_61
; %bb.60:                               ;   in Loop: Header=BB85_5 Depth=1
	v_div_scale_f32 v13, null, v15, v15, s10
	v_div_scale_f32 v14, null, v16, v16, s11
	v_div_scale_f32 v30, vcc_lo, s10, v15, s10
	s_delay_alu instid0(VALU_DEP_3) | instskip(NEXT) | instid1(VALU_DEP_2)
	v_rcp_f32_e32 v26, v13
	v_rcp_f32_e32 v27, v14
	s_waitcnt_depctr 0xfff
	v_fma_f32 v28, -v13, v26, 1.0
	v_fma_f32 v29, -v14, v27, 1.0
	s_delay_alu instid0(VALU_DEP_1) | instskip(SKIP_1) | instid1(VALU_DEP_2)
	v_dual_fmac_f32 v26, v28, v26 :: v_dual_fmac_f32 v27, v29, v27
	v_div_scale_f32 v28, s2, s11, v16, s11
	v_mul_f32_e32 v29, v30, v26
	s_delay_alu instid0(VALU_DEP_2) | instskip(NEXT) | instid1(VALU_DEP_2)
	v_mul_f32_e32 v31, v28, v27
	v_fma_f32 v32, -v13, v29, v30
	s_delay_alu instid0(VALU_DEP_2) | instskip(NEXT) | instid1(VALU_DEP_2)
	v_fma_f32 v33, -v14, v31, v28
	v_fmac_f32_e32 v29, v32, v26
	s_delay_alu instid0(VALU_DEP_2) | instskip(NEXT) | instid1(VALU_DEP_2)
	v_fmac_f32_e32 v31, v33, v27
	v_fma_f32 v13, -v13, v29, v30
	s_delay_alu instid0(VALU_DEP_2) | instskip(NEXT) | instid1(VALU_DEP_2)
	v_fma_f32 v14, -v14, v31, v28
	v_div_fmas_f32 v13, v13, v26, v29
	s_mov_b32 vcc_lo, s2
	s_delay_alu instid0(VALU_DEP_2) | instskip(NEXT) | instid1(VALU_DEP_2)
	v_div_fmas_f32 v26, v14, v27, v31
	v_div_fixup_f32 v14, v13, v15, s10
	s_delay_alu instid0(VALU_DEP_2)
	v_div_fixup_f32 v13, v26, v16, s11
.LBB85_61:                              ;   in Loop: Header=BB85_5 Depth=1
	s_or_b32 exec_lo, exec_lo, s25
.LBB85_62:                              ;   in Loop: Header=BB85_5 Depth=1
	s_and_not1_saveexec_b32 s2, s3
	s_cbranch_execz .LBB85_64
; %bb.63:                               ;   in Loop: Header=BB85_5 Depth=1
	v_div_scale_f32 v13, null, v10, v10, v9
	v_div_scale_f32 v16, vcc_lo, v9, v10, v9
	s_delay_alu instid0(VALU_DEP_2) | instskip(SKIP_2) | instid1(VALU_DEP_1)
	v_rcp_f32_e32 v14, v13
	s_waitcnt_depctr 0xfff
	v_fma_f32 v15, -v13, v14, 1.0
	v_fmac_f32_e32 v14, v15, v14
	s_delay_alu instid0(VALU_DEP_1) | instskip(NEXT) | instid1(VALU_DEP_1)
	v_mul_f32_e32 v15, v16, v14
	v_fma_f32 v26, -v13, v15, v16
	s_delay_alu instid0(VALU_DEP_1) | instskip(NEXT) | instid1(VALU_DEP_1)
	v_fmac_f32_e32 v15, v26, v14
	v_fma_f32 v13, -v13, v15, v16
	s_delay_alu instid0(VALU_DEP_1) | instskip(NEXT) | instid1(VALU_DEP_1)
	v_div_fmas_f32 v13, v13, v14, v15
	v_div_fixup_f32 v13, v13, v10, v9
	s_delay_alu instid0(VALU_DEP_1) | instskip(NEXT) | instid1(VALU_DEP_1)
	v_fma_f32 v9, v9, v13, v10
	v_div_scale_f32 v10, null, v9, v9, 1.0
	v_div_scale_f32 v16, vcc_lo, 1.0, v9, 1.0
	s_delay_alu instid0(VALU_DEP_2) | instskip(SKIP_2) | instid1(VALU_DEP_1)
	v_rcp_f32_e32 v14, v10
	s_waitcnt_depctr 0xfff
	v_fma_f32 v15, -v10, v14, 1.0
	v_fmac_f32_e32 v14, v15, v14
	s_delay_alu instid0(VALU_DEP_1) | instskip(NEXT) | instid1(VALU_DEP_1)
	v_mul_f32_e32 v15, v16, v14
	v_fma_f32 v26, -v10, v15, v16
	s_delay_alu instid0(VALU_DEP_1) | instskip(NEXT) | instid1(VALU_DEP_1)
	v_fmac_f32_e32 v15, v26, v14
	v_fma_f32 v10, -v10, v15, v16
	s_delay_alu instid0(VALU_DEP_1) | instskip(SKIP_1) | instid1(VALU_DEP_2)
	v_div_fmas_f32 v10, v10, v14, v15
	v_fma_f32 v14, v13, s10, s11
	v_div_fixup_f32 v9, v10, v9, 1.0
	v_fma_f32 v10, v13, s11, -s10
	s_delay_alu instid0(VALU_DEP_2) | instskip(NEXT) | instid1(VALU_DEP_2)
	v_mul_f32_e32 v14, v14, v9
	v_mul_f32_e32 v13, v10, v9
.LBB85_64:                              ;   in Loop: Header=BB85_5 Depth=1
	s_or_b32 exec_lo, exec_lo, s2
.LBB85_65:                              ;   in Loop: Header=BB85_5 Depth=1
	v_cmp_gt_f32_e32 vcc_lo, 0, v11
	v_cndmask_b32_e64 v9, v11, -v11, vcc_lo
	v_cmp_gt_f32_e32 vcc_lo, 0, v12
	v_cndmask_b32_e64 v10, v12, -v12, vcc_lo
	s_and_not1_b32 vcc_lo, exec_lo, s22
	s_delay_alu instid0(VALU_DEP_1)
	v_cmp_ge_f32_e64 s2, v9, v10
	s_cbranch_vccnz .LBB85_75
; %bb.66:                               ;   in Loop: Header=BB85_5 Depth=1
                                        ; implicit-def: $vgpr15
                                        ; implicit-def: $vgpr26
	s_delay_alu instid0(VALU_DEP_1) | instskip(NEXT) | instid1(SALU_CYCLE_1)
	s_and_saveexec_b32 s3, s2
	s_xor_b32 s25, exec_lo, s3
	s_cbranch_execz .LBB85_72
; %bb.67:                               ;   in Loop: Header=BB85_5 Depth=1
	v_cmp_neq_f32_e32 vcc_lo, 0, v11
	v_cmp_neq_f32_e64 s3, 0, v12
                                        ; implicit-def: $vgpr15
                                        ; implicit-def: $vgpr26
	s_delay_alu instid0(VALU_DEP_1) | instskip(NEXT) | instid1(SALU_CYCLE_1)
	s_or_b32 s3, vcc_lo, s3
	s_and_saveexec_b32 s26, s3
	s_delay_alu instid0(SALU_CYCLE_1)
	s_xor_b32 s3, exec_lo, s26
	s_cbranch_execz .LBB85_69
; %bb.68:                               ;   in Loop: Header=BB85_5 Depth=1
	v_div_scale_f32 v15, null, v11, v11, v12
	v_div_scale_f32 v27, vcc_lo, v12, v11, v12
	s_delay_alu instid0(VALU_DEP_2) | instskip(SKIP_2) | instid1(VALU_DEP_1)
	v_rcp_f32_e32 v16, v15
	s_waitcnt_depctr 0xfff
	v_fma_f32 v26, -v15, v16, 1.0
	v_fmac_f32_e32 v16, v26, v16
	s_delay_alu instid0(VALU_DEP_1) | instskip(NEXT) | instid1(VALU_DEP_1)
	v_mul_f32_e32 v26, v27, v16
	v_fma_f32 v28, -v15, v26, v27
	s_delay_alu instid0(VALU_DEP_1) | instskip(NEXT) | instid1(VALU_DEP_1)
	v_fmac_f32_e32 v26, v28, v16
	v_fma_f32 v15, -v15, v26, v27
	s_delay_alu instid0(VALU_DEP_1) | instskip(NEXT) | instid1(VALU_DEP_1)
	v_div_fmas_f32 v15, v15, v16, v26
	v_div_fixup_f32 v15, v15, v11, v12
	s_delay_alu instid0(VALU_DEP_1) | instskip(NEXT) | instid1(VALU_DEP_1)
	v_fma_f32 v16, v12, v15, v11
	v_div_scale_f32 v26, null, v16, v16, 1.0
	v_div_scale_f32 v29, vcc_lo, 1.0, v16, 1.0
	s_delay_alu instid0(VALU_DEP_2) | instskip(SKIP_2) | instid1(VALU_DEP_1)
	v_rcp_f32_e32 v27, v26
	s_waitcnt_depctr 0xfff
	v_fma_f32 v28, -v26, v27, 1.0
	v_fmac_f32_e32 v27, v28, v27
	s_delay_alu instid0(VALU_DEP_1) | instskip(NEXT) | instid1(VALU_DEP_1)
	v_mul_f32_e32 v28, v29, v27
	v_fma_f32 v30, -v26, v28, v29
	s_delay_alu instid0(VALU_DEP_1) | instskip(NEXT) | instid1(VALU_DEP_1)
	v_fmac_f32_e32 v28, v30, v27
	v_fma_f32 v26, -v26, v28, v29
	s_delay_alu instid0(VALU_DEP_1) | instskip(SKIP_2) | instid1(VALU_DEP_3)
	v_div_fmas_f32 v26, v26, v27, v28
	v_fma_f32 v27, v15, s11, s10
	v_fma_f32 v15, -v15, s10, s11
	v_div_fixup_f32 v16, v26, v16, 1.0
	s_delay_alu instid0(VALU_DEP_1) | instskip(NEXT) | instid1(VALU_DEP_4)
	v_mul_f32_e32 v15, v15, v16
	v_mul_f32_e32 v26, v27, v16
.LBB85_69:                              ;   in Loop: Header=BB85_5 Depth=1
	s_and_not1_saveexec_b32 s26, s3
	s_cbranch_execz .LBB85_71
; %bb.70:                               ;   in Loop: Header=BB85_5 Depth=1
	v_div_scale_f32 v15, null, v9, v9, s10
	v_div_scale_f32 v16, null, v10, v10, s11
	v_div_scale_f32 v30, vcc_lo, s10, v9, s10
	s_delay_alu instid0(VALU_DEP_3) | instskip(NEXT) | instid1(VALU_DEP_2)
	v_rcp_f32_e32 v26, v15
	v_rcp_f32_e32 v27, v16
	s_waitcnt_depctr 0xfff
	v_fma_f32 v28, -v15, v26, 1.0
	v_fma_f32 v29, -v16, v27, 1.0
	s_delay_alu instid0(VALU_DEP_1) | instskip(SKIP_1) | instid1(VALU_DEP_2)
	v_dual_fmac_f32 v26, v28, v26 :: v_dual_fmac_f32 v27, v29, v27
	v_div_scale_f32 v28, s3, s11, v10, s11
	v_mul_f32_e32 v29, v30, v26
	s_delay_alu instid0(VALU_DEP_2) | instskip(NEXT) | instid1(VALU_DEP_2)
	v_mul_f32_e32 v31, v28, v27
	v_fma_f32 v32, -v15, v29, v30
	s_delay_alu instid0(VALU_DEP_2) | instskip(NEXT) | instid1(VALU_DEP_2)
	v_fma_f32 v33, -v16, v31, v28
	v_fmac_f32_e32 v29, v32, v26
	s_delay_alu instid0(VALU_DEP_2) | instskip(NEXT) | instid1(VALU_DEP_2)
	v_fmac_f32_e32 v31, v33, v27
	v_fma_f32 v15, -v15, v29, v30
	s_delay_alu instid0(VALU_DEP_2) | instskip(NEXT) | instid1(VALU_DEP_2)
	v_fma_f32 v16, -v16, v31, v28
	v_div_fmas_f32 v15, v15, v26, v29
	s_mov_b32 vcc_lo, s3
	s_delay_alu instid0(VALU_DEP_2) | instskip(NEXT) | instid1(VALU_DEP_2)
	v_div_fmas_f32 v16, v16, v27, v31
	v_div_fixup_f32 v26, v15, v9, s10
	s_delay_alu instid0(VALU_DEP_2)
	v_div_fixup_f32 v15, v16, v10, s11
.LBB85_71:                              ;   in Loop: Header=BB85_5 Depth=1
	s_or_b32 exec_lo, exec_lo, s26
.LBB85_72:                              ;   in Loop: Header=BB85_5 Depth=1
	s_and_not1_saveexec_b32 s3, s25
	s_cbranch_execz .LBB85_74
; %bb.73:                               ;   in Loop: Header=BB85_5 Depth=1
	v_div_scale_f32 v15, null, v12, v12, v11
	v_div_scale_f32 v27, vcc_lo, v11, v12, v11
	s_delay_alu instid0(VALU_DEP_2) | instskip(SKIP_2) | instid1(VALU_DEP_1)
	v_rcp_f32_e32 v16, v15
	s_waitcnt_depctr 0xfff
	v_fma_f32 v26, -v15, v16, 1.0
	v_fmac_f32_e32 v16, v26, v16
	s_delay_alu instid0(VALU_DEP_1) | instskip(NEXT) | instid1(VALU_DEP_1)
	v_mul_f32_e32 v26, v27, v16
	v_fma_f32 v28, -v15, v26, v27
	s_delay_alu instid0(VALU_DEP_1) | instskip(NEXT) | instid1(VALU_DEP_1)
	v_fmac_f32_e32 v26, v28, v16
	v_fma_f32 v15, -v15, v26, v27
	s_delay_alu instid0(VALU_DEP_1) | instskip(NEXT) | instid1(VALU_DEP_1)
	v_div_fmas_f32 v15, v15, v16, v26
	v_div_fixup_f32 v15, v15, v12, v11
	s_delay_alu instid0(VALU_DEP_1) | instskip(NEXT) | instid1(VALU_DEP_1)
	v_fma_f32 v16, v11, v15, v12
	v_div_scale_f32 v26, null, v16, v16, 1.0
	v_div_scale_f32 v29, vcc_lo, 1.0, v16, 1.0
	s_delay_alu instid0(VALU_DEP_2) | instskip(SKIP_2) | instid1(VALU_DEP_1)
	v_rcp_f32_e32 v27, v26
	s_waitcnt_depctr 0xfff
	v_fma_f32 v28, -v26, v27, 1.0
	v_fmac_f32_e32 v27, v28, v27
	s_delay_alu instid0(VALU_DEP_1) | instskip(NEXT) | instid1(VALU_DEP_1)
	v_mul_f32_e32 v28, v29, v27
	v_fma_f32 v30, -v26, v28, v29
	s_delay_alu instid0(VALU_DEP_1) | instskip(NEXT) | instid1(VALU_DEP_1)
	v_fmac_f32_e32 v28, v30, v27
	v_fma_f32 v26, -v26, v28, v29
	s_delay_alu instid0(VALU_DEP_1) | instskip(SKIP_2) | instid1(VALU_DEP_3)
	v_div_fmas_f32 v26, v26, v27, v28
	v_fma_f32 v27, v15, s10, s11
	v_fma_f32 v15, v15, s11, -s10
	v_div_fixup_f32 v16, v26, v16, 1.0
	s_delay_alu instid0(VALU_DEP_1) | instskip(NEXT) | instid1(VALU_DEP_4)
	v_mul_f32_e32 v15, v15, v16
	v_mul_f32_e32 v26, v27, v16
.LBB85_74:                              ;   in Loop: Header=BB85_5 Depth=1
	s_or_b32 exec_lo, exec_lo, s3
	s_delay_alu instid0(VALU_DEP_1) | instskip(SKIP_1) | instid1(VALU_DEP_1)
	v_mul_f32_e32 v16, s5, v15
	v_mul_f32_e32 v15, s4, v15
	v_fmac_f32_e32 v15, s5, v26
	s_delay_alu instid0(VALU_DEP_3)
	v_fma_f32 v16, v26, s4, -v16
	s_branch .LBB85_4
.LBB85_75:                              ;   in Loop: Header=BB85_5 Depth=1
                                        ; implicit-def: $vgpr15
                                        ; implicit-def: $vgpr16
	s_cbranch_execz .LBB85_4
; %bb.76:                               ;   in Loop: Header=BB85_5 Depth=1
                                        ; implicit-def: $vgpr15
                                        ; implicit-def: $vgpr16
	s_delay_alu instid0(VALU_DEP_1) | instskip(NEXT) | instid1(SALU_CYCLE_1)
	s_and_saveexec_b32 s3, s2
	s_xor_b32 s3, exec_lo, s3
	s_cbranch_execz .LBB85_82
; %bb.77:                               ;   in Loop: Header=BB85_5 Depth=1
	v_cmp_neq_f32_e32 vcc_lo, 0, v11
	v_cmp_neq_f32_e64 s2, 0, v12
                                        ; implicit-def: $vgpr15
                                        ; implicit-def: $vgpr16
	s_delay_alu instid0(VALU_DEP_1) | instskip(NEXT) | instid1(SALU_CYCLE_1)
	s_or_b32 s2, vcc_lo, s2
	s_and_saveexec_b32 s25, s2
	s_delay_alu instid0(SALU_CYCLE_1)
	s_xor_b32 s2, exec_lo, s25
	s_cbranch_execz .LBB85_79
; %bb.78:                               ;   in Loop: Header=BB85_5 Depth=1
	v_div_scale_f32 v9, null, v11, v11, v12
	v_div_scale_f32 v16, vcc_lo, v12, v11, v12
	s_delay_alu instid0(VALU_DEP_2) | instskip(SKIP_2) | instid1(VALU_DEP_1)
	v_rcp_f32_e32 v10, v9
	s_waitcnt_depctr 0xfff
	v_fma_f32 v15, -v9, v10, 1.0
	v_fmac_f32_e32 v10, v15, v10
	s_delay_alu instid0(VALU_DEP_1) | instskip(NEXT) | instid1(VALU_DEP_1)
	v_mul_f32_e32 v15, v16, v10
	v_fma_f32 v26, -v9, v15, v16
	s_delay_alu instid0(VALU_DEP_1) | instskip(NEXT) | instid1(VALU_DEP_1)
	v_fmac_f32_e32 v15, v26, v10
	v_fma_f32 v9, -v9, v15, v16
	s_delay_alu instid0(VALU_DEP_1) | instskip(NEXT) | instid1(VALU_DEP_1)
	v_div_fmas_f32 v9, v9, v10, v15
	v_div_fixup_f32 v9, v9, v11, v12
	s_delay_alu instid0(VALU_DEP_1) | instskip(NEXT) | instid1(VALU_DEP_1)
	v_fmac_f32_e32 v11, v12, v9
	v_div_scale_f32 v10, null, v11, v11, 1.0
	v_div_scale_f32 v16, vcc_lo, 1.0, v11, 1.0
	s_delay_alu instid0(VALU_DEP_2) | instskip(SKIP_2) | instid1(VALU_DEP_1)
	v_rcp_f32_e32 v12, v10
	s_waitcnt_depctr 0xfff
	v_fma_f32 v15, -v10, v12, 1.0
	v_fmac_f32_e32 v12, v15, v12
	s_delay_alu instid0(VALU_DEP_1) | instskip(NEXT) | instid1(VALU_DEP_1)
	v_mul_f32_e32 v15, v16, v12
	v_fma_f32 v26, -v10, v15, v16
	s_delay_alu instid0(VALU_DEP_1) | instskip(NEXT) | instid1(VALU_DEP_1)
	v_fmac_f32_e32 v15, v26, v12
	v_fma_f32 v10, -v10, v15, v16
	s_delay_alu instid0(VALU_DEP_1) | instskip(SKIP_2) | instid1(VALU_DEP_3)
	v_div_fmas_f32 v10, v10, v12, v15
	v_fma_f32 v12, v9, s11, s10
	v_fma_f32 v9, -v9, s10, s11
	v_div_fixup_f32 v10, v10, v11, 1.0
	s_delay_alu instid0(VALU_DEP_1) | instskip(NEXT) | instid1(VALU_DEP_3)
	v_mul_f32_e32 v16, v12, v10
	v_mul_f32_e32 v15, v9, v10
                                        ; implicit-def: $vgpr9
                                        ; implicit-def: $vgpr10
.LBB85_79:                              ;   in Loop: Header=BB85_5 Depth=1
	s_and_not1_saveexec_b32 s25, s2
	s_cbranch_execz .LBB85_81
; %bb.80:                               ;   in Loop: Header=BB85_5 Depth=1
	v_div_scale_f32 v11, null, v9, v9, s10
	v_div_scale_f32 v12, null, v10, v10, s11
	v_div_scale_f32 v28, vcc_lo, s10, v9, s10
	s_delay_alu instid0(VALU_DEP_3) | instskip(NEXT) | instid1(VALU_DEP_2)
	v_rcp_f32_e32 v15, v11
	v_rcp_f32_e32 v16, v12
	s_waitcnt_depctr 0xfff
	v_fma_f32 v26, -v11, v15, 1.0
	v_fma_f32 v27, -v12, v16, 1.0
	s_delay_alu instid0(VALU_DEP_1) | instskip(SKIP_1) | instid1(VALU_DEP_2)
	v_dual_fmac_f32 v15, v26, v15 :: v_dual_fmac_f32 v16, v27, v16
	v_div_scale_f32 v26, s2, s11, v10, s11
	v_mul_f32_e32 v27, v28, v15
	s_delay_alu instid0(VALU_DEP_2) | instskip(NEXT) | instid1(VALU_DEP_2)
	v_mul_f32_e32 v29, v26, v16
	v_fma_f32 v30, -v11, v27, v28
	s_delay_alu instid0(VALU_DEP_2) | instskip(NEXT) | instid1(VALU_DEP_2)
	v_fma_f32 v31, -v12, v29, v26
	v_fmac_f32_e32 v27, v30, v15
	s_delay_alu instid0(VALU_DEP_2) | instskip(NEXT) | instid1(VALU_DEP_2)
	v_fmac_f32_e32 v29, v31, v16
	v_fma_f32 v11, -v11, v27, v28
	s_delay_alu instid0(VALU_DEP_2) | instskip(NEXT) | instid1(VALU_DEP_2)
	v_fma_f32 v12, -v12, v29, v26
	v_div_fmas_f32 v11, v11, v15, v27
	s_mov_b32 vcc_lo, s2
	s_delay_alu instid0(VALU_DEP_2) | instskip(NEXT) | instid1(VALU_DEP_2)
	v_div_fmas_f32 v12, v12, v16, v29
	v_div_fixup_f32 v16, v11, v9, s10
	s_delay_alu instid0(VALU_DEP_2)
	v_div_fixup_f32 v15, v12, v10, s11
.LBB85_81:                              ;   in Loop: Header=BB85_5 Depth=1
	s_or_b32 exec_lo, exec_lo, s25
                                        ; implicit-def: $vgpr9_vgpr10_vgpr11_vgpr12
.LBB85_82:                              ;   in Loop: Header=BB85_5 Depth=1
	s_and_not1_saveexec_b32 s2, s3
	s_cbranch_execz .LBB85_3
; %bb.83:                               ;   in Loop: Header=BB85_5 Depth=1
	v_div_scale_f32 v9, null, v12, v12, v11
	v_div_scale_f32 v16, vcc_lo, v11, v12, v11
	s_delay_alu instid0(VALU_DEP_2) | instskip(SKIP_2) | instid1(VALU_DEP_1)
	v_rcp_f32_e32 v10, v9
	s_waitcnt_depctr 0xfff
	v_fma_f32 v15, -v9, v10, 1.0
	v_fmac_f32_e32 v10, v15, v10
	s_delay_alu instid0(VALU_DEP_1) | instskip(NEXT) | instid1(VALU_DEP_1)
	v_mul_f32_e32 v15, v16, v10
	v_fma_f32 v26, -v9, v15, v16
	s_delay_alu instid0(VALU_DEP_1) | instskip(NEXT) | instid1(VALU_DEP_1)
	v_fmac_f32_e32 v15, v26, v10
	v_fma_f32 v9, -v9, v15, v16
	s_delay_alu instid0(VALU_DEP_1) | instskip(NEXT) | instid1(VALU_DEP_1)
	v_div_fmas_f32 v9, v9, v10, v15
	v_div_fixup_f32 v9, v9, v12, v11
	s_delay_alu instid0(VALU_DEP_1) | instskip(NEXT) | instid1(VALU_DEP_1)
	v_fmac_f32_e32 v12, v11, v9
	v_div_scale_f32 v10, null, v12, v12, 1.0
	v_div_scale_f32 v16, vcc_lo, 1.0, v12, 1.0
	s_delay_alu instid0(VALU_DEP_2) | instskip(SKIP_2) | instid1(VALU_DEP_1)
	v_rcp_f32_e32 v11, v10
	s_waitcnt_depctr 0xfff
	v_fma_f32 v15, -v10, v11, 1.0
	v_fmac_f32_e32 v11, v15, v11
	s_delay_alu instid0(VALU_DEP_1) | instskip(NEXT) | instid1(VALU_DEP_1)
	v_mul_f32_e32 v15, v16, v11
	v_fma_f32 v26, -v10, v15, v16
	s_delay_alu instid0(VALU_DEP_1) | instskip(NEXT) | instid1(VALU_DEP_1)
	v_fmac_f32_e32 v15, v26, v11
	v_fma_f32 v10, -v10, v15, v16
	s_delay_alu instid0(VALU_DEP_1) | instskip(SKIP_2) | instid1(VALU_DEP_3)
	v_div_fmas_f32 v10, v10, v11, v15
	v_fma_f32 v11, v9, s10, s11
	v_fma_f32 v9, v9, s11, -s10
	v_div_fixup_f32 v10, v10, v12, 1.0
	s_delay_alu instid0(VALU_DEP_1) | instskip(NEXT) | instid1(VALU_DEP_3)
	v_mul_f32_e32 v16, v11, v10
	v_mul_f32_e32 v15, v9, v10
	s_branch .LBB85_3
.LBB85_84:
	s_or_b32 exec_lo, exec_lo, s20
	s_mov_b32 s2, 0
.LBB85_85:
	s_delay_alu instid0(SALU_CYCLE_1)
	s_and_not1_b32 vcc_lo, exec_lo, s2
	s_cbranch_vccnz .LBB85_185
; %bb.86:
	v_cmp_lt_i64_e64 s2, s[8:9], 1
	s_delay_alu instid0(VALU_DEP_1)
	s_and_b32 vcc_lo, exec_lo, s2
	s_cbranch_vccnz .LBB85_185
; %bb.87:
	s_load_b32 s0, s[0:1], 0xc64
	v_dual_mov_b32 v1, 0 :: v_dual_lshlrev_b32 v6, 3, v0
	s_and_b32 s2, s5, 0x7fffffff
	v_cmp_neq_f32_e64 s1, s4, 1.0
	v_cmp_gt_u64_e64 s12, 0x10000, s[8:9]
	s_delay_alu instid0(VALU_DEP_3) | instskip(SKIP_2) | instid1(VALU_DEP_2)
	v_or_b32_e32 v2, 4, v6
	v_mov_b32_e32 v3, v1
	s_mov_b32 s3, 0
	v_add_co_u32 v24, s13, s16, v2
	s_delay_alu instid0(VALU_DEP_1)
	v_add_co_ci_u32_e64 v25, null, s17, 0, s13
	s_waitcnt lgkmcnt(0)
	s_and_b32 s18, s0, 0xffff
	s_cmp_lg_u32 s2, 0
	v_add_lshl_u32 v7, v0, s18, 3
	s_cselect_b32 s0, -1, 0
	v_mad_u64_u32 v[4:5], null, s18, 24, v[2:3]
	s_or_b32 s20, s1, s0
	s_and_b32 s0, s12, exec_lo
	v_add_co_u32 v26, s0, s14, v7
	s_delay_alu instid0(VALU_DEP_1) | instskip(SKIP_1) | instid1(VALU_DEP_1)
	v_add_co_ci_u32_e64 v27, null, s15, 0, s0
	v_add_co_u32 v28, s0, s14, v2
	v_add_co_ci_u32_e64 v29, null, s15, 0, s0
	v_add_co_u32 v30, s0, s16, v7
	s_cselect_b32 s13, s9, 0
	s_cselect_b32 s12, s8, 0x10000
	v_add_co_ci_u32_e64 v31, null, s17, 0, s0
	s_lshl_b32 s0, s18, 4
	v_add_co_u32 v32, vcc_lo, s16, v4
	v_add_co_u32 v2, s0, s0, v6
	v_add_co_ci_u32_e32 v33, vcc_lo, s17, v5, vcc_lo
	v_add_co_ci_u32_e64 v3, null, 0, 0, s0
	v_add_co_u32 v34, vcc_lo, s14, v4
	v_add_co_ci_u32_e32 v35, vcc_lo, s15, v5, vcc_lo
	v_add_co_u32 v4, vcc_lo, v2, s16
	s_delay_alu instid0(VALU_DEP_4) | instskip(SKIP_2) | instid1(VALU_DEP_4)
	v_add_co_ci_u32_e32 v5, vcc_lo, s17, v3, vcc_lo
	v_add_co_u32 v36, vcc_lo, s14, v2
	v_add_co_ci_u32_e32 v37, vcc_lo, s15, v3, vcc_lo
	v_add_co_u32 v38, vcc_lo, v4, 4
	s_delay_alu instid0(VALU_DEP_4)
	v_add_co_ci_u32_e32 v39, vcc_lo, 0, v5, vcc_lo
	s_lshl_b32 s2, s18, 2
	s_mul_i32 s19, s18, 3
	s_lshl_b32 s21, s18, 1
	s_lshl_b32 s16, s18, 5
	s_mov_b64 s[14:15], s[2:3]
	s_branch .LBB85_89
.LBB85_88:                              ;   in Loop: Header=BB85_89 Depth=1
	s_or_b32 exec_lo, exec_lo, s0
	v_add_co_u32 v0, vcc_lo, v0, s2
	v_add_co_ci_u32_e32 v1, vcc_lo, 0, v1, vcc_lo
	v_add_co_u32 v24, vcc_lo, v24, s16
	v_add_co_ci_u32_e32 v25, vcc_lo, 0, v25, vcc_lo
	;; [unrolled: 2-line block ×7, first 2 shown]
	v_cmp_ge_i64_e64 s0, s[14:15], s[8:9]
	v_cmp_lt_u64_e64 s1, 0xffff, s[14:15]
	v_add_co_u32 v36, vcc_lo, v36, s16
	v_add_co_ci_u32_e32 v37, vcc_lo, 0, v37, vcc_lo
	v_add_co_u32 v38, vcc_lo, v38, s16
	v_add_co_ci_u32_e32 v39, vcc_lo, 0, v39, vcc_lo
	s_or_b32 s0, s0, s1
	s_add_u32 s14, s14, s2
	s_addc_u32 s15, s15, 0
	s_and_b32 vcc_lo, exec_lo, s0
	s_cbranch_vccnz .LBB85_185
.LBB85_89:                              ; =>This Inner Loop Header: Depth=1
	v_cmp_gt_i64_e32 vcc_lo, s[8:9], v[0:1]
	v_cmp_gt_u64_e64 s0, 0x10000, v[0:1]
	v_dual_mov_b32 v23, 0 :: v_dual_mov_b32 v22, 0
	v_dual_mov_b32 v3, 0 :: v_dual_mov_b32 v2, 0
	s_delay_alu instid0(VALU_DEP_3) | instskip(NEXT) | instid1(SALU_CYCLE_1)
	s_and_b32 s1, vcc_lo, s0
	s_and_saveexec_b32 s0, s1
	s_cbranch_execz .LBB85_91
; %bb.90:                               ;   in Loop: Header=BB85_89 Depth=1
	v_add_co_u32 v2, vcc_lo, v28, s6
	v_add_co_ci_u32_e32 v3, vcc_lo, s7, v29, vcc_lo
	v_add_co_u32 v4, vcc_lo, v24, s6
	v_add_co_ci_u32_e32 v5, vcc_lo, s7, v25, vcc_lo
	global_load_b64 v[2:3], v[2:3], off offset:-4
	global_load_b64 v[22:23], v[4:5], off offset:-4
.LBB85_91:                              ;   in Loop: Header=BB85_89 Depth=1
	s_or_b32 exec_lo, exec_lo, s0
	v_add_co_u32 v4, vcc_lo, s18, v0
	v_add_co_ci_u32_e32 v5, vcc_lo, 0, v1, vcc_lo
	v_dual_mov_b32 v19, 0 :: v_dual_mov_b32 v20, 0
	v_dual_mov_b32 v21, 0 :: v_dual_mov_b32 v6, 0
	s_delay_alu instid0(VALU_DEP_3) | instskip(SKIP_2) | instid1(VALU_DEP_2)
	v_cmp_gt_i64_e32 vcc_lo, s[8:9], v[4:5]
	v_cmp_gt_u64_e64 s0, 0x10000, v[4:5]
	v_mov_b32_e32 v7, 0
	s_and_b32 s1, vcc_lo, s0
	s_delay_alu instid0(SALU_CYCLE_1)
	s_and_saveexec_b32 s0, s1
	s_cbranch_execz .LBB85_93
; %bb.92:                               ;   in Loop: Header=BB85_89 Depth=1
	v_add_co_u32 v6, vcc_lo, v26, s6
	v_add_co_ci_u32_e32 v7, vcc_lo, s7, v27, vcc_lo
	v_add_co_u32 v8, vcc_lo, v30, s6
	v_add_co_ci_u32_e32 v9, vcc_lo, s7, v31, vcc_lo
	global_load_b64 v[6:7], v[6:7], off
	global_load_b64 v[20:21], v[8:9], off
.LBB85_93:                              ;   in Loop: Header=BB85_89 Depth=1
	s_or_b32 exec_lo, exec_lo, s0
	v_add_co_u32 v8, vcc_lo, s21, v0
	v_add_co_ci_u32_e32 v9, vcc_lo, 0, v1, vcc_lo
	v_dual_mov_b32 v18, 0 :: v_dual_mov_b32 v11, 0
	v_mov_b32_e32 v10, 0
	s_delay_alu instid0(VALU_DEP_3) | instskip(SKIP_1) | instid1(VALU_DEP_1)
	v_cmp_gt_i64_e32 vcc_lo, s[8:9], v[8:9]
	v_cmp_gt_u64_e64 s0, 0x10000, v[8:9]
	s_and_b32 s1, vcc_lo, s0
	s_delay_alu instid0(SALU_CYCLE_1)
	s_and_saveexec_b32 s0, s1
	s_cbranch_execz .LBB85_95
; %bb.94:                               ;   in Loop: Header=BB85_89 Depth=1
	v_add_co_u32 v10, vcc_lo, v36, s6
	v_add_co_ci_u32_e32 v11, vcc_lo, s7, v37, vcc_lo
	v_add_co_u32 v12, vcc_lo, v38, s6
	v_add_co_ci_u32_e32 v13, vcc_lo, s7, v39, vcc_lo
	global_load_b64 v[10:11], v[10:11], off
	global_load_b64 v[18:19], v[12:13], off offset:-4
.LBB85_95:                              ;   in Loop: Header=BB85_89 Depth=1
	s_or_b32 exec_lo, exec_lo, s0
	v_add_co_u32 v12, vcc_lo, s19, v0
	v_add_co_ci_u32_e32 v13, vcc_lo, 0, v1, vcc_lo
	v_dual_mov_b32 v17, 0 :: v_dual_mov_b32 v16, 0
	v_dual_mov_b32 v15, 0 :: v_dual_mov_b32 v14, 0
	s_delay_alu instid0(VALU_DEP_3) | instskip(SKIP_1) | instid1(VALU_DEP_1)
	v_cmp_gt_i64_e32 vcc_lo, s[8:9], v[12:13]
	v_cmp_gt_u64_e64 s0, 0x10000, v[12:13]
	s_and_b32 s1, vcc_lo, s0
	s_delay_alu instid0(SALU_CYCLE_1)
	s_and_saveexec_b32 s0, s1
	s_cbranch_execz .LBB85_97
; %bb.96:                               ;   in Loop: Header=BB85_89 Depth=1
	v_add_co_u32 v14, vcc_lo, v34, s6
	v_add_co_ci_u32_e32 v15, vcc_lo, s7, v35, vcc_lo
	v_add_co_u32 v16, vcc_lo, v32, s6
	v_add_co_ci_u32_e32 v17, vcc_lo, s7, v33, vcc_lo
	global_load_b64 v[14:15], v[14:15], off offset:-4
	global_load_b64 v[16:17], v[16:17], off offset:-4
.LBB85_97:                              ;   in Loop: Header=BB85_89 Depth=1
	s_or_b32 exec_lo, exec_lo, s0
	s_waitcnt vmcnt(0)
	v_cmp_gt_f32_e32 vcc_lo, 0, v22
	v_cndmask_b32_e64 v42, v22, -v22, vcc_lo
	v_cmp_gt_f32_e32 vcc_lo, 0, v23
	v_cndmask_b32_e64 v43, v23, -v23, vcc_lo
	s_and_b32 vcc_lo, exec_lo, s20
	s_delay_alu instid0(VALU_DEP_1)
	v_cmp_ge_f32_e64 s0, v42, v43
	s_cbranch_vccz .LBB85_107
; %bb.98:                               ;   in Loop: Header=BB85_89 Depth=1
                                        ; implicit-def: $vgpr40
                                        ; implicit-def: $vgpr44
	s_delay_alu instid0(VALU_DEP_1) | instskip(NEXT) | instid1(SALU_CYCLE_1)
	s_and_saveexec_b32 s1, s0
	s_xor_b32 s3, exec_lo, s1
	s_cbranch_execz .LBB85_104
; %bb.99:                               ;   in Loop: Header=BB85_89 Depth=1
	v_cmp_neq_f32_e32 vcc_lo, 0, v22
	v_cmp_neq_f32_e64 s1, 0, v23
                                        ; implicit-def: $vgpr40
                                        ; implicit-def: $vgpr44
	s_delay_alu instid0(VALU_DEP_1) | instskip(NEXT) | instid1(SALU_CYCLE_1)
	s_or_b32 s1, s1, vcc_lo
	s_and_saveexec_b32 s17, s1
	s_delay_alu instid0(SALU_CYCLE_1)
	s_xor_b32 s1, exec_lo, s17
	s_cbranch_execz .LBB85_101
; %bb.100:                              ;   in Loop: Header=BB85_89 Depth=1
	v_div_scale_f32 v40, null, v22, v22, v23
	v_div_scale_f32 v45, vcc_lo, v23, v22, v23
	s_delay_alu instid0(VALU_DEP_2) | instskip(SKIP_2) | instid1(VALU_DEP_1)
	v_rcp_f32_e32 v41, v40
	s_waitcnt_depctr 0xfff
	v_fma_f32 v44, -v40, v41, 1.0
	v_fmac_f32_e32 v41, v44, v41
	s_delay_alu instid0(VALU_DEP_1) | instskip(NEXT) | instid1(VALU_DEP_1)
	v_mul_f32_e32 v44, v45, v41
	v_fma_f32 v46, -v40, v44, v45
	s_delay_alu instid0(VALU_DEP_1) | instskip(NEXT) | instid1(VALU_DEP_1)
	v_fmac_f32_e32 v44, v46, v41
	v_fma_f32 v40, -v40, v44, v45
	s_delay_alu instid0(VALU_DEP_1) | instskip(NEXT) | instid1(VALU_DEP_1)
	v_div_fmas_f32 v40, v40, v41, v44
	v_div_fixup_f32 v40, v40, v22, v23
	s_delay_alu instid0(VALU_DEP_1) | instskip(NEXT) | instid1(VALU_DEP_1)
	v_fma_f32 v41, v23, v40, v22
	v_div_scale_f32 v44, null, v41, v41, 1.0
	v_div_scale_f32 v47, vcc_lo, 1.0, v41, 1.0
	s_delay_alu instid0(VALU_DEP_2) | instskip(SKIP_2) | instid1(VALU_DEP_1)
	v_rcp_f32_e32 v45, v44
	s_waitcnt_depctr 0xfff
	v_fma_f32 v46, -v44, v45, 1.0
	v_fmac_f32_e32 v45, v46, v45
	s_delay_alu instid0(VALU_DEP_1) | instskip(NEXT) | instid1(VALU_DEP_1)
	v_mul_f32_e32 v46, v47, v45
	v_fma_f32 v48, -v44, v46, v47
	s_delay_alu instid0(VALU_DEP_1) | instskip(NEXT) | instid1(VALU_DEP_1)
	v_fmac_f32_e32 v46, v48, v45
	v_fma_f32 v44, -v44, v46, v47
	s_delay_alu instid0(VALU_DEP_1) | instskip(SKIP_2) | instid1(VALU_DEP_3)
	v_div_fmas_f32 v44, v44, v45, v46
	v_fma_f32 v45, v40, s11, s10
	v_fma_f32 v40, -v40, s10, s11
	v_div_fixup_f32 v41, v44, v41, 1.0
	s_delay_alu instid0(VALU_DEP_1) | instskip(NEXT) | instid1(VALU_DEP_3)
	v_mul_f32_e32 v44, v45, v41
	v_mul_f32_e32 v40, v40, v41
.LBB85_101:                             ;   in Loop: Header=BB85_89 Depth=1
	s_and_not1_saveexec_b32 s17, s1
	s_cbranch_execz .LBB85_103
; %bb.102:                              ;   in Loop: Header=BB85_89 Depth=1
	v_div_scale_f32 v40, null, v42, v42, s10
	v_div_scale_f32 v41, null, v43, v43, s11
	v_div_scale_f32 v48, vcc_lo, s10, v42, s10
	s_delay_alu instid0(VALU_DEP_3) | instskip(NEXT) | instid1(VALU_DEP_2)
	v_rcp_f32_e32 v44, v40
	v_rcp_f32_e32 v45, v41
	s_waitcnt_depctr 0xfff
	v_fma_f32 v46, -v40, v44, 1.0
	v_fma_f32 v47, -v41, v45, 1.0
	s_delay_alu instid0(VALU_DEP_1) | instskip(SKIP_1) | instid1(VALU_DEP_2)
	v_dual_fmac_f32 v44, v46, v44 :: v_dual_fmac_f32 v45, v47, v45
	v_div_scale_f32 v46, s1, s11, v43, s11
	v_mul_f32_e32 v47, v48, v44
	s_delay_alu instid0(VALU_DEP_2) | instskip(NEXT) | instid1(VALU_DEP_2)
	v_mul_f32_e32 v49, v46, v45
	v_fma_f32 v50, -v40, v47, v48
	s_delay_alu instid0(VALU_DEP_2) | instskip(NEXT) | instid1(VALU_DEP_2)
	v_fma_f32 v51, -v41, v49, v46
	v_fmac_f32_e32 v47, v50, v44
	s_delay_alu instid0(VALU_DEP_2) | instskip(NEXT) | instid1(VALU_DEP_2)
	v_fmac_f32_e32 v49, v51, v45
	v_fma_f32 v40, -v40, v47, v48
	s_delay_alu instid0(VALU_DEP_2) | instskip(NEXT) | instid1(VALU_DEP_2)
	v_fma_f32 v41, -v41, v49, v46
	v_div_fmas_f32 v40, v40, v44, v47
	s_mov_b32 vcc_lo, s1
	s_delay_alu instid0(VALU_DEP_2) | instskip(NEXT) | instid1(VALU_DEP_2)
	v_div_fmas_f32 v41, v41, v45, v49
	v_div_fixup_f32 v44, v40, v42, s10
	s_delay_alu instid0(VALU_DEP_2)
	v_div_fixup_f32 v40, v41, v43, s11
.LBB85_103:                             ;   in Loop: Header=BB85_89 Depth=1
	s_or_b32 exec_lo, exec_lo, s17
.LBB85_104:                             ;   in Loop: Header=BB85_89 Depth=1
	s_and_not1_saveexec_b32 s1, s3
	s_cbranch_execz .LBB85_106
; %bb.105:                              ;   in Loop: Header=BB85_89 Depth=1
	v_div_scale_f32 v40, null, v23, v23, v22
	v_div_scale_f32 v45, vcc_lo, v22, v23, v22
	s_delay_alu instid0(VALU_DEP_2) | instskip(SKIP_2) | instid1(VALU_DEP_1)
	v_rcp_f32_e32 v41, v40
	s_waitcnt_depctr 0xfff
	v_fma_f32 v44, -v40, v41, 1.0
	v_fmac_f32_e32 v41, v44, v41
	s_delay_alu instid0(VALU_DEP_1) | instskip(NEXT) | instid1(VALU_DEP_1)
	v_mul_f32_e32 v44, v45, v41
	v_fma_f32 v46, -v40, v44, v45
	s_delay_alu instid0(VALU_DEP_1) | instskip(NEXT) | instid1(VALU_DEP_1)
	v_fmac_f32_e32 v44, v46, v41
	v_fma_f32 v40, -v40, v44, v45
	s_delay_alu instid0(VALU_DEP_1) | instskip(NEXT) | instid1(VALU_DEP_1)
	v_div_fmas_f32 v40, v40, v41, v44
	v_div_fixup_f32 v40, v40, v23, v22
	s_delay_alu instid0(VALU_DEP_1) | instskip(NEXT) | instid1(VALU_DEP_1)
	v_fma_f32 v41, v22, v40, v23
	v_div_scale_f32 v44, null, v41, v41, 1.0
	v_div_scale_f32 v47, vcc_lo, 1.0, v41, 1.0
	s_delay_alu instid0(VALU_DEP_2) | instskip(SKIP_2) | instid1(VALU_DEP_1)
	v_rcp_f32_e32 v45, v44
	s_waitcnt_depctr 0xfff
	v_fma_f32 v46, -v44, v45, 1.0
	v_fmac_f32_e32 v45, v46, v45
	s_delay_alu instid0(VALU_DEP_1) | instskip(NEXT) | instid1(VALU_DEP_1)
	v_mul_f32_e32 v46, v47, v45
	v_fma_f32 v48, -v44, v46, v47
	s_delay_alu instid0(VALU_DEP_1) | instskip(NEXT) | instid1(VALU_DEP_1)
	v_fmac_f32_e32 v46, v48, v45
	v_fma_f32 v44, -v44, v46, v47
	s_delay_alu instid0(VALU_DEP_1) | instskip(SKIP_2) | instid1(VALU_DEP_3)
	v_div_fmas_f32 v44, v44, v45, v46
	v_fma_f32 v45, v40, s10, s11
	v_fma_f32 v40, v40, s11, -s10
	v_div_fixup_f32 v41, v44, v41, 1.0
	s_delay_alu instid0(VALU_DEP_1) | instskip(NEXT) | instid1(VALU_DEP_3)
	v_mul_f32_e32 v44, v45, v41
	v_mul_f32_e32 v40, v40, v41
.LBB85_106:                             ;   in Loop: Header=BB85_89 Depth=1
	s_or_b32 exec_lo, exec_lo, s1
	s_delay_alu instid0(VALU_DEP_1) | instskip(SKIP_1) | instid1(VALU_DEP_2)
	v_mul_f32_e32 v41, s5, v40
	v_mul_f32_e32 v40, s4, v40
	v_fma_f32 v41, v44, s4, -v41
	s_delay_alu instid0(VALU_DEP_2)
	v_fmac_f32_e32 v40, s5, v44
	s_branch .LBB85_117
.LBB85_107:                             ;   in Loop: Header=BB85_89 Depth=1
                                        ; implicit-def: $vgpr40
                                        ; implicit-def: $vgpr41
	s_cbranch_execz .LBB85_117
; %bb.108:                              ;   in Loop: Header=BB85_89 Depth=1
                                        ; implicit-def: $vgpr40
                                        ; implicit-def: $vgpr41
	s_delay_alu instid0(VALU_DEP_1) | instskip(NEXT) | instid1(SALU_CYCLE_1)
	s_and_saveexec_b32 s1, s0
	s_xor_b32 s1, exec_lo, s1
	s_cbranch_execz .LBB85_114
; %bb.109:                              ;   in Loop: Header=BB85_89 Depth=1
	v_cmp_neq_f32_e32 vcc_lo, 0, v22
	v_cmp_neq_f32_e64 s0, 0, v23
                                        ; implicit-def: $vgpr40
                                        ; implicit-def: $vgpr41
	s_delay_alu instid0(VALU_DEP_1) | instskip(NEXT) | instid1(SALU_CYCLE_1)
	s_or_b32 s0, s0, vcc_lo
	s_and_saveexec_b32 s3, s0
	s_delay_alu instid0(SALU_CYCLE_1)
	s_xor_b32 s0, exec_lo, s3
	s_cbranch_execz .LBB85_111
; %bb.110:                              ;   in Loop: Header=BB85_89 Depth=1
	v_div_scale_f32 v40, null, v22, v22, v23
	v_div_scale_f32 v43, vcc_lo, v23, v22, v23
	s_delay_alu instid0(VALU_DEP_2) | instskip(SKIP_2) | instid1(VALU_DEP_1)
	v_rcp_f32_e32 v41, v40
	s_waitcnt_depctr 0xfff
	v_fma_f32 v42, -v40, v41, 1.0
	v_fmac_f32_e32 v41, v42, v41
	s_delay_alu instid0(VALU_DEP_1) | instskip(NEXT) | instid1(VALU_DEP_1)
	v_mul_f32_e32 v42, v43, v41
	v_fma_f32 v44, -v40, v42, v43
	s_delay_alu instid0(VALU_DEP_1) | instskip(NEXT) | instid1(VALU_DEP_1)
	v_fmac_f32_e32 v42, v44, v41
	v_fma_f32 v40, -v40, v42, v43
	s_delay_alu instid0(VALU_DEP_1) | instskip(NEXT) | instid1(VALU_DEP_1)
	v_div_fmas_f32 v40, v40, v41, v42
	v_div_fixup_f32 v40, v40, v22, v23
	s_delay_alu instid0(VALU_DEP_1) | instskip(NEXT) | instid1(VALU_DEP_1)
	v_fmac_f32_e32 v22, v23, v40
	v_div_scale_f32 v23, null, v22, v22, 1.0
	v_div_scale_f32 v43, vcc_lo, 1.0, v22, 1.0
	s_delay_alu instid0(VALU_DEP_2) | instskip(SKIP_2) | instid1(VALU_DEP_1)
	v_rcp_f32_e32 v41, v23
	s_waitcnt_depctr 0xfff
	v_fma_f32 v42, -v23, v41, 1.0
	v_fmac_f32_e32 v41, v42, v41
	s_delay_alu instid0(VALU_DEP_1) | instskip(NEXT) | instid1(VALU_DEP_1)
	v_mul_f32_e32 v42, v43, v41
	v_fma_f32 v44, -v23, v42, v43
	s_delay_alu instid0(VALU_DEP_1) | instskip(NEXT) | instid1(VALU_DEP_1)
	v_fmac_f32_e32 v42, v44, v41
	v_fma_f32 v23, -v23, v42, v43
                                        ; implicit-def: $vgpr43
	s_delay_alu instid0(VALU_DEP_1) | instskip(SKIP_1) | instid1(VALU_DEP_2)
	v_div_fmas_f32 v23, v23, v41, v42
	v_fma_f32 v41, v40, s11, s10
                                        ; implicit-def: $vgpr42
	v_div_fixup_f32 v22, v23, v22, 1.0
	v_fma_f32 v23, -v40, s10, s11
	s_delay_alu instid0(VALU_DEP_2) | instskip(NEXT) | instid1(VALU_DEP_2)
	v_mul_f32_e32 v41, v41, v22
	v_mul_f32_e32 v40, v23, v22
.LBB85_111:                             ;   in Loop: Header=BB85_89 Depth=1
	s_and_not1_saveexec_b32 s3, s0
	s_cbranch_execz .LBB85_113
; %bb.112:                              ;   in Loop: Header=BB85_89 Depth=1
	v_div_scale_f32 v22, null, v42, v42, s10
	v_div_scale_f32 v23, null, v43, v43, s11
	v_div_scale_f32 v46, vcc_lo, s10, v42, s10
	s_delay_alu instid0(VALU_DEP_3) | instskip(NEXT) | instid1(VALU_DEP_2)
	v_rcp_f32_e32 v40, v22
	v_rcp_f32_e32 v41, v23
	s_waitcnt_depctr 0xfff
	v_fma_f32 v44, -v22, v40, 1.0
	v_fma_f32 v45, -v23, v41, 1.0
	s_delay_alu instid0(VALU_DEP_1) | instskip(SKIP_1) | instid1(VALU_DEP_2)
	v_dual_fmac_f32 v40, v44, v40 :: v_dual_fmac_f32 v41, v45, v41
	v_div_scale_f32 v44, s0, s11, v43, s11
	v_mul_f32_e32 v45, v46, v40
	s_delay_alu instid0(VALU_DEP_2) | instskip(NEXT) | instid1(VALU_DEP_2)
	v_mul_f32_e32 v47, v44, v41
	v_fma_f32 v48, -v22, v45, v46
	s_delay_alu instid0(VALU_DEP_2) | instskip(NEXT) | instid1(VALU_DEP_2)
	v_fma_f32 v49, -v23, v47, v44
	v_fmac_f32_e32 v45, v48, v40
	s_delay_alu instid0(VALU_DEP_2) | instskip(NEXT) | instid1(VALU_DEP_2)
	v_fmac_f32_e32 v47, v49, v41
	v_fma_f32 v22, -v22, v45, v46
	s_delay_alu instid0(VALU_DEP_2) | instskip(NEXT) | instid1(VALU_DEP_2)
	v_fma_f32 v23, -v23, v47, v44
	v_div_fmas_f32 v22, v22, v40, v45
	s_mov_b32 vcc_lo, s0
	s_delay_alu instid0(VALU_DEP_2) | instskip(NEXT) | instid1(VALU_DEP_2)
	v_div_fmas_f32 v23, v23, v41, v47
	v_div_fixup_f32 v41, v22, v42, s10
	s_delay_alu instid0(VALU_DEP_2)
	v_div_fixup_f32 v40, v23, v43, s11
.LBB85_113:                             ;   in Loop: Header=BB85_89 Depth=1
	s_or_b32 exec_lo, exec_lo, s3
                                        ; implicit-def: $vgpr23
.LBB85_114:                             ;   in Loop: Header=BB85_89 Depth=1
	s_and_not1_saveexec_b32 s0, s1
	s_cbranch_execz .LBB85_116
; %bb.115:                              ;   in Loop: Header=BB85_89 Depth=1
	v_div_scale_f32 v40, null, v23, v23, v22
	v_div_scale_f32 v43, vcc_lo, v22, v23, v22
	s_delay_alu instid0(VALU_DEP_2) | instskip(SKIP_2) | instid1(VALU_DEP_1)
	v_rcp_f32_e32 v41, v40
	s_waitcnt_depctr 0xfff
	v_fma_f32 v42, -v40, v41, 1.0
	v_fmac_f32_e32 v41, v42, v41
	s_delay_alu instid0(VALU_DEP_1) | instskip(NEXT) | instid1(VALU_DEP_1)
	v_mul_f32_e32 v42, v43, v41
	v_fma_f32 v44, -v40, v42, v43
	s_delay_alu instid0(VALU_DEP_1) | instskip(NEXT) | instid1(VALU_DEP_1)
	v_fmac_f32_e32 v42, v44, v41
	v_fma_f32 v40, -v40, v42, v43
	s_delay_alu instid0(VALU_DEP_1) | instskip(NEXT) | instid1(VALU_DEP_1)
	v_div_fmas_f32 v40, v40, v41, v42
	v_div_fixup_f32 v40, v40, v23, v22
	s_delay_alu instid0(VALU_DEP_1) | instskip(NEXT) | instid1(VALU_DEP_1)
	v_fmac_f32_e32 v23, v22, v40
	v_div_scale_f32 v22, null, v23, v23, 1.0
	v_div_scale_f32 v43, vcc_lo, 1.0, v23, 1.0
	s_delay_alu instid0(VALU_DEP_2) | instskip(SKIP_2) | instid1(VALU_DEP_1)
	v_rcp_f32_e32 v41, v22
	s_waitcnt_depctr 0xfff
	v_fma_f32 v42, -v22, v41, 1.0
	v_fmac_f32_e32 v41, v42, v41
	s_delay_alu instid0(VALU_DEP_1) | instskip(NEXT) | instid1(VALU_DEP_1)
	v_mul_f32_e32 v42, v43, v41
	v_fma_f32 v44, -v22, v42, v43
	s_delay_alu instid0(VALU_DEP_1) | instskip(NEXT) | instid1(VALU_DEP_1)
	v_fmac_f32_e32 v42, v44, v41
	v_fma_f32 v22, -v22, v42, v43
	s_delay_alu instid0(VALU_DEP_1) | instskip(SKIP_1) | instid1(VALU_DEP_2)
	v_div_fmas_f32 v22, v22, v41, v42
	v_fma_f32 v41, v40, s10, s11
	v_div_fixup_f32 v22, v22, v23, 1.0
	v_fma_f32 v23, v40, s11, -s10
	s_delay_alu instid0(VALU_DEP_2) | instskip(NEXT) | instid1(VALU_DEP_2)
	v_mul_f32_e32 v41, v41, v22
	v_mul_f32_e32 v40, v23, v22
.LBB85_116:                             ;   in Loop: Header=BB85_89 Depth=1
	s_or_b32 exec_lo, exec_lo, s0
.LBB85_117:                             ;   in Loop: Header=BB85_89 Depth=1
	v_cmp_gt_f32_e32 vcc_lo, 0, v20
	v_cndmask_b32_e64 v42, v20, -v20, vcc_lo
	v_cmp_gt_f32_e32 vcc_lo, 0, v21
	v_cndmask_b32_e64 v43, v21, -v21, vcc_lo
	s_and_not1_b32 vcc_lo, exec_lo, s20
	s_delay_alu instid0(VALU_DEP_1)
	v_cmp_ge_f32_e64 s0, v42, v43
	s_cbranch_vccnz .LBB85_127
; %bb.118:                              ;   in Loop: Header=BB85_89 Depth=1
                                        ; implicit-def: $vgpr22
                                        ; implicit-def: $vgpr44
	s_delay_alu instid0(VALU_DEP_1) | instskip(NEXT) | instid1(SALU_CYCLE_1)
	s_and_saveexec_b32 s1, s0
	s_xor_b32 s3, exec_lo, s1
	s_cbranch_execz .LBB85_124
; %bb.119:                              ;   in Loop: Header=BB85_89 Depth=1
	v_cmp_neq_f32_e32 vcc_lo, 0, v20
	v_cmp_neq_f32_e64 s1, 0, v21
                                        ; implicit-def: $vgpr22
                                        ; implicit-def: $vgpr44
	s_delay_alu instid0(VALU_DEP_1) | instskip(NEXT) | instid1(SALU_CYCLE_1)
	s_or_b32 s1, s1, vcc_lo
	s_and_saveexec_b32 s17, s1
	s_delay_alu instid0(SALU_CYCLE_1)
	s_xor_b32 s1, exec_lo, s17
	s_cbranch_execz .LBB85_121
; %bb.120:                              ;   in Loop: Header=BB85_89 Depth=1
	v_div_scale_f32 v22, null, v20, v20, v21
	v_div_scale_f32 v45, vcc_lo, v21, v20, v21
	s_delay_alu instid0(VALU_DEP_2) | instskip(SKIP_2) | instid1(VALU_DEP_1)
	v_rcp_f32_e32 v23, v22
	s_waitcnt_depctr 0xfff
	v_fma_f32 v44, -v22, v23, 1.0
	v_fmac_f32_e32 v23, v44, v23
	s_delay_alu instid0(VALU_DEP_1) | instskip(NEXT) | instid1(VALU_DEP_1)
	v_mul_f32_e32 v44, v45, v23
	v_fma_f32 v46, -v22, v44, v45
	s_delay_alu instid0(VALU_DEP_1) | instskip(NEXT) | instid1(VALU_DEP_1)
	v_fmac_f32_e32 v44, v46, v23
	v_fma_f32 v22, -v22, v44, v45
	s_delay_alu instid0(VALU_DEP_1) | instskip(NEXT) | instid1(VALU_DEP_1)
	v_div_fmas_f32 v22, v22, v23, v44
	v_div_fixup_f32 v22, v22, v20, v21
	s_delay_alu instid0(VALU_DEP_1) | instskip(NEXT) | instid1(VALU_DEP_1)
	v_fma_f32 v23, v21, v22, v20
	v_div_scale_f32 v44, null, v23, v23, 1.0
	v_div_scale_f32 v47, vcc_lo, 1.0, v23, 1.0
	s_delay_alu instid0(VALU_DEP_2) | instskip(SKIP_2) | instid1(VALU_DEP_1)
	v_rcp_f32_e32 v45, v44
	s_waitcnt_depctr 0xfff
	v_fma_f32 v46, -v44, v45, 1.0
	v_fmac_f32_e32 v45, v46, v45
	s_delay_alu instid0(VALU_DEP_1) | instskip(NEXT) | instid1(VALU_DEP_1)
	v_mul_f32_e32 v46, v47, v45
	v_fma_f32 v48, -v44, v46, v47
	s_delay_alu instid0(VALU_DEP_1) | instskip(NEXT) | instid1(VALU_DEP_1)
	v_fmac_f32_e32 v46, v48, v45
	v_fma_f32 v44, -v44, v46, v47
	s_delay_alu instid0(VALU_DEP_1) | instskip(SKIP_2) | instid1(VALU_DEP_3)
	v_div_fmas_f32 v44, v44, v45, v46
	v_fma_f32 v45, v22, s11, s10
	v_fma_f32 v22, -v22, s10, s11
	v_div_fixup_f32 v23, v44, v23, 1.0
	s_delay_alu instid0(VALU_DEP_1) | instskip(NEXT) | instid1(VALU_DEP_3)
	v_mul_f32_e32 v44, v45, v23
	v_mul_f32_e32 v22, v22, v23
.LBB85_121:                             ;   in Loop: Header=BB85_89 Depth=1
	s_and_not1_saveexec_b32 s17, s1
	s_cbranch_execz .LBB85_123
; %bb.122:                              ;   in Loop: Header=BB85_89 Depth=1
	v_div_scale_f32 v22, null, v42, v42, s10
	v_div_scale_f32 v23, null, v43, v43, s11
	v_div_scale_f32 v48, vcc_lo, s10, v42, s10
	s_delay_alu instid0(VALU_DEP_3) | instskip(NEXT) | instid1(VALU_DEP_2)
	v_rcp_f32_e32 v44, v22
	v_rcp_f32_e32 v45, v23
	s_waitcnt_depctr 0xfff
	v_fma_f32 v46, -v22, v44, 1.0
	v_fma_f32 v47, -v23, v45, 1.0
	s_delay_alu instid0(VALU_DEP_1) | instskip(SKIP_1) | instid1(VALU_DEP_2)
	v_dual_fmac_f32 v44, v46, v44 :: v_dual_fmac_f32 v45, v47, v45
	v_div_scale_f32 v46, s1, s11, v43, s11
	v_mul_f32_e32 v47, v48, v44
	s_delay_alu instid0(VALU_DEP_2) | instskip(NEXT) | instid1(VALU_DEP_2)
	v_mul_f32_e32 v49, v46, v45
	v_fma_f32 v50, -v22, v47, v48
	s_delay_alu instid0(VALU_DEP_2) | instskip(NEXT) | instid1(VALU_DEP_2)
	v_fma_f32 v51, -v23, v49, v46
	v_fmac_f32_e32 v47, v50, v44
	s_delay_alu instid0(VALU_DEP_2) | instskip(NEXT) | instid1(VALU_DEP_2)
	v_fmac_f32_e32 v49, v51, v45
	v_fma_f32 v22, -v22, v47, v48
	s_delay_alu instid0(VALU_DEP_2) | instskip(NEXT) | instid1(VALU_DEP_2)
	v_fma_f32 v23, -v23, v49, v46
	v_div_fmas_f32 v22, v22, v44, v47
	s_mov_b32 vcc_lo, s1
	s_delay_alu instid0(VALU_DEP_2) | instskip(NEXT) | instid1(VALU_DEP_2)
	v_div_fmas_f32 v23, v23, v45, v49
	v_div_fixup_f32 v44, v22, v42, s10
	s_delay_alu instid0(VALU_DEP_2)
	v_div_fixup_f32 v22, v23, v43, s11
.LBB85_123:                             ;   in Loop: Header=BB85_89 Depth=1
	s_or_b32 exec_lo, exec_lo, s17
.LBB85_124:                             ;   in Loop: Header=BB85_89 Depth=1
	s_and_not1_saveexec_b32 s1, s3
	s_cbranch_execz .LBB85_126
; %bb.125:                              ;   in Loop: Header=BB85_89 Depth=1
	v_div_scale_f32 v22, null, v21, v21, v20
	v_div_scale_f32 v45, vcc_lo, v20, v21, v20
	s_delay_alu instid0(VALU_DEP_2) | instskip(SKIP_2) | instid1(VALU_DEP_1)
	v_rcp_f32_e32 v23, v22
	s_waitcnt_depctr 0xfff
	v_fma_f32 v44, -v22, v23, 1.0
	v_fmac_f32_e32 v23, v44, v23
	s_delay_alu instid0(VALU_DEP_1) | instskip(NEXT) | instid1(VALU_DEP_1)
	v_mul_f32_e32 v44, v45, v23
	v_fma_f32 v46, -v22, v44, v45
	s_delay_alu instid0(VALU_DEP_1) | instskip(NEXT) | instid1(VALU_DEP_1)
	v_fmac_f32_e32 v44, v46, v23
	v_fma_f32 v22, -v22, v44, v45
	s_delay_alu instid0(VALU_DEP_1) | instskip(NEXT) | instid1(VALU_DEP_1)
	v_div_fmas_f32 v22, v22, v23, v44
	v_div_fixup_f32 v22, v22, v21, v20
	s_delay_alu instid0(VALU_DEP_1) | instskip(NEXT) | instid1(VALU_DEP_1)
	v_fma_f32 v23, v20, v22, v21
	v_div_scale_f32 v44, null, v23, v23, 1.0
	v_div_scale_f32 v47, vcc_lo, 1.0, v23, 1.0
	s_delay_alu instid0(VALU_DEP_2) | instskip(SKIP_2) | instid1(VALU_DEP_1)
	v_rcp_f32_e32 v45, v44
	s_waitcnt_depctr 0xfff
	v_fma_f32 v46, -v44, v45, 1.0
	v_fmac_f32_e32 v45, v46, v45
	s_delay_alu instid0(VALU_DEP_1) | instskip(NEXT) | instid1(VALU_DEP_1)
	v_mul_f32_e32 v46, v47, v45
	v_fma_f32 v48, -v44, v46, v47
	s_delay_alu instid0(VALU_DEP_1) | instskip(NEXT) | instid1(VALU_DEP_1)
	v_fmac_f32_e32 v46, v48, v45
	v_fma_f32 v44, -v44, v46, v47
	s_delay_alu instid0(VALU_DEP_1) | instskip(SKIP_2) | instid1(VALU_DEP_3)
	v_div_fmas_f32 v44, v44, v45, v46
	v_fma_f32 v45, v22, s10, s11
	v_fma_f32 v22, v22, s11, -s10
	v_div_fixup_f32 v23, v44, v23, 1.0
	s_delay_alu instid0(VALU_DEP_1) | instskip(NEXT) | instid1(VALU_DEP_3)
	v_mul_f32_e32 v44, v45, v23
	v_mul_f32_e32 v22, v22, v23
.LBB85_126:                             ;   in Loop: Header=BB85_89 Depth=1
	s_or_b32 exec_lo, exec_lo, s1
	s_delay_alu instid0(VALU_DEP_1) | instskip(SKIP_1) | instid1(VALU_DEP_1)
	v_mul_f32_e32 v23, s5, v22
	v_mul_f32_e32 v22, s4, v22
	v_fmac_f32_e32 v22, s5, v44
	s_delay_alu instid0(VALU_DEP_3)
	v_fma_f32 v23, v44, s4, -v23
	s_branch .LBB85_137
.LBB85_127:                             ;   in Loop: Header=BB85_89 Depth=1
                                        ; implicit-def: $vgpr22
                                        ; implicit-def: $vgpr23
	s_cbranch_execz .LBB85_137
; %bb.128:                              ;   in Loop: Header=BB85_89 Depth=1
                                        ; implicit-def: $vgpr22
                                        ; implicit-def: $vgpr23
	s_delay_alu instid0(VALU_DEP_1) | instskip(NEXT) | instid1(SALU_CYCLE_1)
	s_and_saveexec_b32 s1, s0
	s_xor_b32 s1, exec_lo, s1
	s_cbranch_execz .LBB85_134
; %bb.129:                              ;   in Loop: Header=BB85_89 Depth=1
	v_cmp_neq_f32_e32 vcc_lo, 0, v20
	v_cmp_neq_f32_e64 s0, 0, v21
                                        ; implicit-def: $vgpr22
                                        ; implicit-def: $vgpr23
	s_delay_alu instid0(VALU_DEP_1) | instskip(NEXT) | instid1(SALU_CYCLE_1)
	s_or_b32 s0, s0, vcc_lo
	s_and_saveexec_b32 s3, s0
	s_delay_alu instid0(SALU_CYCLE_1)
	s_xor_b32 s0, exec_lo, s3
	s_cbranch_execz .LBB85_131
; %bb.130:                              ;   in Loop: Header=BB85_89 Depth=1
	v_div_scale_f32 v22, null, v20, v20, v21
	v_div_scale_f32 v43, vcc_lo, v21, v20, v21
	s_delay_alu instid0(VALU_DEP_2) | instskip(SKIP_2) | instid1(VALU_DEP_1)
	v_rcp_f32_e32 v23, v22
	s_waitcnt_depctr 0xfff
	v_fma_f32 v42, -v22, v23, 1.0
	v_fmac_f32_e32 v23, v42, v23
	s_delay_alu instid0(VALU_DEP_1) | instskip(NEXT) | instid1(VALU_DEP_1)
	v_mul_f32_e32 v42, v43, v23
	v_fma_f32 v44, -v22, v42, v43
	s_delay_alu instid0(VALU_DEP_1) | instskip(NEXT) | instid1(VALU_DEP_1)
	v_fmac_f32_e32 v42, v44, v23
	v_fma_f32 v22, -v22, v42, v43
	s_delay_alu instid0(VALU_DEP_1) | instskip(NEXT) | instid1(VALU_DEP_1)
	v_div_fmas_f32 v22, v22, v23, v42
	v_div_fixup_f32 v22, v22, v20, v21
	s_delay_alu instid0(VALU_DEP_1) | instskip(NEXT) | instid1(VALU_DEP_1)
	v_fmac_f32_e32 v20, v21, v22
	v_div_scale_f32 v21, null, v20, v20, 1.0
	v_div_scale_f32 v43, vcc_lo, 1.0, v20, 1.0
	s_delay_alu instid0(VALU_DEP_2) | instskip(SKIP_2) | instid1(VALU_DEP_1)
	v_rcp_f32_e32 v23, v21
	s_waitcnt_depctr 0xfff
	v_fma_f32 v42, -v21, v23, 1.0
	v_fmac_f32_e32 v23, v42, v23
	s_delay_alu instid0(VALU_DEP_1) | instskip(NEXT) | instid1(VALU_DEP_1)
	v_mul_f32_e32 v42, v43, v23
	v_fma_f32 v44, -v21, v42, v43
	s_delay_alu instid0(VALU_DEP_1) | instskip(NEXT) | instid1(VALU_DEP_1)
	v_fmac_f32_e32 v42, v44, v23
	v_fma_f32 v21, -v21, v42, v43
                                        ; implicit-def: $vgpr43
	s_delay_alu instid0(VALU_DEP_1) | instskip(SKIP_1) | instid1(VALU_DEP_2)
	v_div_fmas_f32 v21, v21, v23, v42
	v_fma_f32 v23, v22, s11, s10
                                        ; implicit-def: $vgpr42
	v_div_fixup_f32 v20, v21, v20, 1.0
	v_fma_f32 v21, -v22, s10, s11
	s_delay_alu instid0(VALU_DEP_2) | instskip(NEXT) | instid1(VALU_DEP_2)
	v_mul_f32_e32 v23, v23, v20
	v_mul_f32_e32 v22, v21, v20
.LBB85_131:                             ;   in Loop: Header=BB85_89 Depth=1
	s_and_not1_saveexec_b32 s3, s0
	s_cbranch_execz .LBB85_133
; %bb.132:                              ;   in Loop: Header=BB85_89 Depth=1
	v_div_scale_f32 v20, null, v42, v42, s10
	v_div_scale_f32 v21, null, v43, v43, s11
	v_div_scale_f32 v46, vcc_lo, s10, v42, s10
	s_delay_alu instid0(VALU_DEP_3) | instskip(NEXT) | instid1(VALU_DEP_2)
	v_rcp_f32_e32 v22, v20
	v_rcp_f32_e32 v23, v21
	s_waitcnt_depctr 0xfff
	v_fma_f32 v44, -v20, v22, 1.0
	v_fma_f32 v45, -v21, v23, 1.0
	s_delay_alu instid0(VALU_DEP_1) | instskip(SKIP_1) | instid1(VALU_DEP_2)
	v_dual_fmac_f32 v22, v44, v22 :: v_dual_fmac_f32 v23, v45, v23
	v_div_scale_f32 v44, s0, s11, v43, s11
	v_mul_f32_e32 v45, v46, v22
	s_delay_alu instid0(VALU_DEP_2) | instskip(NEXT) | instid1(VALU_DEP_2)
	v_mul_f32_e32 v47, v44, v23
	v_fma_f32 v48, -v20, v45, v46
	s_delay_alu instid0(VALU_DEP_2) | instskip(NEXT) | instid1(VALU_DEP_2)
	v_fma_f32 v49, -v21, v47, v44
	v_fmac_f32_e32 v45, v48, v22
	s_delay_alu instid0(VALU_DEP_2) | instskip(NEXT) | instid1(VALU_DEP_2)
	v_fmac_f32_e32 v47, v49, v23
	v_fma_f32 v20, -v20, v45, v46
	s_delay_alu instid0(VALU_DEP_2) | instskip(NEXT) | instid1(VALU_DEP_2)
	v_fma_f32 v21, -v21, v47, v44
	v_div_fmas_f32 v20, v20, v22, v45
	s_mov_b32 vcc_lo, s0
	s_delay_alu instid0(VALU_DEP_2) | instskip(NEXT) | instid1(VALU_DEP_2)
	v_div_fmas_f32 v21, v21, v23, v47
	v_div_fixup_f32 v23, v20, v42, s10
	s_delay_alu instid0(VALU_DEP_2)
	v_div_fixup_f32 v22, v21, v43, s11
.LBB85_133:                             ;   in Loop: Header=BB85_89 Depth=1
	s_or_b32 exec_lo, exec_lo, s3
                                        ; implicit-def: $vgpr21
.LBB85_134:                             ;   in Loop: Header=BB85_89 Depth=1
	s_and_not1_saveexec_b32 s0, s1
	s_cbranch_execz .LBB85_136
; %bb.135:                              ;   in Loop: Header=BB85_89 Depth=1
	v_div_scale_f32 v22, null, v21, v21, v20
	v_div_scale_f32 v43, vcc_lo, v20, v21, v20
	s_delay_alu instid0(VALU_DEP_2) | instskip(SKIP_2) | instid1(VALU_DEP_1)
	v_rcp_f32_e32 v23, v22
	s_waitcnt_depctr 0xfff
	v_fma_f32 v42, -v22, v23, 1.0
	v_fmac_f32_e32 v23, v42, v23
	s_delay_alu instid0(VALU_DEP_1) | instskip(NEXT) | instid1(VALU_DEP_1)
	v_mul_f32_e32 v42, v43, v23
	v_fma_f32 v44, -v22, v42, v43
	s_delay_alu instid0(VALU_DEP_1) | instskip(NEXT) | instid1(VALU_DEP_1)
	v_fmac_f32_e32 v42, v44, v23
	v_fma_f32 v22, -v22, v42, v43
	s_delay_alu instid0(VALU_DEP_1) | instskip(NEXT) | instid1(VALU_DEP_1)
	v_div_fmas_f32 v22, v22, v23, v42
	v_div_fixup_f32 v22, v22, v21, v20
	s_delay_alu instid0(VALU_DEP_1) | instskip(NEXT) | instid1(VALU_DEP_1)
	v_fmac_f32_e32 v21, v20, v22
	v_div_scale_f32 v20, null, v21, v21, 1.0
	v_div_scale_f32 v43, vcc_lo, 1.0, v21, 1.0
	s_delay_alu instid0(VALU_DEP_2) | instskip(SKIP_2) | instid1(VALU_DEP_1)
	v_rcp_f32_e32 v23, v20
	s_waitcnt_depctr 0xfff
	v_fma_f32 v42, -v20, v23, 1.0
	v_fmac_f32_e32 v23, v42, v23
	s_delay_alu instid0(VALU_DEP_1) | instskip(NEXT) | instid1(VALU_DEP_1)
	v_mul_f32_e32 v42, v43, v23
	v_fma_f32 v44, -v20, v42, v43
	s_delay_alu instid0(VALU_DEP_1) | instskip(NEXT) | instid1(VALU_DEP_1)
	v_fmac_f32_e32 v42, v44, v23
	v_fma_f32 v20, -v20, v42, v43
	s_delay_alu instid0(VALU_DEP_1) | instskip(SKIP_1) | instid1(VALU_DEP_2)
	v_div_fmas_f32 v20, v20, v23, v42
	v_fma_f32 v23, v22, s10, s11
	v_div_fixup_f32 v20, v20, v21, 1.0
	v_fma_f32 v21, v22, s11, -s10
	s_delay_alu instid0(VALU_DEP_2) | instskip(NEXT) | instid1(VALU_DEP_2)
	v_mul_f32_e32 v23, v23, v20
	v_mul_f32_e32 v22, v21, v20
.LBB85_136:                             ;   in Loop: Header=BB85_89 Depth=1
	s_or_b32 exec_lo, exec_lo, s0
.LBB85_137:                             ;   in Loop: Header=BB85_89 Depth=1
	v_cmp_gt_f32_e32 vcc_lo, 0, v18
	v_cndmask_b32_e64 v42, v18, -v18, vcc_lo
	v_cmp_gt_f32_e32 vcc_lo, 0, v19
	v_cndmask_b32_e64 v43, v19, -v19, vcc_lo
	s_and_not1_b32 vcc_lo, exec_lo, s20
	s_delay_alu instid0(VALU_DEP_1)
	v_cmp_ge_f32_e64 s0, v42, v43
	s_cbranch_vccnz .LBB85_147
; %bb.138:                              ;   in Loop: Header=BB85_89 Depth=1
                                        ; implicit-def: $vgpr20
                                        ; implicit-def: $vgpr44
	s_delay_alu instid0(VALU_DEP_1) | instskip(NEXT) | instid1(SALU_CYCLE_1)
	s_and_saveexec_b32 s1, s0
	s_xor_b32 s3, exec_lo, s1
	s_cbranch_execz .LBB85_144
; %bb.139:                              ;   in Loop: Header=BB85_89 Depth=1
	v_cmp_neq_f32_e32 vcc_lo, 0, v18
	v_cmp_neq_f32_e64 s1, 0, v19
                                        ; implicit-def: $vgpr20
                                        ; implicit-def: $vgpr44
	s_delay_alu instid0(VALU_DEP_1) | instskip(NEXT) | instid1(SALU_CYCLE_1)
	s_or_b32 s1, s1, vcc_lo
	s_and_saveexec_b32 s17, s1
	s_delay_alu instid0(SALU_CYCLE_1)
	s_xor_b32 s1, exec_lo, s17
	s_cbranch_execz .LBB85_141
; %bb.140:                              ;   in Loop: Header=BB85_89 Depth=1
	v_div_scale_f32 v20, null, v18, v18, v19
	v_div_scale_f32 v45, vcc_lo, v19, v18, v19
	s_delay_alu instid0(VALU_DEP_2) | instskip(SKIP_2) | instid1(VALU_DEP_1)
	v_rcp_f32_e32 v21, v20
	s_waitcnt_depctr 0xfff
	v_fma_f32 v44, -v20, v21, 1.0
	v_fmac_f32_e32 v21, v44, v21
	s_delay_alu instid0(VALU_DEP_1) | instskip(NEXT) | instid1(VALU_DEP_1)
	v_mul_f32_e32 v44, v45, v21
	v_fma_f32 v46, -v20, v44, v45
	s_delay_alu instid0(VALU_DEP_1) | instskip(NEXT) | instid1(VALU_DEP_1)
	v_fmac_f32_e32 v44, v46, v21
	v_fma_f32 v20, -v20, v44, v45
	s_delay_alu instid0(VALU_DEP_1) | instskip(NEXT) | instid1(VALU_DEP_1)
	v_div_fmas_f32 v20, v20, v21, v44
	v_div_fixup_f32 v20, v20, v18, v19
	s_delay_alu instid0(VALU_DEP_1) | instskip(NEXT) | instid1(VALU_DEP_1)
	v_fma_f32 v21, v19, v20, v18
	v_div_scale_f32 v44, null, v21, v21, 1.0
	v_div_scale_f32 v47, vcc_lo, 1.0, v21, 1.0
	s_delay_alu instid0(VALU_DEP_2) | instskip(SKIP_2) | instid1(VALU_DEP_1)
	v_rcp_f32_e32 v45, v44
	s_waitcnt_depctr 0xfff
	v_fma_f32 v46, -v44, v45, 1.0
	v_fmac_f32_e32 v45, v46, v45
	s_delay_alu instid0(VALU_DEP_1) | instskip(NEXT) | instid1(VALU_DEP_1)
	v_mul_f32_e32 v46, v47, v45
	v_fma_f32 v48, -v44, v46, v47
	s_delay_alu instid0(VALU_DEP_1) | instskip(NEXT) | instid1(VALU_DEP_1)
	v_fmac_f32_e32 v46, v48, v45
	v_fma_f32 v44, -v44, v46, v47
	s_delay_alu instid0(VALU_DEP_1) | instskip(SKIP_2) | instid1(VALU_DEP_3)
	v_div_fmas_f32 v44, v44, v45, v46
	v_fma_f32 v45, v20, s11, s10
	v_fma_f32 v20, -v20, s10, s11
	v_div_fixup_f32 v21, v44, v21, 1.0
	s_delay_alu instid0(VALU_DEP_1) | instskip(NEXT) | instid1(VALU_DEP_3)
	v_mul_f32_e32 v44, v45, v21
	v_mul_f32_e32 v20, v20, v21
.LBB85_141:                             ;   in Loop: Header=BB85_89 Depth=1
	s_and_not1_saveexec_b32 s17, s1
	s_cbranch_execz .LBB85_143
; %bb.142:                              ;   in Loop: Header=BB85_89 Depth=1
	v_div_scale_f32 v20, null, v42, v42, s10
	v_div_scale_f32 v21, null, v43, v43, s11
	v_div_scale_f32 v48, vcc_lo, s10, v42, s10
	s_delay_alu instid0(VALU_DEP_3) | instskip(NEXT) | instid1(VALU_DEP_2)
	v_rcp_f32_e32 v44, v20
	v_rcp_f32_e32 v45, v21
	s_waitcnt_depctr 0xfff
	v_fma_f32 v46, -v20, v44, 1.0
	v_fma_f32 v47, -v21, v45, 1.0
	s_delay_alu instid0(VALU_DEP_1) | instskip(SKIP_1) | instid1(VALU_DEP_2)
	v_dual_fmac_f32 v44, v46, v44 :: v_dual_fmac_f32 v45, v47, v45
	v_div_scale_f32 v46, s1, s11, v43, s11
	v_mul_f32_e32 v47, v48, v44
	s_delay_alu instid0(VALU_DEP_2) | instskip(NEXT) | instid1(VALU_DEP_2)
	v_mul_f32_e32 v49, v46, v45
	v_fma_f32 v50, -v20, v47, v48
	s_delay_alu instid0(VALU_DEP_2) | instskip(NEXT) | instid1(VALU_DEP_2)
	v_fma_f32 v51, -v21, v49, v46
	v_fmac_f32_e32 v47, v50, v44
	s_delay_alu instid0(VALU_DEP_2) | instskip(NEXT) | instid1(VALU_DEP_2)
	v_fmac_f32_e32 v49, v51, v45
	v_fma_f32 v20, -v20, v47, v48
	s_delay_alu instid0(VALU_DEP_2) | instskip(NEXT) | instid1(VALU_DEP_2)
	v_fma_f32 v21, -v21, v49, v46
	v_div_fmas_f32 v20, v20, v44, v47
	s_mov_b32 vcc_lo, s1
	s_delay_alu instid0(VALU_DEP_2) | instskip(NEXT) | instid1(VALU_DEP_2)
	v_div_fmas_f32 v21, v21, v45, v49
	v_div_fixup_f32 v44, v20, v42, s10
	s_delay_alu instid0(VALU_DEP_2)
	v_div_fixup_f32 v20, v21, v43, s11
.LBB85_143:                             ;   in Loop: Header=BB85_89 Depth=1
	s_or_b32 exec_lo, exec_lo, s17
.LBB85_144:                             ;   in Loop: Header=BB85_89 Depth=1
	s_and_not1_saveexec_b32 s1, s3
	s_cbranch_execz .LBB85_146
; %bb.145:                              ;   in Loop: Header=BB85_89 Depth=1
	v_div_scale_f32 v20, null, v19, v19, v18
	v_div_scale_f32 v45, vcc_lo, v18, v19, v18
	s_delay_alu instid0(VALU_DEP_2) | instskip(SKIP_2) | instid1(VALU_DEP_1)
	v_rcp_f32_e32 v21, v20
	s_waitcnt_depctr 0xfff
	v_fma_f32 v44, -v20, v21, 1.0
	v_fmac_f32_e32 v21, v44, v21
	s_delay_alu instid0(VALU_DEP_1) | instskip(NEXT) | instid1(VALU_DEP_1)
	v_mul_f32_e32 v44, v45, v21
	v_fma_f32 v46, -v20, v44, v45
	s_delay_alu instid0(VALU_DEP_1) | instskip(NEXT) | instid1(VALU_DEP_1)
	v_fmac_f32_e32 v44, v46, v21
	v_fma_f32 v20, -v20, v44, v45
	s_delay_alu instid0(VALU_DEP_1) | instskip(NEXT) | instid1(VALU_DEP_1)
	v_div_fmas_f32 v20, v20, v21, v44
	v_div_fixup_f32 v20, v20, v19, v18
	s_delay_alu instid0(VALU_DEP_1) | instskip(NEXT) | instid1(VALU_DEP_1)
	v_fma_f32 v21, v18, v20, v19
	v_div_scale_f32 v44, null, v21, v21, 1.0
	v_div_scale_f32 v47, vcc_lo, 1.0, v21, 1.0
	s_delay_alu instid0(VALU_DEP_2) | instskip(SKIP_2) | instid1(VALU_DEP_1)
	v_rcp_f32_e32 v45, v44
	s_waitcnt_depctr 0xfff
	v_fma_f32 v46, -v44, v45, 1.0
	v_fmac_f32_e32 v45, v46, v45
	s_delay_alu instid0(VALU_DEP_1) | instskip(NEXT) | instid1(VALU_DEP_1)
	v_mul_f32_e32 v46, v47, v45
	v_fma_f32 v48, -v44, v46, v47
	s_delay_alu instid0(VALU_DEP_1) | instskip(NEXT) | instid1(VALU_DEP_1)
	v_fmac_f32_e32 v46, v48, v45
	v_fma_f32 v44, -v44, v46, v47
	s_delay_alu instid0(VALU_DEP_1) | instskip(SKIP_2) | instid1(VALU_DEP_3)
	v_div_fmas_f32 v44, v44, v45, v46
	v_fma_f32 v45, v20, s10, s11
	v_fma_f32 v20, v20, s11, -s10
	v_div_fixup_f32 v21, v44, v21, 1.0
	s_delay_alu instid0(VALU_DEP_1) | instskip(NEXT) | instid1(VALU_DEP_3)
	v_mul_f32_e32 v44, v45, v21
	v_mul_f32_e32 v20, v20, v21
.LBB85_146:                             ;   in Loop: Header=BB85_89 Depth=1
	s_or_b32 exec_lo, exec_lo, s1
	s_delay_alu instid0(VALU_DEP_1) | instskip(SKIP_1) | instid1(VALU_DEP_2)
	v_mul_f32_e32 v21, s5, v20
	v_mul_f32_e32 v20, s4, v20
	v_fma_f32 v21, v44, s4, -v21
	s_delay_alu instid0(VALU_DEP_2)
	v_fmac_f32_e32 v20, s5, v44
	s_branch .LBB85_157
.LBB85_147:                             ;   in Loop: Header=BB85_89 Depth=1
                                        ; implicit-def: $vgpr20
                                        ; implicit-def: $vgpr21
	s_cbranch_execz .LBB85_157
; %bb.148:                              ;   in Loop: Header=BB85_89 Depth=1
                                        ; implicit-def: $vgpr20
                                        ; implicit-def: $vgpr21
	s_delay_alu instid0(VALU_DEP_1) | instskip(NEXT) | instid1(SALU_CYCLE_1)
	s_and_saveexec_b32 s1, s0
	s_xor_b32 s1, exec_lo, s1
	s_cbranch_execz .LBB85_154
; %bb.149:                              ;   in Loop: Header=BB85_89 Depth=1
	v_cmp_neq_f32_e32 vcc_lo, 0, v18
	v_cmp_neq_f32_e64 s0, 0, v19
                                        ; implicit-def: $vgpr20
                                        ; implicit-def: $vgpr21
	s_delay_alu instid0(VALU_DEP_1) | instskip(NEXT) | instid1(SALU_CYCLE_1)
	s_or_b32 s0, s0, vcc_lo
	s_and_saveexec_b32 s3, s0
	s_delay_alu instid0(SALU_CYCLE_1)
	s_xor_b32 s0, exec_lo, s3
	s_cbranch_execz .LBB85_151
; %bb.150:                              ;   in Loop: Header=BB85_89 Depth=1
	v_div_scale_f32 v20, null, v18, v18, v19
	v_div_scale_f32 v43, vcc_lo, v19, v18, v19
	s_delay_alu instid0(VALU_DEP_2) | instskip(SKIP_2) | instid1(VALU_DEP_1)
	v_rcp_f32_e32 v21, v20
	s_waitcnt_depctr 0xfff
	v_fma_f32 v42, -v20, v21, 1.0
	v_fmac_f32_e32 v21, v42, v21
	s_delay_alu instid0(VALU_DEP_1) | instskip(NEXT) | instid1(VALU_DEP_1)
	v_mul_f32_e32 v42, v43, v21
	v_fma_f32 v44, -v20, v42, v43
	s_delay_alu instid0(VALU_DEP_1) | instskip(NEXT) | instid1(VALU_DEP_1)
	v_fmac_f32_e32 v42, v44, v21
	v_fma_f32 v20, -v20, v42, v43
	s_delay_alu instid0(VALU_DEP_1) | instskip(NEXT) | instid1(VALU_DEP_1)
	v_div_fmas_f32 v20, v20, v21, v42
	v_div_fixup_f32 v20, v20, v18, v19
	s_delay_alu instid0(VALU_DEP_1) | instskip(NEXT) | instid1(VALU_DEP_1)
	v_fmac_f32_e32 v18, v19, v20
	v_div_scale_f32 v19, null, v18, v18, 1.0
	v_div_scale_f32 v43, vcc_lo, 1.0, v18, 1.0
	s_delay_alu instid0(VALU_DEP_2) | instskip(SKIP_2) | instid1(VALU_DEP_1)
	v_rcp_f32_e32 v21, v19
	s_waitcnt_depctr 0xfff
	v_fma_f32 v42, -v19, v21, 1.0
	v_fmac_f32_e32 v21, v42, v21
	s_delay_alu instid0(VALU_DEP_1) | instskip(NEXT) | instid1(VALU_DEP_1)
	v_mul_f32_e32 v42, v43, v21
	v_fma_f32 v44, -v19, v42, v43
	s_delay_alu instid0(VALU_DEP_1) | instskip(NEXT) | instid1(VALU_DEP_1)
	v_fmac_f32_e32 v42, v44, v21
	v_fma_f32 v19, -v19, v42, v43
                                        ; implicit-def: $vgpr43
	s_delay_alu instid0(VALU_DEP_1) | instskip(SKIP_1) | instid1(VALU_DEP_2)
	v_div_fmas_f32 v19, v19, v21, v42
	v_fma_f32 v21, v20, s11, s10
                                        ; implicit-def: $vgpr42
	v_div_fixup_f32 v18, v19, v18, 1.0
	v_fma_f32 v19, -v20, s10, s11
	s_delay_alu instid0(VALU_DEP_2) | instskip(NEXT) | instid1(VALU_DEP_2)
	v_mul_f32_e32 v21, v21, v18
	v_mul_f32_e32 v20, v19, v18
.LBB85_151:                             ;   in Loop: Header=BB85_89 Depth=1
	s_and_not1_saveexec_b32 s3, s0
	s_cbranch_execz .LBB85_153
; %bb.152:                              ;   in Loop: Header=BB85_89 Depth=1
	v_div_scale_f32 v18, null, v42, v42, s10
	v_div_scale_f32 v19, null, v43, v43, s11
	v_div_scale_f32 v46, vcc_lo, s10, v42, s10
	s_delay_alu instid0(VALU_DEP_3) | instskip(NEXT) | instid1(VALU_DEP_2)
	v_rcp_f32_e32 v20, v18
	v_rcp_f32_e32 v21, v19
	s_waitcnt_depctr 0xfff
	v_fma_f32 v44, -v18, v20, 1.0
	v_fma_f32 v45, -v19, v21, 1.0
	s_delay_alu instid0(VALU_DEP_1) | instskip(SKIP_1) | instid1(VALU_DEP_2)
	v_dual_fmac_f32 v20, v44, v20 :: v_dual_fmac_f32 v21, v45, v21
	v_div_scale_f32 v44, s0, s11, v43, s11
	v_mul_f32_e32 v45, v46, v20
	s_delay_alu instid0(VALU_DEP_2) | instskip(NEXT) | instid1(VALU_DEP_2)
	v_mul_f32_e32 v47, v44, v21
	v_fma_f32 v48, -v18, v45, v46
	s_delay_alu instid0(VALU_DEP_2) | instskip(NEXT) | instid1(VALU_DEP_2)
	v_fma_f32 v49, -v19, v47, v44
	v_fmac_f32_e32 v45, v48, v20
	s_delay_alu instid0(VALU_DEP_2) | instskip(NEXT) | instid1(VALU_DEP_2)
	v_fmac_f32_e32 v47, v49, v21
	v_fma_f32 v18, -v18, v45, v46
	s_delay_alu instid0(VALU_DEP_2) | instskip(NEXT) | instid1(VALU_DEP_2)
	v_fma_f32 v19, -v19, v47, v44
	v_div_fmas_f32 v18, v18, v20, v45
	s_mov_b32 vcc_lo, s0
	s_delay_alu instid0(VALU_DEP_2) | instskip(NEXT) | instid1(VALU_DEP_2)
	v_div_fmas_f32 v19, v19, v21, v47
	v_div_fixup_f32 v21, v18, v42, s10
	s_delay_alu instid0(VALU_DEP_2)
	v_div_fixup_f32 v20, v19, v43, s11
.LBB85_153:                             ;   in Loop: Header=BB85_89 Depth=1
	s_or_b32 exec_lo, exec_lo, s3
                                        ; implicit-def: $vgpr19
.LBB85_154:                             ;   in Loop: Header=BB85_89 Depth=1
	s_and_not1_saveexec_b32 s0, s1
	s_cbranch_execz .LBB85_156
; %bb.155:                              ;   in Loop: Header=BB85_89 Depth=1
	v_div_scale_f32 v20, null, v19, v19, v18
	v_div_scale_f32 v43, vcc_lo, v18, v19, v18
	s_delay_alu instid0(VALU_DEP_2) | instskip(SKIP_2) | instid1(VALU_DEP_1)
	v_rcp_f32_e32 v21, v20
	s_waitcnt_depctr 0xfff
	v_fma_f32 v42, -v20, v21, 1.0
	v_fmac_f32_e32 v21, v42, v21
	s_delay_alu instid0(VALU_DEP_1) | instskip(NEXT) | instid1(VALU_DEP_1)
	v_mul_f32_e32 v42, v43, v21
	v_fma_f32 v44, -v20, v42, v43
	s_delay_alu instid0(VALU_DEP_1) | instskip(NEXT) | instid1(VALU_DEP_1)
	v_fmac_f32_e32 v42, v44, v21
	v_fma_f32 v20, -v20, v42, v43
	s_delay_alu instid0(VALU_DEP_1) | instskip(NEXT) | instid1(VALU_DEP_1)
	v_div_fmas_f32 v20, v20, v21, v42
	v_div_fixup_f32 v20, v20, v19, v18
	s_delay_alu instid0(VALU_DEP_1) | instskip(NEXT) | instid1(VALU_DEP_1)
	v_fmac_f32_e32 v19, v18, v20
	v_div_scale_f32 v18, null, v19, v19, 1.0
	v_div_scale_f32 v43, vcc_lo, 1.0, v19, 1.0
	s_delay_alu instid0(VALU_DEP_2) | instskip(SKIP_2) | instid1(VALU_DEP_1)
	v_rcp_f32_e32 v21, v18
	s_waitcnt_depctr 0xfff
	v_fma_f32 v42, -v18, v21, 1.0
	v_fmac_f32_e32 v21, v42, v21
	s_delay_alu instid0(VALU_DEP_1) | instskip(NEXT) | instid1(VALU_DEP_1)
	v_mul_f32_e32 v42, v43, v21
	v_fma_f32 v44, -v18, v42, v43
	s_delay_alu instid0(VALU_DEP_1) | instskip(NEXT) | instid1(VALU_DEP_1)
	v_fmac_f32_e32 v42, v44, v21
	v_fma_f32 v18, -v18, v42, v43
	s_delay_alu instid0(VALU_DEP_1) | instskip(SKIP_1) | instid1(VALU_DEP_2)
	v_div_fmas_f32 v18, v18, v21, v42
	v_fma_f32 v21, v20, s10, s11
	v_div_fixup_f32 v18, v18, v19, 1.0
	v_fma_f32 v19, v20, s11, -s10
	s_delay_alu instid0(VALU_DEP_2) | instskip(NEXT) | instid1(VALU_DEP_2)
	v_mul_f32_e32 v21, v21, v18
	v_mul_f32_e32 v20, v19, v18
.LBB85_156:                             ;   in Loop: Header=BB85_89 Depth=1
	s_or_b32 exec_lo, exec_lo, s0
.LBB85_157:                             ;   in Loop: Header=BB85_89 Depth=1
	v_cmp_gt_f32_e32 vcc_lo, 0, v16
	v_cndmask_b32_e64 v18, v16, -v16, vcc_lo
	v_cmp_gt_f32_e32 vcc_lo, 0, v17
	v_cndmask_b32_e64 v19, v17, -v17, vcc_lo
	s_and_not1_b32 vcc_lo, exec_lo, s20
	s_delay_alu instid0(VALU_DEP_1)
	v_cmp_ge_f32_e64 s0, v18, v19
	s_cbranch_vccnz .LBB85_167
; %bb.158:                              ;   in Loop: Header=BB85_89 Depth=1
                                        ; implicit-def: $vgpr42
                                        ; implicit-def: $vgpr44
	s_delay_alu instid0(VALU_DEP_1) | instskip(NEXT) | instid1(SALU_CYCLE_1)
	s_and_saveexec_b32 s1, s0
	s_xor_b32 s3, exec_lo, s1
	s_cbranch_execz .LBB85_164
; %bb.159:                              ;   in Loop: Header=BB85_89 Depth=1
	v_cmp_neq_f32_e32 vcc_lo, 0, v16
	v_cmp_neq_f32_e64 s1, 0, v17
                                        ; implicit-def: $vgpr42
                                        ; implicit-def: $vgpr44
	s_delay_alu instid0(VALU_DEP_1) | instskip(NEXT) | instid1(SALU_CYCLE_1)
	s_or_b32 s1, s1, vcc_lo
	s_and_saveexec_b32 s17, s1
	s_delay_alu instid0(SALU_CYCLE_1)
	s_xor_b32 s1, exec_lo, s17
	s_cbranch_execz .LBB85_161
; %bb.160:                              ;   in Loop: Header=BB85_89 Depth=1
	v_div_scale_f32 v42, null, v16, v16, v17
	v_div_scale_f32 v45, vcc_lo, v17, v16, v17
	s_delay_alu instid0(VALU_DEP_2) | instskip(SKIP_2) | instid1(VALU_DEP_1)
	v_rcp_f32_e32 v43, v42
	s_waitcnt_depctr 0xfff
	v_fma_f32 v44, -v42, v43, 1.0
	v_fmac_f32_e32 v43, v44, v43
	s_delay_alu instid0(VALU_DEP_1) | instskip(NEXT) | instid1(VALU_DEP_1)
	v_mul_f32_e32 v44, v45, v43
	v_fma_f32 v46, -v42, v44, v45
	s_delay_alu instid0(VALU_DEP_1) | instskip(NEXT) | instid1(VALU_DEP_1)
	v_fmac_f32_e32 v44, v46, v43
	v_fma_f32 v42, -v42, v44, v45
	s_delay_alu instid0(VALU_DEP_1) | instskip(NEXT) | instid1(VALU_DEP_1)
	v_div_fmas_f32 v42, v42, v43, v44
	v_div_fixup_f32 v42, v42, v16, v17
	s_delay_alu instid0(VALU_DEP_1) | instskip(NEXT) | instid1(VALU_DEP_1)
	v_fma_f32 v43, v17, v42, v16
	v_div_scale_f32 v44, null, v43, v43, 1.0
	v_div_scale_f32 v47, vcc_lo, 1.0, v43, 1.0
	s_delay_alu instid0(VALU_DEP_2) | instskip(SKIP_2) | instid1(VALU_DEP_1)
	v_rcp_f32_e32 v45, v44
	s_waitcnt_depctr 0xfff
	v_fma_f32 v46, -v44, v45, 1.0
	v_fmac_f32_e32 v45, v46, v45
	s_delay_alu instid0(VALU_DEP_1) | instskip(NEXT) | instid1(VALU_DEP_1)
	v_mul_f32_e32 v46, v47, v45
	v_fma_f32 v48, -v44, v46, v47
	s_delay_alu instid0(VALU_DEP_1) | instskip(NEXT) | instid1(VALU_DEP_1)
	v_fmac_f32_e32 v46, v48, v45
	v_fma_f32 v44, -v44, v46, v47
	s_delay_alu instid0(VALU_DEP_1) | instskip(SKIP_2) | instid1(VALU_DEP_3)
	v_div_fmas_f32 v44, v44, v45, v46
	v_fma_f32 v45, v42, s11, s10
	v_fma_f32 v42, -v42, s10, s11
	v_div_fixup_f32 v43, v44, v43, 1.0
	s_delay_alu instid0(VALU_DEP_1) | instskip(NEXT) | instid1(VALU_DEP_3)
	v_mul_f32_e32 v44, v45, v43
	v_mul_f32_e32 v42, v42, v43
.LBB85_161:                             ;   in Loop: Header=BB85_89 Depth=1
	s_and_not1_saveexec_b32 s17, s1
	s_cbranch_execz .LBB85_163
; %bb.162:                              ;   in Loop: Header=BB85_89 Depth=1
	v_div_scale_f32 v42, null, v18, v18, s10
	v_div_scale_f32 v43, null, v19, v19, s11
	v_div_scale_f32 v48, vcc_lo, s10, v18, s10
	s_delay_alu instid0(VALU_DEP_3) | instskip(NEXT) | instid1(VALU_DEP_2)
	v_rcp_f32_e32 v44, v42
	v_rcp_f32_e32 v45, v43
	s_waitcnt_depctr 0xfff
	v_fma_f32 v46, -v42, v44, 1.0
	v_fma_f32 v47, -v43, v45, 1.0
	s_delay_alu instid0(VALU_DEP_1) | instskip(SKIP_1) | instid1(VALU_DEP_2)
	v_dual_fmac_f32 v44, v46, v44 :: v_dual_fmac_f32 v45, v47, v45
	v_div_scale_f32 v46, s1, s11, v19, s11
	v_mul_f32_e32 v47, v48, v44
	s_delay_alu instid0(VALU_DEP_2) | instskip(NEXT) | instid1(VALU_DEP_2)
	v_mul_f32_e32 v49, v46, v45
	v_fma_f32 v50, -v42, v47, v48
	s_delay_alu instid0(VALU_DEP_2) | instskip(NEXT) | instid1(VALU_DEP_2)
	v_fma_f32 v51, -v43, v49, v46
	v_fmac_f32_e32 v47, v50, v44
	s_delay_alu instid0(VALU_DEP_2) | instskip(NEXT) | instid1(VALU_DEP_2)
	v_fmac_f32_e32 v49, v51, v45
	v_fma_f32 v42, -v42, v47, v48
	s_delay_alu instid0(VALU_DEP_2) | instskip(NEXT) | instid1(VALU_DEP_2)
	v_fma_f32 v43, -v43, v49, v46
	v_div_fmas_f32 v42, v42, v44, v47
	s_mov_b32 vcc_lo, s1
	s_delay_alu instid0(VALU_DEP_2) | instskip(NEXT) | instid1(VALU_DEP_2)
	v_div_fmas_f32 v43, v43, v45, v49
	v_div_fixup_f32 v44, v42, v18, s10
	s_delay_alu instid0(VALU_DEP_2)
	v_div_fixup_f32 v42, v43, v19, s11
.LBB85_163:                             ;   in Loop: Header=BB85_89 Depth=1
	s_or_b32 exec_lo, exec_lo, s17
.LBB85_164:                             ;   in Loop: Header=BB85_89 Depth=1
	s_and_not1_saveexec_b32 s1, s3
	s_cbranch_execz .LBB85_166
; %bb.165:                              ;   in Loop: Header=BB85_89 Depth=1
	v_div_scale_f32 v42, null, v17, v17, v16
	v_div_scale_f32 v45, vcc_lo, v16, v17, v16
	s_delay_alu instid0(VALU_DEP_2) | instskip(SKIP_2) | instid1(VALU_DEP_1)
	v_rcp_f32_e32 v43, v42
	s_waitcnt_depctr 0xfff
	v_fma_f32 v44, -v42, v43, 1.0
	v_fmac_f32_e32 v43, v44, v43
	s_delay_alu instid0(VALU_DEP_1) | instskip(NEXT) | instid1(VALU_DEP_1)
	v_mul_f32_e32 v44, v45, v43
	v_fma_f32 v46, -v42, v44, v45
	s_delay_alu instid0(VALU_DEP_1) | instskip(NEXT) | instid1(VALU_DEP_1)
	v_fmac_f32_e32 v44, v46, v43
	v_fma_f32 v42, -v42, v44, v45
	s_delay_alu instid0(VALU_DEP_1) | instskip(NEXT) | instid1(VALU_DEP_1)
	v_div_fmas_f32 v42, v42, v43, v44
	v_div_fixup_f32 v42, v42, v17, v16
	s_delay_alu instid0(VALU_DEP_1) | instskip(NEXT) | instid1(VALU_DEP_1)
	v_fma_f32 v43, v16, v42, v17
	v_div_scale_f32 v44, null, v43, v43, 1.0
	v_div_scale_f32 v47, vcc_lo, 1.0, v43, 1.0
	s_delay_alu instid0(VALU_DEP_2) | instskip(SKIP_2) | instid1(VALU_DEP_1)
	v_rcp_f32_e32 v45, v44
	s_waitcnt_depctr 0xfff
	v_fma_f32 v46, -v44, v45, 1.0
	v_fmac_f32_e32 v45, v46, v45
	s_delay_alu instid0(VALU_DEP_1) | instskip(NEXT) | instid1(VALU_DEP_1)
	v_mul_f32_e32 v46, v47, v45
	v_fma_f32 v48, -v44, v46, v47
	s_delay_alu instid0(VALU_DEP_1) | instskip(NEXT) | instid1(VALU_DEP_1)
	v_fmac_f32_e32 v46, v48, v45
	v_fma_f32 v44, -v44, v46, v47
	s_delay_alu instid0(VALU_DEP_1) | instskip(SKIP_2) | instid1(VALU_DEP_3)
	v_div_fmas_f32 v44, v44, v45, v46
	v_fma_f32 v45, v42, s10, s11
	v_fma_f32 v42, v42, s11, -s10
	v_div_fixup_f32 v43, v44, v43, 1.0
	s_delay_alu instid0(VALU_DEP_1) | instskip(NEXT) | instid1(VALU_DEP_3)
	v_mul_f32_e32 v44, v45, v43
	v_mul_f32_e32 v42, v42, v43
.LBB85_166:                             ;   in Loop: Header=BB85_89 Depth=1
	s_or_b32 exec_lo, exec_lo, s1
	s_delay_alu instid0(VALU_DEP_1) | instskip(SKIP_1) | instid1(VALU_DEP_1)
	v_mul_f32_e32 v43, s5, v42
	v_mul_f32_e32 v42, s4, v42
	v_fmac_f32_e32 v42, s5, v44
	s_delay_alu instid0(VALU_DEP_3)
	v_fma_f32 v43, v44, s4, -v43
	s_branch .LBB85_177
.LBB85_167:                             ;   in Loop: Header=BB85_89 Depth=1
                                        ; implicit-def: $vgpr42
                                        ; implicit-def: $vgpr43
	s_cbranch_execz .LBB85_177
; %bb.168:                              ;   in Loop: Header=BB85_89 Depth=1
                                        ; implicit-def: $vgpr42
                                        ; implicit-def: $vgpr43
	s_delay_alu instid0(VALU_DEP_1) | instskip(NEXT) | instid1(SALU_CYCLE_1)
	s_and_saveexec_b32 s1, s0
	s_xor_b32 s1, exec_lo, s1
	s_cbranch_execz .LBB85_174
; %bb.169:                              ;   in Loop: Header=BB85_89 Depth=1
	v_cmp_neq_f32_e32 vcc_lo, 0, v16
	v_cmp_neq_f32_e64 s0, 0, v17
                                        ; implicit-def: $vgpr42
                                        ; implicit-def: $vgpr43
	s_delay_alu instid0(VALU_DEP_1) | instskip(NEXT) | instid1(SALU_CYCLE_1)
	s_or_b32 s0, s0, vcc_lo
	s_and_saveexec_b32 s3, s0
	s_delay_alu instid0(SALU_CYCLE_1)
	s_xor_b32 s0, exec_lo, s3
	s_cbranch_execz .LBB85_171
; %bb.170:                              ;   in Loop: Header=BB85_89 Depth=1
	v_div_scale_f32 v18, null, v16, v16, v17
	v_div_scale_f32 v43, vcc_lo, v17, v16, v17
	s_delay_alu instid0(VALU_DEP_2) | instskip(SKIP_2) | instid1(VALU_DEP_1)
	v_rcp_f32_e32 v19, v18
	s_waitcnt_depctr 0xfff
	v_fma_f32 v42, -v18, v19, 1.0
	v_fmac_f32_e32 v19, v42, v19
	s_delay_alu instid0(VALU_DEP_1) | instskip(NEXT) | instid1(VALU_DEP_1)
	v_mul_f32_e32 v42, v43, v19
	v_fma_f32 v44, -v18, v42, v43
	s_delay_alu instid0(VALU_DEP_1) | instskip(NEXT) | instid1(VALU_DEP_1)
	v_fmac_f32_e32 v42, v44, v19
	v_fma_f32 v18, -v18, v42, v43
	s_delay_alu instid0(VALU_DEP_1) | instskip(NEXT) | instid1(VALU_DEP_1)
	v_div_fmas_f32 v18, v18, v19, v42
	v_div_fixup_f32 v18, v18, v16, v17
	s_delay_alu instid0(VALU_DEP_1) | instskip(NEXT) | instid1(VALU_DEP_1)
	v_fmac_f32_e32 v16, v17, v18
	v_div_scale_f32 v17, null, v16, v16, 1.0
	v_div_scale_f32 v43, vcc_lo, 1.0, v16, 1.0
	s_delay_alu instid0(VALU_DEP_2) | instskip(SKIP_2) | instid1(VALU_DEP_1)
	v_rcp_f32_e32 v19, v17
	s_waitcnt_depctr 0xfff
	v_fma_f32 v42, -v17, v19, 1.0
	v_fmac_f32_e32 v19, v42, v19
	s_delay_alu instid0(VALU_DEP_1) | instskip(NEXT) | instid1(VALU_DEP_1)
	v_mul_f32_e32 v42, v43, v19
	v_fma_f32 v44, -v17, v42, v43
	s_delay_alu instid0(VALU_DEP_1) | instskip(NEXT) | instid1(VALU_DEP_1)
	v_fmac_f32_e32 v42, v44, v19
	v_fma_f32 v17, -v17, v42, v43
	s_delay_alu instid0(VALU_DEP_1) | instskip(SKIP_1) | instid1(VALU_DEP_2)
	v_div_fmas_f32 v17, v17, v19, v42
	v_fma_f32 v19, v18, s11, s10
	v_div_fixup_f32 v16, v17, v16, 1.0
	v_fma_f32 v17, -v18, s10, s11
                                        ; implicit-def: $vgpr18
	s_delay_alu instid0(VALU_DEP_2) | instskip(NEXT) | instid1(VALU_DEP_2)
	v_mul_f32_e32 v43, v19, v16
	v_mul_f32_e32 v42, v17, v16
                                        ; implicit-def: $vgpr19
.LBB85_171:                             ;   in Loop: Header=BB85_89 Depth=1
	s_and_not1_saveexec_b32 s3, s0
	s_cbranch_execz .LBB85_173
; %bb.172:                              ;   in Loop: Header=BB85_89 Depth=1
	v_div_scale_f32 v16, null, v18, v18, s10
	v_div_scale_f32 v17, null, v19, v19, s11
	v_div_scale_f32 v46, vcc_lo, s10, v18, s10
	s_delay_alu instid0(VALU_DEP_3) | instskip(NEXT) | instid1(VALU_DEP_2)
	v_rcp_f32_e32 v42, v16
	v_rcp_f32_e32 v43, v17
	s_waitcnt_depctr 0xfff
	v_fma_f32 v44, -v16, v42, 1.0
	v_fma_f32 v45, -v17, v43, 1.0
	s_delay_alu instid0(VALU_DEP_1) | instskip(SKIP_1) | instid1(VALU_DEP_2)
	v_dual_fmac_f32 v42, v44, v42 :: v_dual_fmac_f32 v43, v45, v43
	v_div_scale_f32 v44, s0, s11, v19, s11
	v_mul_f32_e32 v45, v46, v42
	s_delay_alu instid0(VALU_DEP_2) | instskip(NEXT) | instid1(VALU_DEP_2)
	v_mul_f32_e32 v47, v44, v43
	v_fma_f32 v48, -v16, v45, v46
	s_delay_alu instid0(VALU_DEP_2) | instskip(NEXT) | instid1(VALU_DEP_2)
	v_fma_f32 v49, -v17, v47, v44
	v_fmac_f32_e32 v45, v48, v42
	s_delay_alu instid0(VALU_DEP_2) | instskip(NEXT) | instid1(VALU_DEP_2)
	v_fmac_f32_e32 v47, v49, v43
	v_fma_f32 v16, -v16, v45, v46
	s_delay_alu instid0(VALU_DEP_2) | instskip(NEXT) | instid1(VALU_DEP_2)
	v_fma_f32 v17, -v17, v47, v44
	v_div_fmas_f32 v16, v16, v42, v45
	s_mov_b32 vcc_lo, s0
	s_delay_alu instid0(VALU_DEP_2) | instskip(NEXT) | instid1(VALU_DEP_2)
	v_div_fmas_f32 v17, v17, v43, v47
	v_div_fixup_f32 v43, v16, v18, s10
	s_delay_alu instid0(VALU_DEP_2)
	v_div_fixup_f32 v42, v17, v19, s11
.LBB85_173:                             ;   in Loop: Header=BB85_89 Depth=1
	s_or_b32 exec_lo, exec_lo, s3
                                        ; implicit-def: $vgpr17
.LBB85_174:                             ;   in Loop: Header=BB85_89 Depth=1
	s_and_not1_saveexec_b32 s0, s1
	s_cbranch_execz .LBB85_176
; %bb.175:                              ;   in Loop: Header=BB85_89 Depth=1
	v_div_scale_f32 v18, null, v17, v17, v16
	v_div_scale_f32 v43, vcc_lo, v16, v17, v16
	s_delay_alu instid0(VALU_DEP_2) | instskip(SKIP_2) | instid1(VALU_DEP_1)
	v_rcp_f32_e32 v19, v18
	s_waitcnt_depctr 0xfff
	v_fma_f32 v42, -v18, v19, 1.0
	v_fmac_f32_e32 v19, v42, v19
	s_delay_alu instid0(VALU_DEP_1) | instskip(NEXT) | instid1(VALU_DEP_1)
	v_mul_f32_e32 v42, v43, v19
	v_fma_f32 v44, -v18, v42, v43
	s_delay_alu instid0(VALU_DEP_1) | instskip(NEXT) | instid1(VALU_DEP_1)
	v_fmac_f32_e32 v42, v44, v19
	v_fma_f32 v18, -v18, v42, v43
	s_delay_alu instid0(VALU_DEP_1) | instskip(NEXT) | instid1(VALU_DEP_1)
	v_div_fmas_f32 v18, v18, v19, v42
	v_div_fixup_f32 v18, v18, v17, v16
	s_delay_alu instid0(VALU_DEP_1) | instskip(NEXT) | instid1(VALU_DEP_1)
	v_fmac_f32_e32 v17, v16, v18
	v_div_scale_f32 v16, null, v17, v17, 1.0
	v_div_scale_f32 v43, vcc_lo, 1.0, v17, 1.0
	s_delay_alu instid0(VALU_DEP_2) | instskip(SKIP_2) | instid1(VALU_DEP_1)
	v_rcp_f32_e32 v19, v16
	s_waitcnt_depctr 0xfff
	v_fma_f32 v42, -v16, v19, 1.0
	v_fmac_f32_e32 v19, v42, v19
	s_delay_alu instid0(VALU_DEP_1) | instskip(NEXT) | instid1(VALU_DEP_1)
	v_mul_f32_e32 v42, v43, v19
	v_fma_f32 v44, -v16, v42, v43
	s_delay_alu instid0(VALU_DEP_1) | instskip(NEXT) | instid1(VALU_DEP_1)
	v_fmac_f32_e32 v42, v44, v19
	v_fma_f32 v16, -v16, v42, v43
	s_delay_alu instid0(VALU_DEP_1) | instskip(SKIP_1) | instid1(VALU_DEP_2)
	v_div_fmas_f32 v16, v16, v19, v42
	v_fma_f32 v19, v18, s10, s11
	v_div_fixup_f32 v16, v16, v17, 1.0
	v_fma_f32 v17, v18, s11, -s10
	s_delay_alu instid0(VALU_DEP_2) | instskip(NEXT) | instid1(VALU_DEP_2)
	v_mul_f32_e32 v43, v19, v16
	v_mul_f32_e32 v42, v17, v16
.LBB85_176:                             ;   in Loop: Header=BB85_89 Depth=1
	s_or_b32 exec_lo, exec_lo, s0
.LBB85_177:                             ;   in Loop: Header=BB85_89 Depth=1
	s_delay_alu instid0(SALU_CYCLE_1)
	s_mov_b32 s0, exec_lo
	v_cmpx_gt_u64_e64 s[12:13], v[0:1]
	s_xor_b32 s0, exec_lo, s0
	s_cbranch_execz .LBB85_179
; %bb.178:                              ;   in Loop: Header=BB85_89 Depth=1
	v_add_co_u32 v16, vcc_lo, v28, s6
	v_dual_add_f32 v2, v2, v41 :: v_dual_add_f32 v3, v3, v40
	v_add_co_ci_u32_e32 v17, vcc_lo, s7, v29, vcc_lo
	global_store_b64 v[16:17], v[2:3], off offset:-4
.LBB85_179:                             ;   in Loop: Header=BB85_89 Depth=1
	s_or_b32 exec_lo, exec_lo, s0
	s_delay_alu instid0(SALU_CYCLE_1)
	s_mov_b32 s0, exec_lo
	v_cmpx_gt_u64_e64 s[12:13], v[4:5]
	s_cbranch_execnz .LBB85_182
; %bb.180:                              ;   in Loop: Header=BB85_89 Depth=1
	s_or_b32 exec_lo, exec_lo, s0
	s_delay_alu instid0(SALU_CYCLE_1)
	s_mov_b32 s0, exec_lo
	v_cmpx_gt_u64_e64 s[12:13], v[8:9]
	s_cbranch_execnz .LBB85_183
.LBB85_181:                             ;   in Loop: Header=BB85_89 Depth=1
	s_or_b32 exec_lo, exec_lo, s0
	s_delay_alu instid0(SALU_CYCLE_1)
	s_mov_b32 s0, exec_lo
	v_cmpx_gt_u64_e64 s[12:13], v[12:13]
	s_cbranch_execz .LBB85_88
	s_branch .LBB85_184
.LBB85_182:                             ;   in Loop: Header=BB85_89 Depth=1
	v_add_co_u32 v4, vcc_lo, v26, s6
	v_dual_add_f32 v2, v6, v23 :: v_dual_add_f32 v3, v7, v22
	v_add_co_ci_u32_e32 v5, vcc_lo, s7, v27, vcc_lo
	global_store_b64 v[4:5], v[2:3], off
	s_or_b32 exec_lo, exec_lo, s0
	s_delay_alu instid0(SALU_CYCLE_1)
	s_mov_b32 s0, exec_lo
	v_cmpx_gt_u64_e64 s[12:13], v[8:9]
	s_cbranch_execz .LBB85_181
.LBB85_183:                             ;   in Loop: Header=BB85_89 Depth=1
	v_add_co_u32 v4, vcc_lo, v36, s6
	v_dual_add_f32 v2, v10, v21 :: v_dual_add_f32 v3, v11, v20
	v_add_co_ci_u32_e32 v5, vcc_lo, s7, v37, vcc_lo
	global_store_b64 v[4:5], v[2:3], off
	s_or_b32 exec_lo, exec_lo, s0
	s_delay_alu instid0(SALU_CYCLE_1)
	s_mov_b32 s0, exec_lo
	v_cmpx_gt_u64_e64 s[12:13], v[12:13]
	s_cbranch_execz .LBB85_88
.LBB85_184:                             ;   in Loop: Header=BB85_89 Depth=1
	v_add_co_u32 v4, vcc_lo, v34, s6
	v_dual_add_f32 v2, v14, v43 :: v_dual_add_f32 v3, v15, v42
	v_add_co_ci_u32_e32 v5, vcc_lo, s7, v35, vcc_lo
	global_store_b64 v[4:5], v[2:3], off offset:-4
	s_branch .LBB85_88
.LBB85_185:
	s_nop 0
	s_sendmsg sendmsg(MSG_DEALLOC_VGPRS)
	s_endpgm
	.section	.rodata,"a",@progbits
	.p2align	6, 0x0
	.amdhsa_kernel _ZN2at6native12_GLOBAL__N_125multi_tensor_apply_kernelINS1_18TensorListMetadataILi3EEENS1_32PointwiseOpScalar0dTensorFunctorIN3c107complexIfEELi3ELi2ELi0EEEJSt7dividesIS8_ES8_EEEvT_T0_DpT1_
		.amdhsa_group_segment_fixed_size 0
		.amdhsa_private_segment_fixed_size 0
		.amdhsa_kernarg_size 3416
		.amdhsa_user_sgpr_count 15
		.amdhsa_user_sgpr_dispatch_ptr 0
		.amdhsa_user_sgpr_queue_ptr 0
		.amdhsa_user_sgpr_kernarg_segment_ptr 1
		.amdhsa_user_sgpr_dispatch_id 0
		.amdhsa_user_sgpr_private_segment_size 0
		.amdhsa_wavefront_size32 1
		.amdhsa_uses_dynamic_stack 0
		.amdhsa_enable_private_segment 0
		.amdhsa_system_sgpr_workgroup_id_x 1
		.amdhsa_system_sgpr_workgroup_id_y 0
		.amdhsa_system_sgpr_workgroup_id_z 0
		.amdhsa_system_sgpr_workgroup_info 0
		.amdhsa_system_vgpr_workitem_id 0
		.amdhsa_next_free_vgpr 52
		.amdhsa_next_free_sgpr 27
		.amdhsa_reserve_vcc 1
		.amdhsa_float_round_mode_32 0
		.amdhsa_float_round_mode_16_64 0
		.amdhsa_float_denorm_mode_32 3
		.amdhsa_float_denorm_mode_16_64 3
		.amdhsa_dx10_clamp 1
		.amdhsa_ieee_mode 1
		.amdhsa_fp16_overflow 0
		.amdhsa_workgroup_processor_mode 1
		.amdhsa_memory_ordered 1
		.amdhsa_forward_progress 0
		.amdhsa_shared_vgpr_count 0
		.amdhsa_exception_fp_ieee_invalid_op 0
		.amdhsa_exception_fp_denorm_src 0
		.amdhsa_exception_fp_ieee_div_zero 0
		.amdhsa_exception_fp_ieee_overflow 0
		.amdhsa_exception_fp_ieee_underflow 0
		.amdhsa_exception_fp_ieee_inexact 0
		.amdhsa_exception_int_div_zero 0
	.end_amdhsa_kernel
	.section	.text._ZN2at6native12_GLOBAL__N_125multi_tensor_apply_kernelINS1_18TensorListMetadataILi3EEENS1_32PointwiseOpScalar0dTensorFunctorIN3c107complexIfEELi3ELi2ELi0EEEJSt7dividesIS8_ES8_EEEvT_T0_DpT1_,"axG",@progbits,_ZN2at6native12_GLOBAL__N_125multi_tensor_apply_kernelINS1_18TensorListMetadataILi3EEENS1_32PointwiseOpScalar0dTensorFunctorIN3c107complexIfEELi3ELi2ELi0EEEJSt7dividesIS8_ES8_EEEvT_T0_DpT1_,comdat
.Lfunc_end85:
	.size	_ZN2at6native12_GLOBAL__N_125multi_tensor_apply_kernelINS1_18TensorListMetadataILi3EEENS1_32PointwiseOpScalar0dTensorFunctorIN3c107complexIfEELi3ELi2ELi0EEEJSt7dividesIS8_ES8_EEEvT_T0_DpT1_, .Lfunc_end85-_ZN2at6native12_GLOBAL__N_125multi_tensor_apply_kernelINS1_18TensorListMetadataILi3EEENS1_32PointwiseOpScalar0dTensorFunctorIN3c107complexIfEELi3ELi2ELi0EEEJSt7dividesIS8_ES8_EEEvT_T0_DpT1_
                                        ; -- End function
	.section	.AMDGPU.csdata,"",@progbits
; Kernel info:
; codeLenInByte = 13664
; NumSgprs: 29
; NumVgprs: 52
; ScratchSize: 0
; MemoryBound: 0
; FloatMode: 240
; IeeeMode: 1
; LDSByteSize: 0 bytes/workgroup (compile time only)
; SGPRBlocks: 3
; VGPRBlocks: 6
; NumSGPRsForWavesPerEU: 29
; NumVGPRsForWavesPerEU: 52
; Occupancy: 16
; WaveLimiterHint : 0
; COMPUTE_PGM_RSRC2:SCRATCH_EN: 0
; COMPUTE_PGM_RSRC2:USER_SGPR: 15
; COMPUTE_PGM_RSRC2:TRAP_HANDLER: 0
; COMPUTE_PGM_RSRC2:TGID_X_EN: 1
; COMPUTE_PGM_RSRC2:TGID_Y_EN: 0
; COMPUTE_PGM_RSRC2:TGID_Z_EN: 0
; COMPUTE_PGM_RSRC2:TIDIG_COMP_CNT: 0
	.section	.text._ZN2at6native12_GLOBAL__N_125multi_tensor_apply_kernelINS1_18TensorListMetadataILi3EEENS1_32PointwiseOpScalar0dTensorFunctorIN3c104HalfELi3ELi2ELi0EEEJSt7dividesIfEfEEEvT_T0_DpT1_,"axG",@progbits,_ZN2at6native12_GLOBAL__N_125multi_tensor_apply_kernelINS1_18TensorListMetadataILi3EEENS1_32PointwiseOpScalar0dTensorFunctorIN3c104HalfELi3ELi2ELi0EEEJSt7dividesIfEfEEEvT_T0_DpT1_,comdat
	.globl	_ZN2at6native12_GLOBAL__N_125multi_tensor_apply_kernelINS1_18TensorListMetadataILi3EEENS1_32PointwiseOpScalar0dTensorFunctorIN3c104HalfELi3ELi2ELi0EEEJSt7dividesIfEfEEEvT_T0_DpT1_ ; -- Begin function _ZN2at6native12_GLOBAL__N_125multi_tensor_apply_kernelINS1_18TensorListMetadataILi3EEENS1_32PointwiseOpScalar0dTensorFunctorIN3c104HalfELi3ELi2ELi0EEEJSt7dividesIfEfEEEvT_T0_DpT1_
	.p2align	8
	.type	_ZN2at6native12_GLOBAL__N_125multi_tensor_apply_kernelINS1_18TensorListMetadataILi3EEENS1_32PointwiseOpScalar0dTensorFunctorIN3c104HalfELi3ELi2ELi0EEEJSt7dividesIfEfEEEvT_T0_DpT1_,@function
_ZN2at6native12_GLOBAL__N_125multi_tensor_apply_kernelINS1_18TensorListMetadataILi3EEENS1_32PointwiseOpScalar0dTensorFunctorIN3c104HalfELi3ELi2ELi0EEEJSt7dividesIfEfEEEvT_T0_DpT1_: ; @_ZN2at6native12_GLOBAL__N_125multi_tensor_apply_kernelINS1_18TensorListMetadataILi3EEENS1_32PointwiseOpScalar0dTensorFunctorIN3c104HalfELi3ELi2ELi0EEEJSt7dividesIfEfEEEvT_T0_DpT1_
; %bb.0:
	v_dual_mov_b32 v1, s15 :: v_dual_mov_b32 v2, 0
	s_add_u32 s2, s0, s15
	s_mul_i32 s4, s15, 3
	s_addc_u32 s3, s1, 0
	global_load_u8 v1, v1, s[0:1] offset:1536
	s_load_b32 s16, s[0:1], 0xc4c
	s_mul_hi_u32 s5, s15, 3
	s_add_u32 s2, s2, s4
	s_addc_u32 s3, s3, s5
	s_mov_b32 s23, 0
	s_load_b32 s2, s[2:3], 0x740
	s_waitcnt vmcnt(0)
	v_readfirstlane_b32 s3, v1
	s_delay_alu instid0(VALU_DEP_1)
	s_lshl_b32 s3, s3, 3
	s_clause 0x1
	s_load_b64 s[4:5], s[0:1], s3 offset:0x180
	s_load_b64 s[12:13], s[0:1], s3 offset:0x300
	s_waitcnt lgkmcnt(0)
	global_load_u16 v1, v2, s[4:5]
	s_clause 0x1
	s_load_b64 s[14:15], s[0:1], s3 offset:0x0
	s_load_b64 s[6:7], s[0:1], s3 offset:0x480
	s_ashr_i32 s3, s2, 31
	s_delay_alu instid0(SALU_CYCLE_1)
	s_lshl_b64 s[8:9], s[2:3], 17
	s_waitcnt lgkmcnt(0)
	s_add_u32 s17, s14, s8
	s_addc_u32 s18, s15, s9
	s_and_b32 s22, s17, 7
	s_add_u32 s4, s4, s8
	s_add_u32 s19, s12, s8
	s_addc_u32 s20, s13, s9
	s_or_b32 s4, s19, s4
	s_delay_alu instid0(SALU_CYCLE_1) | instskip(NEXT) | instid1(SALU_CYCLE_1)
	s_and_b32 s4, s4, 7
	s_cmp_lg_u32 s4, 0
	s_cselect_b32 s4, -1, 0
	s_lshl_b64 s[2:3], s[2:3], 16
	s_delay_alu instid0(SALU_CYCLE_1) | instskip(SKIP_3) | instid1(SALU_CYCLE_1)
	s_sub_u32 s10, s6, s2
	s_subb_u32 s11, s7, s3
	s_and_b32 s2, s6, 3
	s_mov_b32 s3, s23
	s_or_b64 s[2:3], s[22:23], s[2:3]
	s_delay_alu instid0(SALU_CYCLE_1) | instskip(SKIP_1) | instid1(SALU_CYCLE_1)
	s_cmp_lg_u64 s[2:3], 0
	s_cselect_b32 s2, -1, 0
	s_or_b32 s2, s4, s2
	s_delay_alu instid0(SALU_CYCLE_1)
	s_and_not1_b32 vcc_lo, exec_lo, s2
	s_mov_b32 s2, -1
	s_waitcnt vmcnt(0)
	v_cvt_f32_f16_e32 v8, v1
	s_cbranch_vccz .LBB86_5
; %bb.1:
	v_lshlrev_b32_e32 v1, 2, v0
	s_mov_b32 s21, exec_lo
	s_delay_alu instid0(VALU_DEP_1)
	v_cmpx_gt_i64_e64 s[10:11], v[1:2]
	s_cbranch_execz .LBB86_4
; %bb.2:
	s_load_b32 s3, s[0:1], 0xc5c
	v_cmp_eq_f32_e64 s2, s16, 1.0
	v_dual_mov_b32 v2, 0 :: v_dual_lshlrev_b32 v3, 3, v0
	s_mov_b32 s22, 0
	s_waitcnt lgkmcnt(0)
	s_and_b32 s3, s3, 0xffff
	s_delay_alu instid0(SALU_CYCLE_1)
	v_add_lshl_u32 v1, v0, s3, 2
	s_lshl_b32 s23, s3, 2
	s_lshl_b32 s24, s3, 3
.LBB86_3:                               ; =>This Inner Loop Header: Depth=1
	v_add_co_u32 v4, s3, s19, v3
	s_delay_alu instid0(VALU_DEP_1) | instskip(SKIP_1) | instid1(VALU_DEP_1)
	v_add_co_ci_u32_e64 v5, null, s20, 0, s3
	v_add_co_u32 v6, s3, s17, v3
	v_add_co_ci_u32_e64 v7, null, s18, 0, s3
	global_load_b64 v[4:5], v[4:5], off
	global_load_b64 v[9:10], v[6:7], off
	v_cmp_le_i64_e64 s3, s[10:11], v[1:2]
	v_cmp_lt_u64_e64 s4, 0xffff, v[1:2]
	v_add_co_u32 v1, vcc_lo, v1, s23
	v_add_co_ci_u32_e32 v2, vcc_lo, 0, v2, vcc_lo
	s_delay_alu instid0(VALU_DEP_3)
	s_or_b32 s3, s3, s4
	s_add_u32 s17, s17, s24
	s_addc_u32 s18, s18, 0
	s_add_u32 s19, s19, s24
	s_addc_u32 s20, s20, 0
	s_and_b32 s3, exec_lo, s3
	s_delay_alu instid0(SALU_CYCLE_1)
	s_or_b32 s22, s3, s22
	s_waitcnt vmcnt(1)
	v_lshrrev_b32_e32 v13, 16, v4
	v_lshrrev_b32_e32 v14, 16, v5
	v_cvt_f32_f16_e32 v4, v4
	v_cvt_f32_f16_e32 v5, v5
	s_waitcnt vmcnt(0)
	v_cvt_f32_f16_e32 v15, v9
	v_cvt_f32_f16_e32 v13, v13
	;; [unrolled: 1-line block ×3, first 2 shown]
	v_div_scale_f32 v17, null, v4, v4, v8
	v_div_scale_f32 v19, null, v5, v5, v8
	s_delay_alu instid0(VALU_DEP_4) | instskip(NEXT) | instid1(VALU_DEP_3)
	v_div_scale_f32 v22, null, v13, v13, v8
	v_rcp_f32_e32 v21, v17
	s_delay_alu instid0(VALU_DEP_2) | instskip(SKIP_1) | instid1(VALU_DEP_2)
	v_rcp_f32_e32 v24, v19
	v_div_scale_f32 v25, null, v14, v14, v8
	v_rcp_f32_e32 v27, v22
	v_div_scale_f32 v18, vcc_lo, v8, v4, v8
	s_delay_alu instid0(VALU_DEP_2) | instskip(SKIP_2) | instid1(TRANS32_DEP_3)
	v_rcp_f32_e32 v28, v25
	v_div_scale_f32 v23, s6, v8, v13, v8
	v_fma_f32 v29, -v17, v21, 1.0
	v_fma_f32 v30, -v19, v24, 1.0
	v_div_scale_f32 v20, s5, v8, v5, v8
	v_div_scale_f32 v26, s7, v8, v14, v8
	s_delay_alu instid0(VALU_DEP_3) | instskip(NEXT) | instid1(TRANS32_DEP_2)
	v_dual_fmac_f32 v21, v29, v21 :: v_dual_fmac_f32 v24, v30, v24
	v_fma_f32 v29, -v22, v27, 1.0
	s_delay_alu instid0(TRANS32_DEP_1) | instskip(SKIP_3) | instid1(VALU_DEP_4)
	v_fma_f32 v30, -v25, v28, 1.0
	v_lshrrev_b32_e32 v11, 16, v9
	v_lshrrev_b32_e32 v12, 16, v10
	v_cvt_f32_f16_e32 v16, v10
	v_dual_fmac_f32 v27, v29, v27 :: v_dual_fmac_f32 v28, v30, v28
	v_mul_f32_e32 v31, v18, v21
	v_cvt_f32_f16_e32 v11, v11
	v_cvt_f32_f16_e32 v12, v12
	s_delay_alu instid0(VALU_DEP_4) | instskip(NEXT) | instid1(VALU_DEP_4)
	v_mul_f32_e32 v32, v23, v27
	v_fma_f32 v30, -v17, v31, v18
	s_delay_alu instid0(VALU_DEP_1) | instskip(NEXT) | instid1(VALU_DEP_3)
	v_fmac_f32_e32 v31, v30, v21
	v_fma_f32 v30, -v22, v32, v23
	v_mul_f32_e32 v29, v20, v24
	s_delay_alu instid0(VALU_DEP_3) | instskip(NEXT) | instid1(VALU_DEP_3)
	v_fma_f32 v17, -v17, v31, v18
	v_fmac_f32_e32 v32, v30, v27
	s_delay_alu instid0(VALU_DEP_3) | instskip(NEXT) | instid1(VALU_DEP_3)
	v_fma_f32 v33, -v19, v29, v20
	v_div_fmas_f32 v17, v17, v21, v31
	s_mov_b32 vcc_lo, s6
	s_delay_alu instid0(VALU_DEP_2) | instskip(NEXT) | instid1(VALU_DEP_2)
	v_fmac_f32_e32 v29, v33, v24
	v_div_fixup_f32 v4, v17, v4, v8
	v_mul_f32_e32 v34, v26, v28
	s_delay_alu instid0(VALU_DEP_3) | instskip(SKIP_1) | instid1(VALU_DEP_4)
	v_fma_f32 v18, -v19, v29, v20
	v_fma_f32 v19, -v22, v32, v23
	v_add_f32_e32 v15, v4, v15
	s_delay_alu instid0(VALU_DEP_4) | instskip(SKIP_1) | instid1(VALU_DEP_4)
	v_fma_f32 v33, -v25, v34, v26
	v_fma_mix_f32 v4, s16, v4, v9 op_sel_hi:[0,0,1]
	v_div_fmas_f32 v17, v19, v27, v32
	s_mov_b32 vcc_lo, s5
	s_delay_alu instid0(VALU_DEP_3)
	v_fmac_f32_e32 v34, v33, v28
	v_div_fmas_f32 v18, v18, v24, v29
	s_mov_b32 vcc_lo, s7
	v_div_fixup_f32 v13, v17, v13, v8
	v_cndmask_b32_e64 v4, v4, v15, s2
	v_fma_f32 v20, -v25, v34, v26
	v_div_fixup_f32 v5, v18, v5, v8
	s_delay_alu instid0(VALU_DEP_4) | instskip(NEXT) | instid1(VALU_DEP_4)
	v_fma_mix_f32 v9, s16, v13, v9 op_sel:[0,0,1] op_sel_hi:[0,0,1]
	v_cvt_f16_f32_e32 v4, v4
	s_delay_alu instid0(VALU_DEP_4) | instskip(NEXT) | instid1(VALU_DEP_1)
	v_div_fmas_f32 v19, v20, v28, v34
	v_div_fixup_f32 v14, v19, v14, v8
	v_add_f32_e32 v11, v13, v11
	v_add_f32_e32 v13, v5, v16
	v_fma_mix_f32 v5, s16, v5, v10 op_sel_hi:[0,0,1]
	s_delay_alu instid0(VALU_DEP_4) | instskip(SKIP_2) | instid1(VALU_DEP_4)
	v_add_f32_e32 v12, v14, v12
	v_fma_mix_f32 v10, s16, v14, v10 op_sel:[0,0,1] op_sel_hi:[0,0,1]
	v_cndmask_b32_e64 v9, v9, v11, s2
	v_cndmask_b32_e64 v5, v5, v13, s2
	s_delay_alu instid0(VALU_DEP_3) | instskip(NEXT) | instid1(VALU_DEP_3)
	v_cndmask_b32_e64 v10, v10, v12, s2
	v_cvt_f16_f32_e32 v9, v9
	s_delay_alu instid0(VALU_DEP_3) | instskip(NEXT) | instid1(VALU_DEP_3)
	v_cvt_f16_f32_e32 v5, v5
	v_cvt_f16_f32_e32 v10, v10
	s_delay_alu instid0(VALU_DEP_3) | instskip(NEXT) | instid1(VALU_DEP_2)
	v_pack_b32_f16 v4, v4, v9
	v_pack_b32_f16 v5, v5, v10
	global_store_b64 v[6:7], v[4:5], off
	s_and_not1_b32 exec_lo, exec_lo, s22
	s_cbranch_execnz .LBB86_3
.LBB86_4:
	s_or_b32 exec_lo, exec_lo, s21
	s_mov_b32 s2, 0
.LBB86_5:
	s_delay_alu instid0(SALU_CYCLE_1)
	s_and_not1_b32 vcc_lo, exec_lo, s2
	s_cbranch_vccnz .LBB86_25
; %bb.6:
	v_cmp_lt_i64_e64 s2, s[10:11], 1
	s_delay_alu instid0(VALU_DEP_1)
	s_and_b32 vcc_lo, exec_lo, s2
	s_cbranch_vccnz .LBB86_25
; %bb.7:
	s_load_b32 s1, s[0:1], 0xc5c
	v_dual_mov_b32 v1, 0 :: v_dual_lshlrev_b32 v2, 1, v0
	v_cmp_gt_u64_e64 s2, 0x10000, s[10:11]
	v_cmp_eq_f32_e64 s0, s16, 1.0
	s_mov_b32 s3, 0
	s_delay_alu instid0(VALU_DEP_3) | instskip(SKIP_1) | instid1(VALU_DEP_1)
	v_mov_b32_e32 v3, v1
	v_add_co_u32 v9, s4, s14, v2
	v_add_co_ci_u32_e64 v10, null, s15, 0, s4
	v_add_co_u32 v11, s4, s12, v2
	s_delay_alu instid0(VALU_DEP_1)
	v_add_co_ci_u32_e64 v12, null, s13, 0, s4
	s_waitcnt lgkmcnt(0)
	s_and_b32 s17, s1, 0xffff
	s_and_b32 s1, s2, exec_lo
	v_mad_u64_u32 v[4:5], null, s17, 6, v[2:3]
	s_cselect_b32 s5, s11, 0
	s_cselect_b32 s4, s10, 0x10000
	s_lshl_b32 s2, s17, 2
	s_lshl_b32 s18, s17, 1
	v_add_co_u32 v2, s1, s2, v2
	s_delay_alu instid0(VALU_DEP_2) | instskip(NEXT) | instid1(VALU_DEP_3)
	v_add_co_u32 v13, vcc_lo, s14, v4
	v_add_co_ci_u32_e32 v14, vcc_lo, s15, v5, vcc_lo
	v_add_co_u32 v15, vcc_lo, s12, v4
	v_add_lshl_u32 v4, v0, s17, 1
	v_add_co_ci_u32_e64 v3, null, 0, 0, s1
	v_add_co_ci_u32_e32 v16, vcc_lo, s13, v5, vcc_lo
	v_add_co_u32 v17, vcc_lo, s14, v2
	s_delay_alu instid0(VALU_DEP_4) | instskip(NEXT) | instid1(VALU_DEP_4)
	v_add_co_u32 v21, s1, s14, v4
	v_add_co_ci_u32_e32 v18, vcc_lo, s15, v3, vcc_lo
	v_add_co_u32 v19, vcc_lo, s12, v2
	v_add_co_ci_u32_e64 v22, null, s15, 0, s1
	v_add_co_u32 v23, s1, s12, v4
	v_add_co_ci_u32_e32 v20, vcc_lo, s13, v3, vcc_lo
	v_add_co_ci_u32_e64 v24, null, s13, 0, s1
	s_mul_i32 s12, s17, 3
	s_lshl_b32 s13, s17, 3
	s_mov_b64 s[6:7], s[2:3]
	s_branch .LBB86_9
.LBB86_8:                               ;   in Loop: Header=BB86_9 Depth=1
	s_or_b32 exec_lo, exec_lo, s1
	v_add_co_u32 v9, vcc_lo, v9, s13
	v_add_co_ci_u32_e32 v10, vcc_lo, 0, v10, vcc_lo
	v_add_co_u32 v11, vcc_lo, v11, s13
	v_add_co_ci_u32_e32 v12, vcc_lo, 0, v12, vcc_lo
	;; [unrolled: 2-line block ×7, first 2 shown]
	v_cmp_ge_i64_e64 s1, s[6:7], s[10:11]
	v_cmp_lt_u64_e64 s3, 0xffff, s[6:7]
	v_add_co_u32 v21, vcc_lo, v21, s13
	v_add_co_ci_u32_e32 v22, vcc_lo, 0, v22, vcc_lo
	v_add_co_u32 v23, vcc_lo, v23, s13
	v_add_co_ci_u32_e32 v24, vcc_lo, 0, v24, vcc_lo
	s_or_b32 s1, s1, s3
	s_add_u32 s6, s6, s2
	s_addc_u32 s7, s7, 0
	s_and_b32 vcc_lo, exec_lo, s1
	s_cbranch_vccnz .LBB86_25
.LBB86_9:                               ; =>This Inner Loop Header: Depth=1
	v_cmp_gt_i64_e32 vcc_lo, s[10:11], v[0:1]
	v_cmp_gt_u64_e64 s1, 0x10000, v[0:1]
	s_waitcnt vmcnt(0)
	v_dual_mov_b32 v32, 0 :: v_dual_mov_b32 v29, 0
	s_delay_alu instid0(VALU_DEP_2) | instskip(NEXT) | instid1(SALU_CYCLE_1)
	s_and_b32 s3, vcc_lo, s1
	s_and_saveexec_b32 s1, s3
	s_cbranch_execz .LBB86_11
; %bb.10:                               ;   in Loop: Header=BB86_9 Depth=1
	v_add_co_u32 v2, vcc_lo, v9, s8
	v_add_co_ci_u32_e32 v3, vcc_lo, s9, v10, vcc_lo
	v_add_co_u32 v4, vcc_lo, v11, s8
	v_add_co_ci_u32_e32 v5, vcc_lo, s9, v12, vcc_lo
	global_load_u16 v29, v[2:3], off
	global_load_u16 v32, v[4:5], off
.LBB86_11:                              ;   in Loop: Header=BB86_9 Depth=1
	s_or_b32 exec_lo, exec_lo, s1
	v_add_co_u32 v6, vcc_lo, s17, v0
	v_add_co_ci_u32_e32 v7, vcc_lo, 0, v1, vcc_lo
	v_dual_mov_b32 v25, 0 :: v_dual_mov_b32 v28, 0
	v_mov_b32_e32 v31, 0
	s_delay_alu instid0(VALU_DEP_3) | instskip(SKIP_1) | instid1(VALU_DEP_1)
	v_cmp_gt_i64_e32 vcc_lo, s[10:11], v[6:7]
	v_cmp_gt_u64_e64 s1, 0x10000, v[6:7]
	s_and_b32 s3, vcc_lo, s1
	s_delay_alu instid0(SALU_CYCLE_1)
	s_and_saveexec_b32 s1, s3
	s_cbranch_execz .LBB86_13
; %bb.12:                               ;   in Loop: Header=BB86_9 Depth=1
	v_add_co_u32 v2, vcc_lo, v21, s8
	v_add_co_ci_u32_e32 v3, vcc_lo, s9, v22, vcc_lo
	v_add_co_u32 v4, vcc_lo, v23, s8
	v_add_co_ci_u32_e32 v5, vcc_lo, s9, v24, vcc_lo
	global_load_u16 v28, v[2:3], off
	global_load_u16 v31, v[4:5], off
.LBB86_13:                              ;   in Loop: Header=BB86_9 Depth=1
	s_or_b32 exec_lo, exec_lo, s1
	v_add_co_u32 v4, vcc_lo, s18, v0
	v_add_co_ci_u32_e32 v5, vcc_lo, 0, v1, vcc_lo
	v_mov_b32_e32 v27, 0
	s_delay_alu instid0(VALU_DEP_2) | instskip(SKIP_1) | instid1(VALU_DEP_1)
	v_cmp_gt_i64_e32 vcc_lo, s[10:11], v[4:5]
	v_cmp_gt_u64_e64 s1, 0x10000, v[4:5]
	s_and_b32 s3, vcc_lo, s1
	s_delay_alu instid0(SALU_CYCLE_1)
	s_and_saveexec_b32 s1, s3
	s_cbranch_execz .LBB86_15
; %bb.14:                               ;   in Loop: Header=BB86_9 Depth=1
	v_add_co_u32 v2, vcc_lo, v17, s8
	v_add_co_ci_u32_e32 v3, vcc_lo, s9, v18, vcc_lo
	v_add_co_u32 v25, vcc_lo, v19, s8
	v_add_co_ci_u32_e32 v26, vcc_lo, s9, v20, vcc_lo
	global_load_u16 v27, v[2:3], off
	global_load_u16 v25, v[25:26], off
.LBB86_15:                              ;   in Loop: Header=BB86_9 Depth=1
	s_or_b32 exec_lo, exec_lo, s1
	v_add_co_u32 v2, vcc_lo, s12, v0
	v_add_co_ci_u32_e32 v3, vcc_lo, 0, v1, vcc_lo
	v_mov_b32_e32 v30, 0
	v_mov_b32_e32 v26, 0
	s_delay_alu instid0(VALU_DEP_3) | instskip(SKIP_1) | instid1(VALU_DEP_1)
	v_cmp_gt_i64_e32 vcc_lo, s[10:11], v[2:3]
	v_cmp_gt_u64_e64 s1, 0x10000, v[2:3]
	s_and_b32 s3, vcc_lo, s1
	s_delay_alu instid0(SALU_CYCLE_1)
	s_and_saveexec_b32 s1, s3
	s_cbranch_execnz .LBB86_20
; %bb.16:                               ;   in Loop: Header=BB86_9 Depth=1
	s_or_b32 exec_lo, exec_lo, s1
	s_delay_alu instid0(SALU_CYCLE_1)
	s_mov_b32 s1, exec_lo
	v_cmpx_gt_u64_e64 s[4:5], v[0:1]
	s_cbranch_execnz .LBB86_21
.LBB86_17:                              ;   in Loop: Header=BB86_9 Depth=1
	s_or_b32 exec_lo, exec_lo, s1
	s_delay_alu instid0(SALU_CYCLE_1)
	s_mov_b32 s1, exec_lo
	v_cmpx_gt_u64_e64 s[4:5], v[6:7]
	s_cbranch_execnz .LBB86_22
.LBB86_18:                              ;   in Loop: Header=BB86_9 Depth=1
	s_or_b32 exec_lo, exec_lo, s1
	s_delay_alu instid0(SALU_CYCLE_1)
	s_mov_b32 s1, exec_lo
	v_cmpx_gt_u64_e64 s[4:5], v[4:5]
	s_cbranch_execnz .LBB86_23
.LBB86_19:                              ;   in Loop: Header=BB86_9 Depth=1
	s_or_b32 exec_lo, exec_lo, s1
	s_delay_alu instid0(SALU_CYCLE_1)
	s_mov_b32 s1, exec_lo
	v_cmpx_gt_u64_e64 s[4:5], v[2:3]
	s_cbranch_execz .LBB86_8
	s_branch .LBB86_24
.LBB86_20:                              ;   in Loop: Header=BB86_9 Depth=1
	v_add_co_u32 v33, vcc_lo, v13, s8
	v_add_co_ci_u32_e32 v34, vcc_lo, s9, v14, vcc_lo
	v_add_co_u32 v35, vcc_lo, v15, s8
	v_add_co_ci_u32_e32 v36, vcc_lo, s9, v16, vcc_lo
	global_load_u16 v26, v[33:34], off
	global_load_u16 v30, v[35:36], off
	s_or_b32 exec_lo, exec_lo, s1
	s_delay_alu instid0(SALU_CYCLE_1)
	s_mov_b32 s1, exec_lo
	v_cmpx_gt_u64_e64 s[4:5], v[0:1]
	s_cbranch_execz .LBB86_17
.LBB86_21:                              ;   in Loop: Header=BB86_9 Depth=1
	s_waitcnt vmcnt(0)
	v_cvt_f32_f16_e32 v32, v32
	s_delay_alu instid0(VALU_DEP_1) | instskip(SKIP_1) | instid1(VALU_DEP_2)
	v_div_scale_f32 v33, null, v32, v32, v8
	v_div_scale_f32 v36, vcc_lo, v8, v32, v8
	v_rcp_f32_e32 v34, v33
	s_waitcnt_depctr 0xfff
	v_fma_f32 v35, -v33, v34, 1.0
	s_delay_alu instid0(VALU_DEP_1) | instskip(NEXT) | instid1(VALU_DEP_1)
	v_fmac_f32_e32 v34, v35, v34
	v_mul_f32_e32 v35, v36, v34
	s_delay_alu instid0(VALU_DEP_1) | instskip(NEXT) | instid1(VALU_DEP_1)
	v_fma_f32 v37, -v33, v35, v36
	v_fmac_f32_e32 v35, v37, v34
	s_delay_alu instid0(VALU_DEP_1) | instskip(NEXT) | instid1(VALU_DEP_1)
	v_fma_f32 v33, -v33, v35, v36
	v_div_fmas_f32 v33, v33, v34, v35
	v_cvt_f32_f16_e32 v34, v29
	s_delay_alu instid0(VALU_DEP_2) | instskip(NEXT) | instid1(VALU_DEP_1)
	v_div_fixup_f32 v32, v33, v32, v8
	v_add_f32_e32 v33, v32, v34
	v_fma_mix_f32 v29, s16, v32, v29 op_sel_hi:[0,0,1]
	v_add_co_u32 v32, vcc_lo, v9, s8
	s_delay_alu instid0(VALU_DEP_2) | instskip(SKIP_1) | instid1(VALU_DEP_2)
	v_cndmask_b32_e64 v29, v29, v33, s0
	v_add_co_ci_u32_e32 v33, vcc_lo, s9, v10, vcc_lo
	v_cvt_f16_f32_e32 v29, v29
	global_store_b16 v[32:33], v29, off
	s_or_b32 exec_lo, exec_lo, s1
	s_delay_alu instid0(SALU_CYCLE_1)
	s_mov_b32 s1, exec_lo
	v_cmpx_gt_u64_e64 s[4:5], v[6:7]
	s_cbranch_execz .LBB86_18
.LBB86_22:                              ;   in Loop: Header=BB86_9 Depth=1
	s_waitcnt vmcnt(0)
	v_cvt_f32_f16_e32 v6, v31
	s_delay_alu instid0(VALU_DEP_1) | instskip(SKIP_1) | instid1(VALU_DEP_2)
	v_div_scale_f32 v7, null, v6, v6, v8
	v_div_scale_f32 v32, vcc_lo, v8, v6, v8
	v_rcp_f32_e32 v29, v7
	s_waitcnt_depctr 0xfff
	v_fma_f32 v31, -v7, v29, 1.0
	s_delay_alu instid0(VALU_DEP_1) | instskip(NEXT) | instid1(VALU_DEP_1)
	v_fmac_f32_e32 v29, v31, v29
	v_mul_f32_e32 v31, v32, v29
	s_delay_alu instid0(VALU_DEP_1) | instskip(NEXT) | instid1(VALU_DEP_1)
	v_fma_f32 v33, -v7, v31, v32
	v_fmac_f32_e32 v31, v33, v29
	s_delay_alu instid0(VALU_DEP_1) | instskip(NEXT) | instid1(VALU_DEP_1)
	v_fma_f32 v7, -v7, v31, v32
	v_div_fmas_f32 v7, v7, v29, v31
	v_cvt_f32_f16_e32 v29, v28
	s_delay_alu instid0(VALU_DEP_2) | instskip(NEXT) | instid1(VALU_DEP_1)
	v_div_fixup_f32 v6, v7, v6, v8
	v_add_f32_e32 v7, v6, v29
	v_fma_mix_f32 v6, s16, v6, v28 op_sel_hi:[0,0,1]
	s_delay_alu instid0(VALU_DEP_1) | instskip(NEXT) | instid1(VALU_DEP_1)
	v_cndmask_b32_e64 v6, v6, v7, s0
	v_cvt_f16_f32_e32 v28, v6
	v_add_co_u32 v6, vcc_lo, v21, s8
	v_add_co_ci_u32_e32 v7, vcc_lo, s9, v22, vcc_lo
	global_store_b16 v[6:7], v28, off
	s_or_b32 exec_lo, exec_lo, s1
	s_delay_alu instid0(SALU_CYCLE_1)
	s_mov_b32 s1, exec_lo
	v_cmpx_gt_u64_e64 s[4:5], v[4:5]
	s_cbranch_execz .LBB86_19
.LBB86_23:                              ;   in Loop: Header=BB86_9 Depth=1
	s_waitcnt vmcnt(0)
	v_cvt_f32_f16_e32 v4, v25
	s_delay_alu instid0(VALU_DEP_1) | instskip(SKIP_1) | instid1(VALU_DEP_2)
	v_div_scale_f32 v5, null, v4, v4, v8
	v_div_scale_f32 v25, vcc_lo, v8, v4, v8
	v_rcp_f32_e32 v6, v5
	s_waitcnt_depctr 0xfff
	v_fma_f32 v7, -v5, v6, 1.0
	s_delay_alu instid0(VALU_DEP_1) | instskip(NEXT) | instid1(VALU_DEP_1)
	v_fmac_f32_e32 v6, v7, v6
	v_mul_f32_e32 v7, v25, v6
	s_delay_alu instid0(VALU_DEP_1) | instskip(NEXT) | instid1(VALU_DEP_1)
	v_fma_f32 v28, -v5, v7, v25
	v_fmac_f32_e32 v7, v28, v6
	s_delay_alu instid0(VALU_DEP_1) | instskip(NEXT) | instid1(VALU_DEP_1)
	v_fma_f32 v5, -v5, v7, v25
	v_div_fmas_f32 v5, v5, v6, v7
	v_cvt_f32_f16_e32 v6, v27
	s_delay_alu instid0(VALU_DEP_2) | instskip(NEXT) | instid1(VALU_DEP_1)
	v_div_fixup_f32 v4, v5, v4, v8
	v_add_f32_e32 v5, v4, v6
	v_fma_mix_f32 v4, s16, v4, v27 op_sel_hi:[0,0,1]
	s_delay_alu instid0(VALU_DEP_1) | instskip(NEXT) | instid1(VALU_DEP_1)
	v_cndmask_b32_e64 v4, v4, v5, s0
	v_cvt_f16_f32_e32 v6, v4
	v_add_co_u32 v4, vcc_lo, v17, s8
	v_add_co_ci_u32_e32 v5, vcc_lo, s9, v18, vcc_lo
	global_store_b16 v[4:5], v6, off
	s_or_b32 exec_lo, exec_lo, s1
	s_delay_alu instid0(SALU_CYCLE_1)
	s_mov_b32 s1, exec_lo
	v_cmpx_gt_u64_e64 s[4:5], v[2:3]
	s_cbranch_execz .LBB86_8
.LBB86_24:                              ;   in Loop: Header=BB86_9 Depth=1
	s_waitcnt vmcnt(0)
	v_cvt_f32_f16_e32 v2, v30
	s_delay_alu instid0(VALU_DEP_1) | instskip(SKIP_1) | instid1(VALU_DEP_2)
	v_div_scale_f32 v3, null, v2, v2, v8
	v_div_scale_f32 v6, vcc_lo, v8, v2, v8
	v_rcp_f32_e32 v4, v3
	s_waitcnt_depctr 0xfff
	v_fma_f32 v5, -v3, v4, 1.0
	s_delay_alu instid0(VALU_DEP_1) | instskip(NEXT) | instid1(VALU_DEP_1)
	v_fmac_f32_e32 v4, v5, v4
	v_mul_f32_e32 v5, v6, v4
	s_delay_alu instid0(VALU_DEP_1) | instskip(NEXT) | instid1(VALU_DEP_1)
	v_fma_f32 v7, -v3, v5, v6
	v_fmac_f32_e32 v5, v7, v4
	s_delay_alu instid0(VALU_DEP_1) | instskip(NEXT) | instid1(VALU_DEP_1)
	v_fma_f32 v3, -v3, v5, v6
	v_div_fmas_f32 v3, v3, v4, v5
	v_cvt_f32_f16_e32 v4, v26
	s_delay_alu instid0(VALU_DEP_2) | instskip(NEXT) | instid1(VALU_DEP_1)
	v_div_fixup_f32 v2, v3, v2, v8
	v_add_f32_e32 v3, v2, v4
	v_fma_mix_f32 v2, s16, v2, v26 op_sel_hi:[0,0,1]
	s_delay_alu instid0(VALU_DEP_1) | instskip(NEXT) | instid1(VALU_DEP_1)
	v_cndmask_b32_e64 v2, v2, v3, s0
	v_cvt_f16_f32_e32 v4, v2
	v_add_co_u32 v2, vcc_lo, v13, s8
	v_add_co_ci_u32_e32 v3, vcc_lo, s9, v14, vcc_lo
	global_store_b16 v[2:3], v4, off
	s_branch .LBB86_8
.LBB86_25:
	s_nop 0
	s_sendmsg sendmsg(MSG_DEALLOC_VGPRS)
	s_endpgm
	.section	.rodata,"a",@progbits
	.p2align	6, 0x0
	.amdhsa_kernel _ZN2at6native12_GLOBAL__N_125multi_tensor_apply_kernelINS1_18TensorListMetadataILi3EEENS1_32PointwiseOpScalar0dTensorFunctorIN3c104HalfELi3ELi2ELi0EEEJSt7dividesIfEfEEEvT_T0_DpT1_
		.amdhsa_group_segment_fixed_size 0
		.amdhsa_private_segment_fixed_size 0
		.amdhsa_kernarg_size 3408
		.amdhsa_user_sgpr_count 15
		.amdhsa_user_sgpr_dispatch_ptr 0
		.amdhsa_user_sgpr_queue_ptr 0
		.amdhsa_user_sgpr_kernarg_segment_ptr 1
		.amdhsa_user_sgpr_dispatch_id 0
		.amdhsa_user_sgpr_private_segment_size 0
		.amdhsa_wavefront_size32 1
		.amdhsa_uses_dynamic_stack 0
		.amdhsa_enable_private_segment 0
		.amdhsa_system_sgpr_workgroup_id_x 1
		.amdhsa_system_sgpr_workgroup_id_y 0
		.amdhsa_system_sgpr_workgroup_id_z 0
		.amdhsa_system_sgpr_workgroup_info 0
		.amdhsa_system_vgpr_workitem_id 0
		.amdhsa_next_free_vgpr 38
		.amdhsa_next_free_sgpr 25
		.amdhsa_reserve_vcc 1
		.amdhsa_float_round_mode_32 0
		.amdhsa_float_round_mode_16_64 0
		.amdhsa_float_denorm_mode_32 3
		.amdhsa_float_denorm_mode_16_64 3
		.amdhsa_dx10_clamp 1
		.amdhsa_ieee_mode 1
		.amdhsa_fp16_overflow 0
		.amdhsa_workgroup_processor_mode 1
		.amdhsa_memory_ordered 1
		.amdhsa_forward_progress 0
		.amdhsa_shared_vgpr_count 0
		.amdhsa_exception_fp_ieee_invalid_op 0
		.amdhsa_exception_fp_denorm_src 0
		.amdhsa_exception_fp_ieee_div_zero 0
		.amdhsa_exception_fp_ieee_overflow 0
		.amdhsa_exception_fp_ieee_underflow 0
		.amdhsa_exception_fp_ieee_inexact 0
		.amdhsa_exception_int_div_zero 0
	.end_amdhsa_kernel
	.section	.text._ZN2at6native12_GLOBAL__N_125multi_tensor_apply_kernelINS1_18TensorListMetadataILi3EEENS1_32PointwiseOpScalar0dTensorFunctorIN3c104HalfELi3ELi2ELi0EEEJSt7dividesIfEfEEEvT_T0_DpT1_,"axG",@progbits,_ZN2at6native12_GLOBAL__N_125multi_tensor_apply_kernelINS1_18TensorListMetadataILi3EEENS1_32PointwiseOpScalar0dTensorFunctorIN3c104HalfELi3ELi2ELi0EEEJSt7dividesIfEfEEEvT_T0_DpT1_,comdat
.Lfunc_end86:
	.size	_ZN2at6native12_GLOBAL__N_125multi_tensor_apply_kernelINS1_18TensorListMetadataILi3EEENS1_32PointwiseOpScalar0dTensorFunctorIN3c104HalfELi3ELi2ELi0EEEJSt7dividesIfEfEEEvT_T0_DpT1_, .Lfunc_end86-_ZN2at6native12_GLOBAL__N_125multi_tensor_apply_kernelINS1_18TensorListMetadataILi3EEENS1_32PointwiseOpScalar0dTensorFunctorIN3c104HalfELi3ELi2ELi0EEEJSt7dividesIfEfEEEvT_T0_DpT1_
                                        ; -- End function
	.section	.AMDGPU.csdata,"",@progbits
; Kernel info:
; codeLenInByte = 2688
; NumSgprs: 27
; NumVgprs: 38
; ScratchSize: 0
; MemoryBound: 0
; FloatMode: 240
; IeeeMode: 1
; LDSByteSize: 0 bytes/workgroup (compile time only)
; SGPRBlocks: 3
; VGPRBlocks: 4
; NumSGPRsForWavesPerEU: 27
; NumVGPRsForWavesPerEU: 38
; Occupancy: 16
; WaveLimiterHint : 0
; COMPUTE_PGM_RSRC2:SCRATCH_EN: 0
; COMPUTE_PGM_RSRC2:USER_SGPR: 15
; COMPUTE_PGM_RSRC2:TRAP_HANDLER: 0
; COMPUTE_PGM_RSRC2:TGID_X_EN: 1
; COMPUTE_PGM_RSRC2:TGID_Y_EN: 0
; COMPUTE_PGM_RSRC2:TGID_Z_EN: 0
; COMPUTE_PGM_RSRC2:TIDIG_COMP_CNT: 0
	.section	.text._ZN2at6native12_GLOBAL__N_125multi_tensor_apply_kernelINS1_18TensorListMetadataILi3EEENS1_32PointwiseOpScalar0dTensorFunctorIN3c108BFloat16ELi3ELi2ELi0EEEJSt7dividesIfEfEEEvT_T0_DpT1_,"axG",@progbits,_ZN2at6native12_GLOBAL__N_125multi_tensor_apply_kernelINS1_18TensorListMetadataILi3EEENS1_32PointwiseOpScalar0dTensorFunctorIN3c108BFloat16ELi3ELi2ELi0EEEJSt7dividesIfEfEEEvT_T0_DpT1_,comdat
	.globl	_ZN2at6native12_GLOBAL__N_125multi_tensor_apply_kernelINS1_18TensorListMetadataILi3EEENS1_32PointwiseOpScalar0dTensorFunctorIN3c108BFloat16ELi3ELi2ELi0EEEJSt7dividesIfEfEEEvT_T0_DpT1_ ; -- Begin function _ZN2at6native12_GLOBAL__N_125multi_tensor_apply_kernelINS1_18TensorListMetadataILi3EEENS1_32PointwiseOpScalar0dTensorFunctorIN3c108BFloat16ELi3ELi2ELi0EEEJSt7dividesIfEfEEEvT_T0_DpT1_
	.p2align	8
	.type	_ZN2at6native12_GLOBAL__N_125multi_tensor_apply_kernelINS1_18TensorListMetadataILi3EEENS1_32PointwiseOpScalar0dTensorFunctorIN3c108BFloat16ELi3ELi2ELi0EEEJSt7dividesIfEfEEEvT_T0_DpT1_,@function
_ZN2at6native12_GLOBAL__N_125multi_tensor_apply_kernelINS1_18TensorListMetadataILi3EEENS1_32PointwiseOpScalar0dTensorFunctorIN3c108BFloat16ELi3ELi2ELi0EEEJSt7dividesIfEfEEEvT_T0_DpT1_: ; @_ZN2at6native12_GLOBAL__N_125multi_tensor_apply_kernelINS1_18TensorListMetadataILi3EEENS1_32PointwiseOpScalar0dTensorFunctorIN3c108BFloat16ELi3ELi2ELi0EEEJSt7dividesIfEfEEEvT_T0_DpT1_
; %bb.0:
	v_dual_mov_b32 v1, s15 :: v_dual_mov_b32 v2, 0
	s_add_u32 s2, s0, s15
	s_mul_i32 s4, s15, 3
	s_addc_u32 s3, s1, 0
	global_load_u8 v1, v1, s[0:1] offset:1536
	s_load_b32 s9, s[0:1], 0xc4c
	s_mul_hi_u32 s5, s15, 3
	s_add_u32 s2, s2, s4
	s_addc_u32 s3, s3, s5
	s_load_b32 s2, s[2:3], 0x740
	s_waitcnt vmcnt(0)
	v_readfirstlane_b32 s3, v1
	s_delay_alu instid0(VALU_DEP_1)
	s_lshl_b32 s3, s3, 3
	s_clause 0x1
	s_load_b64 s[4:5], s[0:1], s3 offset:0x180
	s_load_b64 s[14:15], s[0:1], s3 offset:0x300
	s_waitcnt lgkmcnt(0)
	global_load_u16 v1, v2, s[4:5]
	s_clause 0x1
	s_load_b64 s[16:17], s[0:1], s3 offset:0x0
	s_load_b64 s[6:7], s[0:1], s3 offset:0x480
	s_ashr_i32 s3, s2, 31
	s_delay_alu instid0(SALU_CYCLE_1) | instskip(NEXT) | instid1(SALU_CYCLE_1)
	s_lshl_b64 s[10:11], s[2:3], 17
	s_add_u32 s4, s4, s10
	s_delay_alu instid0(SALU_CYCLE_1) | instskip(NEXT) | instid1(SALU_CYCLE_1)
	s_or_b32 s4, s14, s4
	s_and_b32 s5, s4, 7
	s_waitcnt lgkmcnt(0)
	s_and_b32 s4, s16, 7
	s_cmp_lg_u32 s5, 0
	s_mov_b32 s5, 0
	s_cselect_b32 s8, -1, 0
	s_lshl_b64 s[2:3], s[2:3], 16
	s_delay_alu instid0(SALU_CYCLE_1) | instskip(SKIP_3) | instid1(SALU_CYCLE_1)
	s_sub_u32 s12, s6, s2
	s_subb_u32 s13, s7, s3
	s_and_b32 s2, s6, 3
	s_mov_b32 s3, s5
	s_or_b64 s[2:3], s[4:5], s[2:3]
	s_delay_alu instid0(SALU_CYCLE_1) | instskip(SKIP_1) | instid1(SALU_CYCLE_1)
	s_cmp_lg_u64 s[2:3], 0
	s_cselect_b32 s2, -1, 0
	s_or_b32 s2, s8, s2
	s_delay_alu instid0(SALU_CYCLE_1)
	s_and_not1_b32 vcc_lo, exec_lo, s2
	s_mov_b32 s2, -1
	s_waitcnt vmcnt(0)
	v_lshlrev_b32_e32 v12, 16, v1
	s_cbranch_vccz .LBB87_5
; %bb.1:
	v_lshlrev_b32_e32 v1, 2, v0
	s_mov_b32 s18, exec_lo
	s_delay_alu instid0(VALU_DEP_1)
	v_cmpx_gt_i64_e64 s[12:13], v[1:2]
	s_cbranch_execz .LBB87_4
; %bb.2:
	s_load_b32 s3, s[0:1], 0xc5c
	v_dual_mov_b32 v2, 0 :: v_dual_lshlrev_b32 v1, 3, v0
	v_cmp_eq_f32_e64 s2, s9, 1.0
	s_mov_b32 s19, 0
	s_delay_alu instid0(VALU_DEP_2) | instskip(NEXT) | instid1(VALU_DEP_1)
	v_add_co_u32 v3, s4, s10, v1
	v_add_co_ci_u32_e64 v4, null, s11, 0, s4
	s_waitcnt lgkmcnt(0)
	s_and_b32 s3, s3, 0xffff
	s_delay_alu instid0(SALU_CYCLE_1)
	v_add_lshl_u32 v1, v0, s3, 2
	s_lshl_b32 s20, s3, 3
	s_lshl_b32 s21, s3, 2
.LBB87_3:                               ; =>This Inner Loop Header: Depth=1
	v_add_co_u32 v5, vcc_lo, s14, v3
	v_add_co_ci_u32_e32 v6, vcc_lo, s15, v4, vcc_lo
	v_add_co_u32 v7, vcc_lo, s16, v3
	v_add_co_ci_u32_e32 v8, vcc_lo, s17, v4, vcc_lo
	v_add_co_u32 v3, vcc_lo, v3, s20
	global_load_b64 v[5:6], v[5:6], off
	global_load_b64 v[9:10], v[7:8], off
	v_add_co_ci_u32_e32 v4, vcc_lo, 0, v4, vcc_lo
	v_cmp_le_i64_e64 s3, s[12:13], v[1:2]
	v_cmp_lt_u64_e64 s4, 0xffff, v[1:2]
	v_add_co_u32 v1, s5, v1, s21
	s_delay_alu instid0(VALU_DEP_2) | instskip(NEXT) | instid1(SALU_CYCLE_1)
	s_or_b32 s3, s3, s4
	s_and_b32 s3, exec_lo, s3
	s_delay_alu instid0(SALU_CYCLE_1) | instskip(SKIP_2) | instid1(VALU_DEP_1)
	s_or_b32 s19, s3, s19
	s_waitcnt vmcnt(1)
	v_and_b32_e32 v15, 0xffff0000, v5
	v_div_scale_f32 v18, null, v15, v15, v12
	v_div_scale_f32 v19, s6, v12, v15, v12
	s_delay_alu instid0(VALU_DEP_2) | instskip(SKIP_3) | instid1(VALU_DEP_1)
	v_rcp_f32_e32 v23, v18
	s_waitcnt_depctr 0xfff
	v_fma_f32 v29, -v18, v23, 1.0
	s_waitcnt vmcnt(0)
	v_dual_fmac_f32 v23, v29, v23 :: v_dual_and_b32 v14, 0xffff0000, v9
	v_lshlrev_b32_e32 v13, 16, v5
	v_alignbit_b32 v5, v6, v5, 16
	v_and_b32_e32 v6, 0xffff0000, v6
	s_delay_alu instid0(VALU_DEP_1) | instskip(NEXT) | instid1(VALU_DEP_1)
	v_div_scale_f32 v20, null, v6, v6, v12
	v_rcp_f32_e32 v25, v20
	s_waitcnt_depctr 0xfff
	v_fma_f32 v30, -v20, v25, 1.0
	s_delay_alu instid0(VALU_DEP_1) | instskip(SKIP_2) | instid1(VALU_DEP_3)
	v_dual_fmac_f32 v25, v30, v25 :: v_dual_mul_f32 v30, v19, v23
	v_div_scale_f32 v16, null, v13, v13, v12
	v_div_scale_f32 v17, vcc_lo, v12, v13, v12
	v_fma_f32 v32, -v18, v30, v19
	s_delay_alu instid0(VALU_DEP_3) | instskip(SKIP_1) | instid1(VALU_DEP_2)
	v_rcp_f32_e32 v22, v16
	v_div_scale_f32 v21, s7, v12, v6, v12
	v_fmac_f32_e32 v30, v32, v23
	s_waitcnt_depctr 0xfff
	v_fma_f32 v28, -v16, v22, 1.0
	v_lshlrev_b32_e32 v11, 16, v9
	v_alignbit_b32 v9, v10, v9, 16
	s_delay_alu instid0(VALU_DEP_3) | instskip(NEXT) | instid1(VALU_DEP_1)
	v_fmac_f32_e32 v22, v28, v22
	v_mul_f32_e32 v29, v17, v22
	s_delay_alu instid0(VALU_DEP_1) | instskip(NEXT) | instid1(VALU_DEP_1)
	v_fma_f32 v31, -v16, v29, v17
	v_fmac_f32_e32 v29, v31, v22
	s_delay_alu instid0(VALU_DEP_1) | instskip(SKIP_1) | instid1(VALU_DEP_2)
	v_fma_f32 v16, -v16, v29, v17
	v_fma_f32 v17, -v18, v30, v19
	v_div_fmas_f32 v16, v16, v22, v29
	s_mov_b32 vcc_lo, s6
	s_delay_alu instid0(VALU_DEP_2) | instskip(NEXT) | instid1(VALU_DEP_2)
	v_div_fmas_f32 v17, v17, v23, v30
	v_div_fixup_f32 v13, v16, v13, v12
	v_and_b32_e32 v9, 0xffff0000, v9
	s_delay_alu instid0(VALU_DEP_3) | instskip(SKIP_1) | instid1(VALU_DEP_1)
	v_div_fixup_f32 v15, v17, v15, v12
	v_and_b32_e32 v5, 0xffff0000, v5
	v_div_scale_f32 v24, null, v5, v5, v12
	v_div_scale_f32 v26, s8, v12, v5, v12
	s_delay_alu instid0(VALU_DEP_1) | instskip(NEXT) | instid1(VALU_DEP_2)
	s_mov_b32 vcc_lo, s8
	v_rcp_f32_e32 v27, v24
	s_waitcnt_depctr 0xfff
	v_fma_f32 v28, -v24, v27, 1.0
	s_delay_alu instid0(VALU_DEP_1) | instskip(NEXT) | instid1(VALU_DEP_1)
	v_dual_fmac_f32 v27, v28, v27 :: v_dual_and_b32 v10, 0xffff0000, v10
	v_dual_mul_f32 v28, v21, v25 :: v_dual_mul_f32 v33, v26, v27
	s_delay_alu instid0(VALU_DEP_1) | instskip(NEXT) | instid1(VALU_DEP_2)
	v_fma_f32 v34, -v20, v28, v21
	v_fma_f32 v31, -v24, v33, v26
	s_delay_alu instid0(VALU_DEP_1) | instskip(NEXT) | instid1(VALU_DEP_1)
	v_dual_fmac_f32 v28, v34, v25 :: v_dual_fmac_f32 v33, v31, v27
	v_fma_f32 v18, -v20, v28, v21
	s_delay_alu instid0(VALU_DEP_2) | instskip(NEXT) | instid1(VALU_DEP_1)
	v_fma_f32 v19, -v24, v33, v26
	v_div_fmas_f32 v16, v19, v27, v33
	s_mov_b32 vcc_lo, s7
	s_delay_alu instid0(VALU_DEP_3) | instskip(SKIP_3) | instid1(VALU_DEP_4)
	v_div_fmas_f32 v17, v18, v25, v28
	v_dual_add_f32 v18, v13, v11 :: v_dual_fmac_f32 v11, s9, v13
	v_dual_add_f32 v13, v15, v14 :: v_dual_fmac_f32 v14, s9, v15
	v_div_fixup_f32 v5, v16, v5, v12
	v_div_fixup_f32 v6, v17, v6, v12
	s_delay_alu instid0(VALU_DEP_2) | instskip(SKIP_1) | instid1(VALU_DEP_3)
	v_add_f32_e32 v15, v5, v9
	v_fmac_f32_e32 v9, s9, v5
	v_add_f32_e32 v5, v6, v10
	v_fmac_f32_e32 v10, s9, v6
	v_cndmask_b32_e64 v6, v14, v13, s2
	s_delay_alu instid0(VALU_DEP_4) | instskip(NEXT) | instid1(VALU_DEP_3)
	v_cndmask_b32_e64 v9, v9, v15, s2
	v_cndmask_b32_e64 v5, v10, v5, s2
	s_delay_alu instid0(VALU_DEP_3) | instskip(SKIP_1) | instid1(VALU_DEP_4)
	v_bfe_u32 v10, v6, 16, 1
	v_cmp_o_f32_e64 s6, v6, v6
	v_bfe_u32 v14, v9, 16, 1
	s_delay_alu instid0(VALU_DEP_4) | instskip(NEXT) | instid1(VALU_DEP_4)
	v_bfe_u32 v15, v5, 16, 1
	v_add3_u32 v10, v6, v10, 0x7fff
	s_delay_alu instid0(VALU_DEP_3) | instskip(NEXT) | instid1(VALU_DEP_2)
	v_add3_u32 v14, v9, v14, 0x7fff
	v_and_b32_e32 v10, 0xffff0000, v10
	v_cndmask_b32_e64 v11, v11, v18, s2
	s_delay_alu instid0(VALU_DEP_2) | instskip(NEXT) | instid1(VALU_DEP_2)
	v_cndmask_b32_e64 v10, 0x7fc00000, v10, s6
	v_bfe_u32 v13, v11, 16, 1
	v_cmp_o_f32_e32 vcc_lo, v11, v11
	v_cmp_o_f32_e64 s6, v5, v5
	s_delay_alu instid0(VALU_DEP_3) | instskip(SKIP_1) | instid1(VALU_DEP_2)
	v_add3_u32 v13, v11, v13, 0x7fff
	v_add3_u32 v11, v5, v15, 0x7fff
	v_lshrrev_b32_e32 v13, 16, v13
	s_delay_alu instid0(VALU_DEP_2) | instskip(NEXT) | instid1(VALU_DEP_2)
	v_and_b32_e32 v11, 0xffff0000, v11
	v_cndmask_b32_e32 v6, 0x7fc0, v13, vcc_lo
	v_lshrrev_b32_e32 v13, 16, v14
	v_cmp_o_f32_e32 vcc_lo, v9, v9
	s_delay_alu instid0(VALU_DEP_4) | instskip(NEXT) | instid1(VALU_DEP_4)
	v_cndmask_b32_e64 v9, 0x7fc00000, v11, s6
	v_or_b32_e32 v10, v6, v10
	s_delay_alu instid0(VALU_DEP_4) | instskip(SKIP_1) | instid1(VALU_DEP_2)
	v_cndmask_b32_e32 v5, 0x7fc0, v13, vcc_lo
	v_add_co_ci_u32_e64 v2, vcc_lo, 0, v2, s5
	v_or3_b32 v6, 0, v5, v9
	s_delay_alu instid0(VALU_DEP_4)
	v_or3_b32 v5, v10, 0, 0
	global_store_b64 v[7:8], v[5:6], off
	s_and_not1_b32 exec_lo, exec_lo, s19
	s_cbranch_execnz .LBB87_3
.LBB87_4:
	s_or_b32 exec_lo, exec_lo, s18
	s_mov_b32 s2, 0
.LBB87_5:
	s_delay_alu instid0(SALU_CYCLE_1)
	s_and_not1_b32 vcc_lo, exec_lo, s2
	s_cbranch_vccnz .LBB87_25
; %bb.6:
	v_cmp_lt_i64_e64 s2, s[12:13], 1
	s_delay_alu instid0(VALU_DEP_1)
	s_and_b32 vcc_lo, exec_lo, s2
	s_cbranch_vccnz .LBB87_25
; %bb.7:
	s_load_b32 s1, s[0:1], 0xc5c
	v_dual_mov_b32 v1, 0 :: v_dual_lshlrev_b32 v2, 1, v0
	v_cmp_gt_u64_e64 s2, 0x10000, s[12:13]
	v_cmp_eq_f32_e64 s0, s9, 1.0
	s_mov_b32 s3, 0
	s_delay_alu instid0(VALU_DEP_3) | instskip(SKIP_1) | instid1(VALU_DEP_1)
	v_mov_b32_e32 v3, v1
	v_add_co_u32 v13, s4, s16, v2
	v_add_co_ci_u32_e64 v14, null, s17, 0, s4
	v_add_co_u32 v15, s4, s14, v2
	s_delay_alu instid0(VALU_DEP_1)
	v_add_co_ci_u32_e64 v16, null, s15, 0, s4
	s_waitcnt lgkmcnt(0)
	s_and_b32 s8, s1, 0xffff
	s_and_b32 s1, s2, exec_lo
	v_mad_u64_u32 v[4:5], null, s8, 6, v[2:3]
	s_cselect_b32 s5, s13, 0
	s_cselect_b32 s4, s12, 0x10000
	s_lshl_b32 s2, s8, 2
	s_lshl_b32 s18, s8, 1
	v_add_co_u32 v2, s1, s2, v2
	s_delay_alu instid0(VALU_DEP_2) | instskip(NEXT) | instid1(VALU_DEP_3)
	v_add_co_u32 v17, vcc_lo, s16, v4
	v_add_co_ci_u32_e32 v18, vcc_lo, s17, v5, vcc_lo
	v_add_co_u32 v19, vcc_lo, s14, v4
	v_add_lshl_u32 v4, v0, s8, 1
	v_add_co_ci_u32_e64 v3, null, 0, 0, s1
	v_add_co_ci_u32_e32 v20, vcc_lo, s15, v5, vcc_lo
	v_add_co_u32 v21, vcc_lo, s16, v2
	s_delay_alu instid0(VALU_DEP_4) | instskip(NEXT) | instid1(VALU_DEP_4)
	v_add_co_u32 v25, s1, s16, v4
	v_add_co_ci_u32_e32 v22, vcc_lo, s17, v3, vcc_lo
	v_add_co_u32 v23, vcc_lo, s14, v2
	v_add_co_ci_u32_e64 v26, null, s17, 0, s1
	v_add_co_u32 v27, s1, s14, v4
	v_add_co_ci_u32_e32 v24, vcc_lo, s15, v3, vcc_lo
	v_add_co_ci_u32_e64 v28, null, s15, 0, s1
	s_mul_i32 s14, s8, 3
	s_lshl_b32 s15, s8, 3
	s_mov_b64 s[6:7], s[2:3]
	s_branch .LBB87_9
.LBB87_8:                               ;   in Loop: Header=BB87_9 Depth=1
	s_or_b32 exec_lo, exec_lo, s1
	v_add_co_u32 v13, vcc_lo, v13, s15
	v_add_co_ci_u32_e32 v14, vcc_lo, 0, v14, vcc_lo
	v_add_co_u32 v15, vcc_lo, v15, s15
	v_add_co_ci_u32_e32 v16, vcc_lo, 0, v16, vcc_lo
	;; [unrolled: 2-line block ×7, first 2 shown]
	v_cmp_ge_i64_e64 s1, s[6:7], s[12:13]
	v_cmp_lt_u64_e64 s16, 0xffff, s[6:7]
	v_add_co_u32 v25, vcc_lo, v25, s15
	v_add_co_ci_u32_e32 v26, vcc_lo, 0, v26, vcc_lo
	v_add_co_u32 v27, vcc_lo, v27, s15
	v_add_co_ci_u32_e32 v28, vcc_lo, 0, v28, vcc_lo
	s_or_b32 s1, s1, s16
	s_add_u32 s6, s6, s2
	s_addc_u32 s7, s7, 0
	s_and_b32 vcc_lo, exec_lo, s1
	s_cbranch_vccnz .LBB87_25
.LBB87_9:                               ; =>This Inner Loop Header: Depth=1
	v_mov_b32_e32 v4, 0
	v_mov_b32_e32 v5, 0
	v_cmp_gt_i64_e32 vcc_lo, s[12:13], v[0:1]
	v_cmp_gt_u64_e64 s1, 0x10000, v[0:1]
	s_delay_alu instid0(VALU_DEP_3) | instskip(NEXT) | instid1(VALU_DEP_2)
	v_dual_mov_b32 v2, v4 :: v_dual_mov_b32 v3, v5
	s_and_b32 s16, vcc_lo, s1
	s_delay_alu instid0(SALU_CYCLE_1)
	s_and_saveexec_b32 s1, s16
	s_cbranch_execz .LBB87_11
; %bb.10:                               ;   in Loop: Header=BB87_9 Depth=1
	v_add_co_u32 v2, vcc_lo, v13, s10
	v_add_co_ci_u32_e32 v3, vcc_lo, s11, v14, vcc_lo
	v_add_co_u32 v4, vcc_lo, v15, s10
	v_add_co_ci_u32_e32 v5, vcc_lo, s11, v16, vcc_lo
	global_load_u16 v2, v[2:3], off
	global_load_u16 v4, v[4:5], off
	v_mov_b32_e32 v3, s3
	s_waitcnt vmcnt(1)
	v_dual_mov_b32 v5, s3 :: v_dual_and_b32 v2, 0xffff, v2
	s_waitcnt vmcnt(0)
	v_and_b32_e32 v4, 0xffff, v4
.LBB87_11:                              ;   in Loop: Header=BB87_9 Depth=1
	s_or_b32 exec_lo, exec_lo, s1
	v_add_co_u32 v6, vcc_lo, s8, v0
	v_add_co_ci_u32_e32 v7, vcc_lo, 0, v1, vcc_lo
	s_delay_alu instid0(VALU_DEP_1) | instskip(SKIP_1) | instid1(VALU_DEP_1)
	v_cmp_gt_i64_e32 vcc_lo, s[12:13], v[6:7]
	v_cmp_gt_u64_e64 s1, 0x10000, v[6:7]
	s_and_b32 s16, vcc_lo, s1
	s_delay_alu instid0(SALU_CYCLE_1)
	s_and_saveexec_b32 s1, s16
	s_cbranch_execz .LBB87_13
; %bb.12:                               ;   in Loop: Header=BB87_9 Depth=1
	v_add_co_u32 v8, vcc_lo, v25, s10
	v_add_co_ci_u32_e32 v9, vcc_lo, s11, v26, vcc_lo
	v_add_co_u32 v10, vcc_lo, v27, s10
	v_add_co_ci_u32_e32 v11, vcc_lo, s11, v28, vcc_lo
	global_load_u16 v8, v[8:9], off
	global_load_u16 v9, v[10:11], off
	s_waitcnt vmcnt(1)
	v_lshl_or_b32 v2, v8, 16, v2
	s_waitcnt vmcnt(0)
	v_lshl_or_b32 v4, v9, 16, v4
.LBB87_13:                              ;   in Loop: Header=BB87_9 Depth=1
	s_or_b32 exec_lo, exec_lo, s1
	v_add_co_u32 v8, vcc_lo, s18, v0
	v_add_co_ci_u32_e32 v9, vcc_lo, 0, v1, vcc_lo
	s_delay_alu instid0(VALU_DEP_1) | instskip(SKIP_1) | instid1(VALU_DEP_1)
	v_cmp_gt_i64_e32 vcc_lo, s[12:13], v[8:9]
	v_cmp_gt_u64_e64 s1, 0x10000, v[8:9]
	s_and_b32 s16, vcc_lo, s1
	s_delay_alu instid0(SALU_CYCLE_1)
	s_and_saveexec_b32 s1, s16
	s_cbranch_execz .LBB87_15
; %bb.14:                               ;   in Loop: Header=BB87_9 Depth=1
	v_add_co_u32 v10, vcc_lo, v21, s10
	v_add_co_ci_u32_e32 v11, vcc_lo, s11, v22, vcc_lo
	v_add_co_u32 v29, vcc_lo, v23, s10
	v_add_co_ci_u32_e32 v30, vcc_lo, s11, v24, vcc_lo
	global_load_u16 v10, v[10:11], off
	global_load_u16 v11, v[29:30], off
	s_waitcnt vmcnt(1)
	v_or_b32_e32 v3, v10, v3
	s_waitcnt vmcnt(0)
	v_or_b32_e32 v5, v11, v5
.LBB87_15:                              ;   in Loop: Header=BB87_9 Depth=1
	s_or_b32 exec_lo, exec_lo, s1
	v_add_co_u32 v10, vcc_lo, s14, v0
	v_add_co_ci_u32_e32 v11, vcc_lo, 0, v1, vcc_lo
	s_delay_alu instid0(VALU_DEP_1) | instskip(SKIP_1) | instid1(VALU_DEP_1)
	v_cmp_gt_i64_e32 vcc_lo, s[12:13], v[10:11]
	v_cmp_gt_u64_e64 s1, 0x10000, v[10:11]
	s_and_b32 s16, vcc_lo, s1
	s_delay_alu instid0(SALU_CYCLE_1)
	s_and_saveexec_b32 s1, s16
	s_cbranch_execnz .LBB87_20
; %bb.16:                               ;   in Loop: Header=BB87_9 Depth=1
	s_or_b32 exec_lo, exec_lo, s1
	s_delay_alu instid0(SALU_CYCLE_1)
	s_mov_b32 s1, exec_lo
	v_cmpx_gt_u64_e64 s[4:5], v[0:1]
	s_cbranch_execnz .LBB87_21
.LBB87_17:                              ;   in Loop: Header=BB87_9 Depth=1
	s_or_b32 exec_lo, exec_lo, s1
	s_delay_alu instid0(SALU_CYCLE_1)
	s_mov_b32 s1, exec_lo
	v_cmpx_gt_u64_e64 s[4:5], v[6:7]
	s_cbranch_execnz .LBB87_22
.LBB87_18:                              ;   in Loop: Header=BB87_9 Depth=1
	s_or_b32 exec_lo, exec_lo, s1
	s_delay_alu instid0(SALU_CYCLE_1)
	s_mov_b32 s1, exec_lo
	v_cmpx_gt_u64_e64 s[4:5], v[8:9]
	s_cbranch_execnz .LBB87_23
.LBB87_19:                              ;   in Loop: Header=BB87_9 Depth=1
	s_or_b32 exec_lo, exec_lo, s1
	s_delay_alu instid0(SALU_CYCLE_1)
	s_mov_b32 s1, exec_lo
	v_cmpx_gt_u64_e64 s[4:5], v[10:11]
	s_cbranch_execz .LBB87_8
	s_branch .LBB87_24
.LBB87_20:                              ;   in Loop: Header=BB87_9 Depth=1
	v_add_co_u32 v29, vcc_lo, v19, s10
	v_add_co_ci_u32_e32 v30, vcc_lo, s11, v20, vcc_lo
	v_add_co_u32 v31, vcc_lo, v17, s10
	v_add_co_ci_u32_e32 v32, vcc_lo, s11, v18, vcc_lo
	v_dual_mov_b32 v33, 0 :: v_dual_mov_b32 v34, 0
	global_load_d16_hi_b16 v33, v[31:32], off
	global_load_d16_hi_b16 v34, v[29:30], off
	s_waitcnt vmcnt(1)
	v_or_b32_e32 v3, v33, v3
	s_waitcnt vmcnt(0)
	v_or_b32_e32 v5, v34, v5
	s_or_b32 exec_lo, exec_lo, s1
	s_delay_alu instid0(SALU_CYCLE_1)
	s_mov_b32 s1, exec_lo
	v_cmpx_gt_u64_e64 s[4:5], v[0:1]
	s_cbranch_execz .LBB87_17
.LBB87_21:                              ;   in Loop: Header=BB87_9 Depth=1
	v_lshlrev_b32_e32 v29, 16, v4
	s_delay_alu instid0(VALU_DEP_1) | instskip(SKIP_1) | instid1(VALU_DEP_2)
	v_div_scale_f32 v30, null, v29, v29, v12
	v_div_scale_f32 v33, vcc_lo, v12, v29, v12
	v_rcp_f32_e32 v31, v30
	s_waitcnt_depctr 0xfff
	v_fma_f32 v32, -v30, v31, 1.0
	s_delay_alu instid0(VALU_DEP_1) | instskip(NEXT) | instid1(VALU_DEP_1)
	v_fmac_f32_e32 v31, v32, v31
	v_mul_f32_e32 v32, v33, v31
	s_delay_alu instid0(VALU_DEP_1) | instskip(NEXT) | instid1(VALU_DEP_1)
	v_fma_f32 v34, -v30, v32, v33
	v_fmac_f32_e32 v32, v34, v31
	s_delay_alu instid0(VALU_DEP_1) | instskip(NEXT) | instid1(VALU_DEP_1)
	v_fma_f32 v30, -v30, v32, v33
	v_div_fmas_f32 v30, v30, v31, v32
	v_lshlrev_b32_e32 v31, 16, v2
	s_delay_alu instid0(VALU_DEP_2) | instskip(NEXT) | instid1(VALU_DEP_1)
	v_div_fixup_f32 v29, v30, v29, v12
	v_dual_add_f32 v30, v29, v31 :: v_dual_fmac_f32 v31, s9, v29
	s_delay_alu instid0(VALU_DEP_1) | instskip(NEXT) | instid1(VALU_DEP_1)
	v_cndmask_b32_e64 v31, v31, v30, s0
	v_bfe_u32 v29, v31, 16, 1
	s_delay_alu instid0(VALU_DEP_1) | instskip(NEXT) | instid1(VALU_DEP_1)
	v_add3_u32 v29, v31, v29, 0x7fff
	v_lshrrev_b32_e32 v32, 16, v29
	v_add_co_u32 v29, vcc_lo, v13, s10
	v_add_co_ci_u32_e32 v30, vcc_lo, s11, v14, vcc_lo
	v_cmp_o_f32_e32 vcc_lo, v31, v31
	s_delay_alu instid0(VALU_DEP_4) | instskip(SKIP_2) | instid1(SALU_CYCLE_1)
	v_cndmask_b32_e32 v31, 0x7fc0, v32, vcc_lo
	global_store_b16 v[29:30], v31, off
	s_or_b32 exec_lo, exec_lo, s1
	s_mov_b32 s1, exec_lo
	v_cmpx_gt_u64_e64 s[4:5], v[6:7]
	s_cbranch_execz .LBB87_18
.LBB87_22:                              ;   in Loop: Header=BB87_9 Depth=1
	v_and_b32_e32 v6, 0xffff0000, v4
	s_delay_alu instid0(VALU_DEP_1) | instskip(NEXT) | instid1(VALU_DEP_1)
	v_div_scale_f32 v7, null, v6, v6, v12
	v_rcp_f32_e32 v29, v7
	s_waitcnt_depctr 0xfff
	v_fma_f32 v30, -v7, v29, 1.0
	s_delay_alu instid0(VALU_DEP_1) | instskip(SKIP_1) | instid1(VALU_DEP_1)
	v_fmac_f32_e32 v29, v30, v29
	v_div_scale_f32 v31, vcc_lo, v12, v6, v12
	v_mul_f32_e32 v30, v31, v29
	s_delay_alu instid0(VALU_DEP_1) | instskip(NEXT) | instid1(VALU_DEP_1)
	v_fma_f32 v32, -v7, v30, v31
	v_fmac_f32_e32 v30, v32, v29
	s_delay_alu instid0(VALU_DEP_1) | instskip(NEXT) | instid1(VALU_DEP_1)
	v_fma_f32 v7, -v7, v30, v31
	v_div_fmas_f32 v7, v7, v29, v30
	v_and_b32_e32 v29, 0xffff0000, v2
	s_delay_alu instid0(VALU_DEP_2) | instskip(NEXT) | instid1(VALU_DEP_1)
	v_div_fixup_f32 v6, v7, v6, v12
	v_add_f32_e32 v7, v6, v29
	v_fmac_f32_e32 v29, s9, v6
	s_delay_alu instid0(VALU_DEP_1) | instskip(NEXT) | instid1(VALU_DEP_1)
	v_cndmask_b32_e64 v6, v29, v7, s0
	v_bfe_u32 v7, v6, 16, 1
	v_cmp_o_f32_e32 vcc_lo, v6, v6
	s_delay_alu instid0(VALU_DEP_2) | instskip(NEXT) | instid1(VALU_DEP_1)
	v_add3_u32 v7, v6, v7, 0x7fff
	v_lshrrev_b32_e32 v7, 16, v7
	s_delay_alu instid0(VALU_DEP_1) | instskip(SKIP_4) | instid1(SALU_CYCLE_1)
	v_cndmask_b32_e32 v29, 0x7fc0, v7, vcc_lo
	v_add_co_u32 v6, vcc_lo, v25, s10
	v_add_co_ci_u32_e32 v7, vcc_lo, s11, v26, vcc_lo
	global_store_b16 v[6:7], v29, off
	s_or_b32 exec_lo, exec_lo, s1
	s_mov_b32 s1, exec_lo
	v_cmpx_gt_u64_e64 s[4:5], v[8:9]
	s_cbranch_execz .LBB87_19
.LBB87_23:                              ;   in Loop: Header=BB87_9 Depth=1
	v_alignbit_b32 v4, v5, v4, 16
	v_alignbit_b32 v2, v3, v2, 16
	s_delay_alu instid0(VALU_DEP_2) | instskip(NEXT) | instid1(VALU_DEP_2)
	v_and_b32_e32 v4, 0xffff0000, v4
	v_and_b32_e32 v2, 0xffff0000, v2
	s_delay_alu instid0(VALU_DEP_2) | instskip(NEXT) | instid1(VALU_DEP_1)
	v_div_scale_f32 v6, null, v4, v4, v12
	v_rcp_f32_e32 v7, v6
	s_waitcnt_depctr 0xfff
	v_fma_f32 v8, -v6, v7, 1.0
	s_delay_alu instid0(VALU_DEP_1) | instskip(SKIP_1) | instid1(VALU_DEP_1)
	v_fmac_f32_e32 v7, v8, v7
	v_div_scale_f32 v9, vcc_lo, v12, v4, v12
	v_mul_f32_e32 v8, v9, v7
	s_delay_alu instid0(VALU_DEP_1) | instskip(NEXT) | instid1(VALU_DEP_1)
	v_fma_f32 v29, -v6, v8, v9
	v_fmac_f32_e32 v8, v29, v7
	s_delay_alu instid0(VALU_DEP_1) | instskip(NEXT) | instid1(VALU_DEP_1)
	v_fma_f32 v6, -v6, v8, v9
	v_div_fmas_f32 v6, v6, v7, v8
	s_delay_alu instid0(VALU_DEP_1) | instskip(NEXT) | instid1(VALU_DEP_1)
	v_div_fixup_f32 v4, v6, v4, v12
	v_add_f32_e32 v6, v4, v2
	v_fmac_f32_e32 v2, s9, v4
	s_delay_alu instid0(VALU_DEP_1) | instskip(NEXT) | instid1(VALU_DEP_1)
	v_cndmask_b32_e64 v2, v2, v6, s0
	v_bfe_u32 v4, v2, 16, 1
	v_cmp_o_f32_e32 vcc_lo, v2, v2
	s_delay_alu instid0(VALU_DEP_2) | instskip(NEXT) | instid1(VALU_DEP_1)
	v_add3_u32 v4, v2, v4, 0x7fff
	v_lshrrev_b32_e32 v4, 16, v4
	s_delay_alu instid0(VALU_DEP_1) | instskip(SKIP_4) | instid1(SALU_CYCLE_1)
	v_cndmask_b32_e32 v2, 0x7fc0, v4, vcc_lo
	v_add_co_u32 v6, vcc_lo, v21, s10
	v_add_co_ci_u32_e32 v7, vcc_lo, s11, v22, vcc_lo
	global_store_b16 v[6:7], v2, off
	s_or_b32 exec_lo, exec_lo, s1
	s_mov_b32 s1, exec_lo
	v_cmpx_gt_u64_e64 s[4:5], v[10:11]
	s_cbranch_execz .LBB87_8
.LBB87_24:                              ;   in Loop: Header=BB87_9 Depth=1
	v_and_b32_e32 v2, 0xffff0000, v5
	v_and_b32_e32 v3, 0xffff0000, v3
	s_delay_alu instid0(VALU_DEP_2) | instskip(SKIP_1) | instid1(VALU_DEP_2)
	v_div_scale_f32 v4, null, v2, v2, v12
	v_div_scale_f32 v7, vcc_lo, v12, v2, v12
	v_rcp_f32_e32 v5, v4
	s_waitcnt_depctr 0xfff
	v_fma_f32 v6, -v4, v5, 1.0
	s_delay_alu instid0(VALU_DEP_1) | instskip(NEXT) | instid1(VALU_DEP_1)
	v_fmac_f32_e32 v5, v6, v5
	v_mul_f32_e32 v6, v7, v5
	s_delay_alu instid0(VALU_DEP_1) | instskip(NEXT) | instid1(VALU_DEP_1)
	v_fma_f32 v8, -v4, v6, v7
	v_fmac_f32_e32 v6, v8, v5
	s_delay_alu instid0(VALU_DEP_1) | instskip(NEXT) | instid1(VALU_DEP_1)
	v_fma_f32 v4, -v4, v6, v7
	v_div_fmas_f32 v4, v4, v5, v6
	s_delay_alu instid0(VALU_DEP_1) | instskip(NEXT) | instid1(VALU_DEP_1)
	v_div_fixup_f32 v2, v4, v2, v12
	v_dual_add_f32 v4, v2, v3 :: v_dual_fmac_f32 v3, s9, v2
	s_delay_alu instid0(VALU_DEP_1) | instskip(NEXT) | instid1(VALU_DEP_1)
	v_cndmask_b32_e64 v2, v3, v4, s0
	v_bfe_u32 v3, v2, 16, 1
	v_cmp_o_f32_e32 vcc_lo, v2, v2
	s_delay_alu instid0(VALU_DEP_2) | instskip(NEXT) | instid1(VALU_DEP_1)
	v_add3_u32 v3, v2, v3, 0x7fff
	v_lshrrev_b32_e32 v3, 16, v3
	s_delay_alu instid0(VALU_DEP_1)
	v_cndmask_b32_e32 v4, 0x7fc0, v3, vcc_lo
	v_add_co_u32 v2, vcc_lo, v17, s10
	v_add_co_ci_u32_e32 v3, vcc_lo, s11, v18, vcc_lo
	global_store_b16 v[2:3], v4, off
	s_branch .LBB87_8
.LBB87_25:
	s_nop 0
	s_sendmsg sendmsg(MSG_DEALLOC_VGPRS)
	s_endpgm
	.section	.rodata,"a",@progbits
	.p2align	6, 0x0
	.amdhsa_kernel _ZN2at6native12_GLOBAL__N_125multi_tensor_apply_kernelINS1_18TensorListMetadataILi3EEENS1_32PointwiseOpScalar0dTensorFunctorIN3c108BFloat16ELi3ELi2ELi0EEEJSt7dividesIfEfEEEvT_T0_DpT1_
		.amdhsa_group_segment_fixed_size 0
		.amdhsa_private_segment_fixed_size 0
		.amdhsa_kernarg_size 3408
		.amdhsa_user_sgpr_count 15
		.amdhsa_user_sgpr_dispatch_ptr 0
		.amdhsa_user_sgpr_queue_ptr 0
		.amdhsa_user_sgpr_kernarg_segment_ptr 1
		.amdhsa_user_sgpr_dispatch_id 0
		.amdhsa_user_sgpr_private_segment_size 0
		.amdhsa_wavefront_size32 1
		.amdhsa_uses_dynamic_stack 0
		.amdhsa_enable_private_segment 0
		.amdhsa_system_sgpr_workgroup_id_x 1
		.amdhsa_system_sgpr_workgroup_id_y 0
		.amdhsa_system_sgpr_workgroup_id_z 0
		.amdhsa_system_sgpr_workgroup_info 0
		.amdhsa_system_vgpr_workitem_id 0
		.amdhsa_next_free_vgpr 35
		.amdhsa_next_free_sgpr 22
		.amdhsa_reserve_vcc 1
		.amdhsa_float_round_mode_32 0
		.amdhsa_float_round_mode_16_64 0
		.amdhsa_float_denorm_mode_32 3
		.amdhsa_float_denorm_mode_16_64 3
		.amdhsa_dx10_clamp 1
		.amdhsa_ieee_mode 1
		.amdhsa_fp16_overflow 0
		.amdhsa_workgroup_processor_mode 1
		.amdhsa_memory_ordered 1
		.amdhsa_forward_progress 0
		.amdhsa_shared_vgpr_count 0
		.amdhsa_exception_fp_ieee_invalid_op 0
		.amdhsa_exception_fp_denorm_src 0
		.amdhsa_exception_fp_ieee_div_zero 0
		.amdhsa_exception_fp_ieee_overflow 0
		.amdhsa_exception_fp_ieee_underflow 0
		.amdhsa_exception_fp_ieee_inexact 0
		.amdhsa_exception_int_div_zero 0
	.end_amdhsa_kernel
	.section	.text._ZN2at6native12_GLOBAL__N_125multi_tensor_apply_kernelINS1_18TensorListMetadataILi3EEENS1_32PointwiseOpScalar0dTensorFunctorIN3c108BFloat16ELi3ELi2ELi0EEEJSt7dividesIfEfEEEvT_T0_DpT1_,"axG",@progbits,_ZN2at6native12_GLOBAL__N_125multi_tensor_apply_kernelINS1_18TensorListMetadataILi3EEENS1_32PointwiseOpScalar0dTensorFunctorIN3c108BFloat16ELi3ELi2ELi0EEEJSt7dividesIfEfEEEvT_T0_DpT1_,comdat
.Lfunc_end87:
	.size	_ZN2at6native12_GLOBAL__N_125multi_tensor_apply_kernelINS1_18TensorListMetadataILi3EEENS1_32PointwiseOpScalar0dTensorFunctorIN3c108BFloat16ELi3ELi2ELi0EEEJSt7dividesIfEfEEEvT_T0_DpT1_, .Lfunc_end87-_ZN2at6native12_GLOBAL__N_125multi_tensor_apply_kernelINS1_18TensorListMetadataILi3EEENS1_32PointwiseOpScalar0dTensorFunctorIN3c108BFloat16ELi3ELi2ELi0EEEJSt7dividesIfEfEEEvT_T0_DpT1_
                                        ; -- End function
	.section	.AMDGPU.csdata,"",@progbits
; Kernel info:
; codeLenInByte = 3128
; NumSgprs: 24
; NumVgprs: 35
; ScratchSize: 0
; MemoryBound: 0
; FloatMode: 240
; IeeeMode: 1
; LDSByteSize: 0 bytes/workgroup (compile time only)
; SGPRBlocks: 2
; VGPRBlocks: 4
; NumSGPRsForWavesPerEU: 24
; NumVGPRsForWavesPerEU: 35
; Occupancy: 16
; WaveLimiterHint : 0
; COMPUTE_PGM_RSRC2:SCRATCH_EN: 0
; COMPUTE_PGM_RSRC2:USER_SGPR: 15
; COMPUTE_PGM_RSRC2:TRAP_HANDLER: 0
; COMPUTE_PGM_RSRC2:TGID_X_EN: 1
; COMPUTE_PGM_RSRC2:TGID_Y_EN: 0
; COMPUTE_PGM_RSRC2:TGID_Z_EN: 0
; COMPUTE_PGM_RSRC2:TIDIG_COMP_CNT: 0
	.section	.text._ZN2at6native12_GLOBAL__N_125multi_tensor_apply_kernelINS1_28TensorListScalarListMetadataIhLi4EEENS1_28PointwiseOpScalarListFunctorIhLi4ELi3ELi3EEEJSt10multipliesIhEEEEvT_T0_DpT1_,"axG",@progbits,_ZN2at6native12_GLOBAL__N_125multi_tensor_apply_kernelINS1_28TensorListScalarListMetadataIhLi4EEENS1_28PointwiseOpScalarListFunctorIhLi4ELi3ELi3EEEJSt10multipliesIhEEEEvT_T0_DpT1_,comdat
	.globl	_ZN2at6native12_GLOBAL__N_125multi_tensor_apply_kernelINS1_28TensorListScalarListMetadataIhLi4EEENS1_28PointwiseOpScalarListFunctorIhLi4ELi3ELi3EEEJSt10multipliesIhEEEEvT_T0_DpT1_ ; -- Begin function _ZN2at6native12_GLOBAL__N_125multi_tensor_apply_kernelINS1_28TensorListScalarListMetadataIhLi4EEENS1_28PointwiseOpScalarListFunctorIhLi4ELi3ELi3EEEJSt10multipliesIhEEEEvT_T0_DpT1_
	.p2align	8
	.type	_ZN2at6native12_GLOBAL__N_125multi_tensor_apply_kernelINS1_28TensorListScalarListMetadataIhLi4EEENS1_28PointwiseOpScalarListFunctorIhLi4ELi3ELi3EEEJSt10multipliesIhEEEEvT_T0_DpT1_,@function
_ZN2at6native12_GLOBAL__N_125multi_tensor_apply_kernelINS1_28TensorListScalarListMetadataIhLi4EEENS1_28PointwiseOpScalarListFunctorIhLi4ELi3ELi3EEEJSt10multipliesIhEEEEvT_T0_DpT1_: ; @_ZN2at6native12_GLOBAL__N_125multi_tensor_apply_kernelINS1_28TensorListScalarListMetadataIhLi4EEENS1_28PointwiseOpScalarListFunctorIhLi4ELi3ELi3EEEJSt10multipliesIhEEEEvT_T0_DpT1_
; %bb.0:
	v_mov_b32_e32 v1, s15
	s_mul_i32 s4, s15, 3
	s_mul_hi_u32 s5, s15, 3
	s_mov_b32 s25, 0
	global_load_u8 v3, v1, s[0:1] offset:1476
	s_waitcnt vmcnt(0)
	v_add_co_u32 v1, s2, s0, v3
	s_delay_alu instid0(VALU_DEP_1)
	v_add_co_ci_u32_e64 v2, null, s1, 0, s2
	s_add_u32 s2, s0, s15
	s_addc_u32 s3, s1, 0
	s_add_u32 s2, s2, s4
	global_load_u8 v2, v[1:2], off offset:1440
	s_addc_u32 s3, s3, s5
	v_readfirstlane_b32 s4, v3
	s_load_b32 s6, s[2:3], 0x704
	s_delay_alu instid0(VALU_DEP_1)
	s_lshl_b32 s7, s4, 3
	s_clause 0x4
	s_load_b64 s[14:15], s[0:1], s7 offset:0x0
	s_load_b64 s[12:13], s[0:1], s7 offset:0x120
	;; [unrolled: 1-line block ×5, first 2 shown]
	s_waitcnt lgkmcnt(0)
	s_ashr_i32 s7, s6, 31
	s_delay_alu instid0(SALU_CYCLE_1) | instskip(NEXT) | instid1(SALU_CYCLE_1)
	s_lshl_b64 s[16:17], s[6:7], 16
	s_add_u32 s6, s14, s16
	s_addc_u32 s7, s15, s17
	s_add_u32 s18, s12, s16
	s_addc_u32 s19, s13, s17
	s_and_b32 s24, s18, 3
	s_delay_alu instid0(SALU_CYCLE_1)
	s_cmp_eq_u64 s[24:25], 0
	s_cselect_b32 s8, -1, 0
	s_add_u32 s20, s4, s16
	s_addc_u32 s21, s5, s17
	s_add_u32 s22, s2, s16
	s_addc_u32 s23, s3, s17
	s_or_b32 s9, s22, s20
	s_delay_alu instid0(SALU_CYCLE_1) | instskip(NEXT) | instid1(SALU_CYCLE_1)
	s_and_b32 s9, s9, 3
	s_cmp_eq_u32 s9, 0
	s_cselect_b32 s9, -1, 0
	s_delay_alu instid0(SALU_CYCLE_1) | instskip(SKIP_3) | instid1(SALU_CYCLE_1)
	s_and_b32 s26, s9, s8
	s_sub_u32 s8, s10, s16
	s_subb_u32 s9, s11, s17
	s_or_b64 s[10:11], s[10:11], s[6:7]
	s_and_b32 s24, s10, 3
	s_delay_alu instid0(SALU_CYCLE_1) | instskip(SKIP_1) | instid1(SALU_CYCLE_1)
	s_cmp_eq_u64 s[24:25], 0
	s_cselect_b32 s10, -1, 0
	s_and_b32 s10, s26, s10
	s_delay_alu instid0(SALU_CYCLE_1)
	s_and_b32 vcc_lo, exec_lo, s10
	s_mov_b32 s10, -1
	s_cbranch_vccnz .LBB88_29
; %bb.1:
	v_cmp_lt_i64_e64 s10, s[8:9], 1
	s_delay_alu instid0(VALU_DEP_1)
	s_and_b32 vcc_lo, exec_lo, s10
	s_cbranch_vccnz .LBB88_28
; %bb.2:
	s_load_b32 s10, s[0:1], 0xc1c
	v_add_co_u32 v28, s11, s16, v0
	s_delay_alu instid0(VALU_DEP_1) | instskip(SKIP_1) | instid1(VALU_DEP_3)
	v_add_co_ci_u32_e64 v29, null, s17, 0, s11
	v_cmp_gt_u64_e64 s11, 0x10000, s[8:9]
	v_add_co_u32 v1, vcc_lo, s14, v28
	s_delay_alu instid0(VALU_DEP_3)
	v_add_co_ci_u32_e32 v3, vcc_lo, s15, v29, vcc_lo
	v_add_co_u32 v4, vcc_lo, s12, v28
	v_add_co_ci_u32_e32 v5, vcc_lo, s13, v29, vcc_lo
	v_add_co_u32 v6, vcc_lo, s4, v28
	v_add_co_ci_u32_e32 v7, vcc_lo, s5, v29, vcc_lo
	v_add_co_u32 v8, vcc_lo, s2, v28
	s_waitcnt lgkmcnt(0)
	s_and_b32 s25, s10, 0xffff
	s_and_b32 s10, s11, exec_lo
	s_mul_i32 s27, s25, 3
	s_cselect_b32 s11, s9, 0
	s_cselect_b32 s10, s8, 0x10000
	s_lshl_b32 s26, s25, 1
	s_lshl_b32 s24, s25, 2
	s_add_u32 s28, s16, s27
	s_addc_u32 s29, s17, 0
	v_add_co_u32 v16, s28, s28, v0
	s_delay_alu instid0(VALU_DEP_1) | instskip(SKIP_1) | instid1(VALU_DEP_3)
	v_add_co_ci_u32_e64 v17, null, s29, 0, s28
	v_add_co_ci_u32_e32 v9, vcc_lo, s3, v29, vcc_lo
	v_add_co_u32 v10, vcc_lo, s14, v16
	s_delay_alu instid0(VALU_DEP_3)
	v_add_co_ci_u32_e32 v11, vcc_lo, s15, v17, vcc_lo
	v_add_co_u32 v12, vcc_lo, s12, v16
	v_add_co_ci_u32_e32 v13, vcc_lo, s13, v17, vcc_lo
	s_add_u32 s16, s16, s26
	v_add_co_u32 v14, vcc_lo, s4, v16
	s_addc_u32 s17, s17, 0
	v_add_co_u32 v26, s16, s16, v0
	v_add_co_ci_u32_e32 v15, vcc_lo, s5, v17, vcc_lo
	v_add_co_u32 v16, vcc_lo, s2, v16
	v_add_co_ci_u32_e64 v27, null, s17, 0, s16
	v_add_co_ci_u32_e32 v17, vcc_lo, s3, v17, vcc_lo
	v_add_co_u32 v20, vcc_lo, s14, v26
	s_delay_alu instid0(VALU_DEP_3)
	v_add_co_ci_u32_e32 v21, vcc_lo, s15, v27, vcc_lo
	v_add_co_u32 v22, vcc_lo, s12, v26
	v_add_co_ci_u32_e32 v23, vcc_lo, s13, v27, vcc_lo
	v_add_co_u32 v24, vcc_lo, s4, v26
	;; [unrolled: 2-line block ×4, first 2 shown]
	v_add_co_ci_u32_e32 v37, vcc_lo, 0, v29, vcc_lo
	v_add_co_u32 v18, s16, s27, v0
	s_delay_alu instid0(VALU_DEP_3) | instskip(NEXT) | instid1(VALU_DEP_3)
	v_add_co_u32 v30, vcc_lo, s14, v36
	v_add_co_ci_u32_e32 v31, vcc_lo, s15, v37, vcc_lo
	v_add_co_u32 v32, vcc_lo, s12, v36
	v_add_co_ci_u32_e32 v33, vcc_lo, s13, v37, vcc_lo
	;; [unrolled: 2-line block ×3, first 2 shown]
	v_add_co_ci_u32_e64 v19, null, 0, 0, s16
	v_add_co_u32 v28, s16, s26, v0
	v_add_co_u32 v36, vcc_lo, s2, v36
	v_add_co_u32 v38, s2, v0, s25
	v_add_co_ci_u32_e64 v29, null, 0, 0, s16
	v_add_co_ci_u32_e32 v37, vcc_lo, s3, v37, vcc_lo
	v_add_co_ci_u32_e64 v39, null, 0, 0, s2
	s_mov_b64 s[12:13], 0
	s_branch .LBB88_4
.LBB88_3:                               ;   in Loop: Header=BB88_4 Depth=1
	s_or_b32 exec_lo, exec_lo, s2
	s_add_u32 s12, s12, s24
	s_addc_u32 s13, s13, 0
	s_delay_alu instid0(SALU_CYCLE_1) | instskip(SKIP_1) | instid1(VALU_DEP_1)
	v_cmp_lt_i64_e64 s2, s[12:13], s[8:9]
	v_cmp_gt_u64_e64 s3, 0x10000, s[12:13]
	s_and_b32 s2, s2, s3
	s_delay_alu instid0(SALU_CYCLE_1)
	s_and_b32 vcc_lo, exec_lo, s2
	s_cbranch_vccz .LBB88_28
.LBB88_4:                               ; =>This Inner Loop Header: Depth=1
	s_waitcnt vmcnt(1)
	v_add_co_u32 v40, s2, v0, s12
	s_waitcnt vmcnt(0)
	v_add_co_ci_u32_e64 v41, null, 0, s13, s2
	s_delay_alu instid0(VALU_DEP_1)
	v_cmp_gt_u64_e32 vcc_lo, s[10:11], v[40:41]
	v_dual_mov_b32 v40, 0 :: v_dual_mov_b32 v41, 0
	s_and_saveexec_b32 s3, vcc_lo
	s_cbranch_execz .LBB88_6
; %bb.5:                                ;   in Loop: Header=BB88_4 Depth=1
	v_add_co_u32 v40, s2, v1, s12
	s_delay_alu instid0(VALU_DEP_1) | instskip(SKIP_1) | instid1(VALU_DEP_1)
	v_add_co_ci_u32_e64 v41, s2, s13, v3, s2
	v_add_co_u32 v42, s2, v4, s12
	v_add_co_ci_u32_e64 v43, s2, s13, v5, s2
	global_load_u8 v40, v[40:41], off
	global_load_u8 v41, v[42:43], off
.LBB88_6:                               ;   in Loop: Header=BB88_4 Depth=1
	s_or_b32 exec_lo, exec_lo, s3
	v_dual_mov_b32 v42, 0 :: v_dual_mov_b32 v43, 0
	s_and_saveexec_b32 s3, vcc_lo
	s_cbranch_execz .LBB88_8
; %bb.7:                                ;   in Loop: Header=BB88_4 Depth=1
	v_add_co_u32 v43, s2, v6, s12
	s_delay_alu instid0(VALU_DEP_1)
	v_add_co_ci_u32_e64 v44, s2, s13, v7, s2
	global_load_u8 v43, v[43:44], off
.LBB88_8:                               ;   in Loop: Header=BB88_4 Depth=1
	s_or_b32 exec_lo, exec_lo, s3
	v_add_co_u32 v44, s2, v38, s12
	s_delay_alu instid0(VALU_DEP_1) | instskip(NEXT) | instid1(VALU_DEP_1)
	v_add_co_ci_u32_e64 v45, s2, s13, v39, s2
	v_cmp_gt_u64_e64 s2, s[10:11], v[44:45]
	v_mov_b32_e32 v44, 0
	s_delay_alu instid0(VALU_DEP_2)
	s_and_saveexec_b32 s4, s2
	s_cbranch_execz .LBB88_10
; %bb.9:                                ;   in Loop: Header=BB88_4 Depth=1
	v_add_co_u32 v44, s3, v30, s12
	s_delay_alu instid0(VALU_DEP_1) | instskip(SKIP_1) | instid1(VALU_DEP_1)
	v_add_co_ci_u32_e64 v45, s3, s13, v31, s3
	v_add_co_u32 v46, s3, v32, s12
	v_add_co_ci_u32_e64 v47, s3, s13, v33, s3
	global_load_u8 v42, v[44:45], off
	global_load_u8 v44, v[46:47], off
.LBB88_10:                              ;   in Loop: Header=BB88_4 Depth=1
	s_or_b32 exec_lo, exec_lo, s4
	v_dual_mov_b32 v45, 0 :: v_dual_mov_b32 v46, 0
	s_and_saveexec_b32 s4, s2
	s_cbranch_execz .LBB88_12
; %bb.11:                               ;   in Loop: Header=BB88_4 Depth=1
	v_add_co_u32 v46, s3, v34, s12
	s_delay_alu instid0(VALU_DEP_1)
	v_add_co_ci_u32_e64 v47, s3, s13, v35, s3
	global_load_u8 v46, v[46:47], off
.LBB88_12:                              ;   in Loop: Header=BB88_4 Depth=1
	s_or_b32 exec_lo, exec_lo, s4
	v_add_co_u32 v47, s3, v28, s12
	s_delay_alu instid0(VALU_DEP_1) | instskip(NEXT) | instid1(VALU_DEP_1)
	v_add_co_ci_u32_e64 v48, s3, s13, v29, s3
	v_cmp_gt_u64_e64 s3, s[10:11], v[47:48]
	v_mov_b32_e32 v47, 0
	s_delay_alu instid0(VALU_DEP_2)
	s_and_saveexec_b32 s5, s3
	s_cbranch_execz .LBB88_14
; %bb.13:                               ;   in Loop: Header=BB88_4 Depth=1
	v_add_co_u32 v47, s4, v20, s12
	s_delay_alu instid0(VALU_DEP_1) | instskip(SKIP_1) | instid1(VALU_DEP_1)
	v_add_co_ci_u32_e64 v48, s4, s13, v21, s4
	v_add_co_u32 v49, s4, v22, s12
	v_add_co_ci_u32_e64 v50, s4, s13, v23, s4
	global_load_u8 v45, v[47:48], off
	global_load_u8 v47, v[49:50], off
.LBB88_14:                              ;   in Loop: Header=BB88_4 Depth=1
	s_or_b32 exec_lo, exec_lo, s5
	v_dual_mov_b32 v48, 0 :: v_dual_mov_b32 v49, 0
	s_and_saveexec_b32 s5, s3
	s_cbranch_execz .LBB88_16
; %bb.15:                               ;   in Loop: Header=BB88_4 Depth=1
	v_add_co_u32 v49, s4, v24, s12
	s_delay_alu instid0(VALU_DEP_1)
	v_add_co_ci_u32_e64 v50, s4, s13, v25, s4
	global_load_u8 v49, v[49:50], off
.LBB88_16:                              ;   in Loop: Header=BB88_4 Depth=1
	s_or_b32 exec_lo, exec_lo, s5
	v_add_co_u32 v50, s4, v18, s12
	s_delay_alu instid0(VALU_DEP_1) | instskip(NEXT) | instid1(VALU_DEP_1)
	v_add_co_ci_u32_e64 v51, s4, s13, v19, s4
	v_cmp_gt_u64_e64 s4, s[10:11], v[50:51]
	v_mov_b32_e32 v50, 0
	s_delay_alu instid0(VALU_DEP_2)
	s_and_saveexec_b32 s14, s4
	s_cbranch_execnz .LBB88_22
; %bb.17:                               ;   in Loop: Header=BB88_4 Depth=1
	s_or_b32 exec_lo, exec_lo, s14
	v_mov_b32_e32 v51, 0
	s_and_saveexec_b32 s14, s4
	s_cbranch_execnz .LBB88_23
.LBB88_18:                              ;   in Loop: Header=BB88_4 Depth=1
	s_or_b32 exec_lo, exec_lo, s14
	s_and_saveexec_b32 s5, vcc_lo
	s_cbranch_execnz .LBB88_24
.LBB88_19:                              ;   in Loop: Header=BB88_4 Depth=1
	s_or_b32 exec_lo, exec_lo, s5
	s_and_saveexec_b32 s5, s2
	s_cbranch_execnz .LBB88_25
.LBB88_20:                              ;   in Loop: Header=BB88_4 Depth=1
	s_or_b32 exec_lo, exec_lo, s5
	s_and_saveexec_b32 s2, s3
	s_cbranch_execnz .LBB88_26
.LBB88_21:                              ;   in Loop: Header=BB88_4 Depth=1
	s_or_b32 exec_lo, exec_lo, s2
	s_and_saveexec_b32 s2, s4
	s_cbranch_execz .LBB88_3
	s_branch .LBB88_27
.LBB88_22:                              ;   in Loop: Header=BB88_4 Depth=1
	v_add_co_u32 v50, s5, v10, s12
	s_delay_alu instid0(VALU_DEP_1) | instskip(SKIP_1) | instid1(VALU_DEP_1)
	v_add_co_ci_u32_e64 v51, s5, s13, v11, s5
	v_add_co_u32 v52, s5, v12, s12
	v_add_co_ci_u32_e64 v53, s5, s13, v13, s5
	global_load_u8 v48, v[50:51], off
	global_load_u8 v50, v[52:53], off
	s_or_b32 exec_lo, exec_lo, s14
	v_mov_b32_e32 v51, 0
	s_and_saveexec_b32 s14, s4
	s_cbranch_execz .LBB88_18
.LBB88_23:                              ;   in Loop: Header=BB88_4 Depth=1
	v_add_co_u32 v51, s5, v14, s12
	s_delay_alu instid0(VALU_DEP_1)
	v_add_co_ci_u32_e64 v52, s5, s13, v15, s5
	global_load_u8 v51, v[51:52], off
	s_or_b32 exec_lo, exec_lo, s14
	s_and_saveexec_b32 s5, vcc_lo
	s_cbranch_execz .LBB88_19
.LBB88_24:                              ;   in Loop: Header=BB88_4 Depth=1
	s_waitcnt vmcnt(0)
	v_mul_lo_u16 v41, v41, v2
	s_delay_alu instid0(VALU_DEP_1)
	v_mad_u16 v43, v41, v43, v40
	v_add_co_u32 v40, vcc_lo, v8, s12
	v_add_co_ci_u32_e32 v41, vcc_lo, s13, v9, vcc_lo
	global_store_b8 v[40:41], v43, off
	s_or_b32 exec_lo, exec_lo, s5
	s_and_saveexec_b32 s5, s2
	s_cbranch_execz .LBB88_20
.LBB88_25:                              ;   in Loop: Header=BB88_4 Depth=1
	s_waitcnt vmcnt(0)
	v_mul_lo_u16 v40, v44, v2
	s_delay_alu instid0(VALU_DEP_1)
	v_mad_u16 v42, v40, v46, v42
	v_add_co_u32 v40, vcc_lo, v36, s12
	v_add_co_ci_u32_e32 v41, vcc_lo, s13, v37, vcc_lo
	global_store_b8 v[40:41], v42, off
	s_or_b32 exec_lo, exec_lo, s5
	s_and_saveexec_b32 s2, s3
	s_cbranch_execz .LBB88_21
.LBB88_26:                              ;   in Loop: Header=BB88_4 Depth=1
	s_waitcnt vmcnt(0)
	v_mul_lo_u16 v40, v47, v2
	s_delay_alu instid0(VALU_DEP_1)
	v_mad_u16 v42, v40, v49, v45
	v_add_co_u32 v40, vcc_lo, v26, s12
	v_add_co_ci_u32_e32 v41, vcc_lo, s13, v27, vcc_lo
	global_store_b8 v[40:41], v42, off
	s_or_b32 exec_lo, exec_lo, s2
	s_and_saveexec_b32 s2, s4
	s_cbranch_execz .LBB88_3
.LBB88_27:                              ;   in Loop: Header=BB88_4 Depth=1
	s_waitcnt vmcnt(0)
	v_mul_lo_u16 v40, v50, v2
	s_delay_alu instid0(VALU_DEP_1)
	v_mad_u16 v42, v40, v51, v48
	v_add_co_u32 v40, vcc_lo, v16, s12
	v_add_co_ci_u32_e32 v41, vcc_lo, s13, v17, vcc_lo
	global_store_b8 v[40:41], v42, off
	s_branch .LBB88_3
.LBB88_28:
	s_mov_b32 s10, 0
.LBB88_29:
	s_delay_alu instid0(SALU_CYCLE_1)
	s_and_not1_b32 vcc_lo, exec_lo, s10
	s_cbranch_vccnz .LBB88_33
; %bb.30:
	v_dual_mov_b32 v1, 0 :: v_dual_lshlrev_b32 v0, 2, v0
	s_mov_b32 s2, exec_lo
	s_delay_alu instid0(VALU_DEP_1)
	v_cmpx_gt_i64_e64 s[8:9], v[0:1]
	s_cbranch_execz .LBB88_33
; %bb.31:
	s_load_b32 s0, s[0:1], 0xc1c
	s_mov_b32 s2, 0
	s_waitcnt lgkmcnt(0)
	s_and_b32 s0, s0, 0xffff
	s_delay_alu instid0(SALU_CYCLE_1)
	s_lshl_b32 s1, s0, 2
.LBB88_32:                              ; =>This Inner Loop Header: Depth=1
	v_add_co_u32 v3, vcc_lo, s6, v0
	v_add_co_ci_u32_e32 v4, vcc_lo, s7, v1, vcc_lo
	v_add_co_u32 v5, vcc_lo, s18, v0
	v_add_co_ci_u32_e32 v6, vcc_lo, s19, v1, vcc_lo
	;; [unrolled: 2-line block ×3, first 2 shown]
	global_load_b32 v5, v[5:6], off
	global_load_b32 v6, v[3:4], off
	;; [unrolled: 1-line block ×3, first 2 shown]
	v_add_co_u32 v3, vcc_lo, s22, v0
	v_add_co_ci_u32_e32 v4, vcc_lo, s23, v1, vcc_lo
	v_add_co_u32 v0, vcc_lo, s1, v0
	v_add_co_ci_u32_e32 v1, vcc_lo, 0, v1, vcc_lo
	s_delay_alu instid0(VALU_DEP_1) | instskip(SKIP_1) | instid1(VALU_DEP_1)
	v_cmp_le_i64_e32 vcc_lo, s[8:9], v[0:1]
	v_cmp_lt_u64_e64 s0, 0xffff, v[0:1]
	s_or_b32 s0, vcc_lo, s0
	s_delay_alu instid0(SALU_CYCLE_1) | instskip(NEXT) | instid1(SALU_CYCLE_1)
	s_and_b32 s0, exec_lo, s0
	s_or_b32 s2, s0, s2
	s_waitcnt vmcnt(2)
	v_lshrrev_b32_e32 v10, 8, v5
	v_lshrrev_b32_e32 v13, 16, v5
	v_mul_lo_u16 v8, v2, v5
	s_waitcnt vmcnt(1)
	v_lshrrev_b32_e32 v9, 8, v6
	s_waitcnt vmcnt(0)
	v_lshrrev_b32_e32 v11, 8, v7
	v_lshrrev_b32_e32 v12, 16, v6
	;; [unrolled: 1-line block ×4, first 2 shown]
	v_mul_lo_u16 v10, v2, v10
	v_mul_lo_u16 v13, v2, v13
	v_lshrrev_b32_e32 v15, 24, v6
	v_lshrrev_b32_e32 v16, 24, v7
	v_mul_lo_u16 v5, v2, v5
	v_mad_u16 v9, v10, v11, v9
	v_mad_u16 v10, v13, v14, v12
	;; [unrolled: 1-line block ×3, first 2 shown]
	s_delay_alu instid0(VALU_DEP_4) | instskip(NEXT) | instid1(VALU_DEP_4)
	v_mad_u16 v5, v5, v16, v15
	v_and_b32_e32 v7, 0xff, v9
	s_delay_alu instid0(VALU_DEP_4) | instskip(NEXT) | instid1(VALU_DEP_3)
	v_and_b32_e32 v8, 0xff, v10
	v_lshlrev_b32_e32 v5, 24, v5
	s_delay_alu instid0(VALU_DEP_3) | instskip(NEXT) | instid1(VALU_DEP_3)
	v_perm_b32 v6, v7, v6, 0x6050400
	v_lshlrev_b32_e32 v7, 16, v8
	s_delay_alu instid0(VALU_DEP_1)
	v_or3_b32 v5, v6, v7, v5
	global_store_b32 v[3:4], v5, off
	s_and_not1_b32 exec_lo, exec_lo, s2
	s_cbranch_execnz .LBB88_32
.LBB88_33:
	s_nop 0
	s_sendmsg sendmsg(MSG_DEALLOC_VGPRS)
	s_endpgm
	.section	.rodata,"a",@progbits
	.p2align	6, 0x0
	.amdhsa_kernel _ZN2at6native12_GLOBAL__N_125multi_tensor_apply_kernelINS1_28TensorListScalarListMetadataIhLi4EEENS1_28PointwiseOpScalarListFunctorIhLi4ELi3ELi3EEEJSt10multipliesIhEEEEvT_T0_DpT1_
		.amdhsa_group_segment_fixed_size 0
		.amdhsa_private_segment_fixed_size 0
		.amdhsa_kernarg_size 3344
		.amdhsa_user_sgpr_count 15
		.amdhsa_user_sgpr_dispatch_ptr 0
		.amdhsa_user_sgpr_queue_ptr 0
		.amdhsa_user_sgpr_kernarg_segment_ptr 1
		.amdhsa_user_sgpr_dispatch_id 0
		.amdhsa_user_sgpr_private_segment_size 0
		.amdhsa_wavefront_size32 1
		.amdhsa_uses_dynamic_stack 0
		.amdhsa_enable_private_segment 0
		.amdhsa_system_sgpr_workgroup_id_x 1
		.amdhsa_system_sgpr_workgroup_id_y 0
		.amdhsa_system_sgpr_workgroup_id_z 0
		.amdhsa_system_sgpr_workgroup_info 0
		.amdhsa_system_vgpr_workitem_id 0
		.amdhsa_next_free_vgpr 54
		.amdhsa_next_free_sgpr 30
		.amdhsa_reserve_vcc 1
		.amdhsa_float_round_mode_32 0
		.amdhsa_float_round_mode_16_64 0
		.amdhsa_float_denorm_mode_32 3
		.amdhsa_float_denorm_mode_16_64 3
		.amdhsa_dx10_clamp 1
		.amdhsa_ieee_mode 1
		.amdhsa_fp16_overflow 0
		.amdhsa_workgroup_processor_mode 1
		.amdhsa_memory_ordered 1
		.amdhsa_forward_progress 0
		.amdhsa_shared_vgpr_count 0
		.amdhsa_exception_fp_ieee_invalid_op 0
		.amdhsa_exception_fp_denorm_src 0
		.amdhsa_exception_fp_ieee_div_zero 0
		.amdhsa_exception_fp_ieee_overflow 0
		.amdhsa_exception_fp_ieee_underflow 0
		.amdhsa_exception_fp_ieee_inexact 0
		.amdhsa_exception_int_div_zero 0
	.end_amdhsa_kernel
	.section	.text._ZN2at6native12_GLOBAL__N_125multi_tensor_apply_kernelINS1_28TensorListScalarListMetadataIhLi4EEENS1_28PointwiseOpScalarListFunctorIhLi4ELi3ELi3EEEJSt10multipliesIhEEEEvT_T0_DpT1_,"axG",@progbits,_ZN2at6native12_GLOBAL__N_125multi_tensor_apply_kernelINS1_28TensorListScalarListMetadataIhLi4EEENS1_28PointwiseOpScalarListFunctorIhLi4ELi3ELi3EEEJSt10multipliesIhEEEEvT_T0_DpT1_,comdat
.Lfunc_end88:
	.size	_ZN2at6native12_GLOBAL__N_125multi_tensor_apply_kernelINS1_28TensorListScalarListMetadataIhLi4EEENS1_28PointwiseOpScalarListFunctorIhLi4ELi3ELi3EEEJSt10multipliesIhEEEEvT_T0_DpT1_, .Lfunc_end88-_ZN2at6native12_GLOBAL__N_125multi_tensor_apply_kernelINS1_28TensorListScalarListMetadataIhLi4EEENS1_28PointwiseOpScalarListFunctorIhLi4ELi3ELi3EEEJSt10multipliesIhEEEEvT_T0_DpT1_
                                        ; -- End function
	.section	.AMDGPU.csdata,"",@progbits
; Kernel info:
; codeLenInByte = 2036
; NumSgprs: 32
; NumVgprs: 54
; ScratchSize: 0
; MemoryBound: 0
; FloatMode: 240
; IeeeMode: 1
; LDSByteSize: 0 bytes/workgroup (compile time only)
; SGPRBlocks: 3
; VGPRBlocks: 6
; NumSGPRsForWavesPerEU: 32
; NumVGPRsForWavesPerEU: 54
; Occupancy: 16
; WaveLimiterHint : 0
; COMPUTE_PGM_RSRC2:SCRATCH_EN: 0
; COMPUTE_PGM_RSRC2:USER_SGPR: 15
; COMPUTE_PGM_RSRC2:TRAP_HANDLER: 0
; COMPUTE_PGM_RSRC2:TGID_X_EN: 1
; COMPUTE_PGM_RSRC2:TGID_Y_EN: 0
; COMPUTE_PGM_RSRC2:TGID_Z_EN: 0
; COMPUTE_PGM_RSRC2:TIDIG_COMP_CNT: 0
	.section	.text._ZN2at6native12_GLOBAL__N_125multi_tensor_apply_kernelINS1_28TensorListScalarListMetadataIaLi4EEENS1_28PointwiseOpScalarListFunctorIaLi4ELi3ELi3EEEJSt10multipliesIaEEEEvT_T0_DpT1_,"axG",@progbits,_ZN2at6native12_GLOBAL__N_125multi_tensor_apply_kernelINS1_28TensorListScalarListMetadataIaLi4EEENS1_28PointwiseOpScalarListFunctorIaLi4ELi3ELi3EEEJSt10multipliesIaEEEEvT_T0_DpT1_,comdat
	.globl	_ZN2at6native12_GLOBAL__N_125multi_tensor_apply_kernelINS1_28TensorListScalarListMetadataIaLi4EEENS1_28PointwiseOpScalarListFunctorIaLi4ELi3ELi3EEEJSt10multipliesIaEEEEvT_T0_DpT1_ ; -- Begin function _ZN2at6native12_GLOBAL__N_125multi_tensor_apply_kernelINS1_28TensorListScalarListMetadataIaLi4EEENS1_28PointwiseOpScalarListFunctorIaLi4ELi3ELi3EEEJSt10multipliesIaEEEEvT_T0_DpT1_
	.p2align	8
	.type	_ZN2at6native12_GLOBAL__N_125multi_tensor_apply_kernelINS1_28TensorListScalarListMetadataIaLi4EEENS1_28PointwiseOpScalarListFunctorIaLi4ELi3ELi3EEEJSt10multipliesIaEEEEvT_T0_DpT1_,@function
_ZN2at6native12_GLOBAL__N_125multi_tensor_apply_kernelINS1_28TensorListScalarListMetadataIaLi4EEENS1_28PointwiseOpScalarListFunctorIaLi4ELi3ELi3EEEJSt10multipliesIaEEEEvT_T0_DpT1_: ; @_ZN2at6native12_GLOBAL__N_125multi_tensor_apply_kernelINS1_28TensorListScalarListMetadataIaLi4EEENS1_28PointwiseOpScalarListFunctorIaLi4ELi3ELi3EEEJSt10multipliesIaEEEEvT_T0_DpT1_
; %bb.0:
	v_mov_b32_e32 v1, s15
	s_mul_i32 s4, s15, 3
	s_mul_hi_u32 s5, s15, 3
	s_mov_b32 s25, 0
	global_load_u8 v3, v1, s[0:1] offset:1476
	s_waitcnt vmcnt(0)
	v_add_co_u32 v1, s2, s0, v3
	s_delay_alu instid0(VALU_DEP_1)
	v_add_co_ci_u32_e64 v2, null, s1, 0, s2
	s_add_u32 s2, s0, s15
	s_addc_u32 s3, s1, 0
	s_add_u32 s2, s2, s4
	global_load_u8 v2, v[1:2], off offset:1440
	s_addc_u32 s3, s3, s5
	v_readfirstlane_b32 s4, v3
	s_load_b32 s6, s[2:3], 0x704
	s_delay_alu instid0(VALU_DEP_1)
	s_lshl_b32 s7, s4, 3
	s_clause 0x4
	s_load_b64 s[14:15], s[0:1], s7 offset:0x0
	s_load_b64 s[12:13], s[0:1], s7 offset:0x120
	;; [unrolled: 1-line block ×5, first 2 shown]
	s_waitcnt lgkmcnt(0)
	s_ashr_i32 s7, s6, 31
	s_delay_alu instid0(SALU_CYCLE_1) | instskip(NEXT) | instid1(SALU_CYCLE_1)
	s_lshl_b64 s[16:17], s[6:7], 16
	s_add_u32 s6, s14, s16
	s_addc_u32 s7, s15, s17
	s_add_u32 s18, s12, s16
	s_addc_u32 s19, s13, s17
	s_and_b32 s24, s18, 3
	s_delay_alu instid0(SALU_CYCLE_1)
	s_cmp_eq_u64 s[24:25], 0
	s_cselect_b32 s8, -1, 0
	s_add_u32 s20, s4, s16
	s_addc_u32 s21, s5, s17
	s_add_u32 s22, s2, s16
	s_addc_u32 s23, s3, s17
	s_or_b32 s9, s22, s20
	s_delay_alu instid0(SALU_CYCLE_1) | instskip(NEXT) | instid1(SALU_CYCLE_1)
	s_and_b32 s9, s9, 3
	s_cmp_eq_u32 s9, 0
	s_cselect_b32 s9, -1, 0
	s_delay_alu instid0(SALU_CYCLE_1) | instskip(SKIP_3) | instid1(SALU_CYCLE_1)
	s_and_b32 s26, s9, s8
	s_sub_u32 s8, s10, s16
	s_subb_u32 s9, s11, s17
	s_or_b64 s[10:11], s[10:11], s[6:7]
	s_and_b32 s24, s10, 3
	s_delay_alu instid0(SALU_CYCLE_1) | instskip(SKIP_1) | instid1(SALU_CYCLE_1)
	s_cmp_eq_u64 s[24:25], 0
	s_cselect_b32 s10, -1, 0
	s_and_b32 s10, s26, s10
	s_delay_alu instid0(SALU_CYCLE_1)
	s_and_b32 vcc_lo, exec_lo, s10
	s_mov_b32 s10, -1
	s_cbranch_vccnz .LBB89_29
; %bb.1:
	v_cmp_lt_i64_e64 s10, s[8:9], 1
	s_delay_alu instid0(VALU_DEP_1)
	s_and_b32 vcc_lo, exec_lo, s10
	s_cbranch_vccnz .LBB89_28
; %bb.2:
	s_load_b32 s10, s[0:1], 0xc1c
	v_add_co_u32 v28, s11, s16, v0
	s_delay_alu instid0(VALU_DEP_1) | instskip(SKIP_1) | instid1(VALU_DEP_3)
	v_add_co_ci_u32_e64 v29, null, s17, 0, s11
	v_cmp_gt_u64_e64 s11, 0x10000, s[8:9]
	v_add_co_u32 v1, vcc_lo, s14, v28
	s_delay_alu instid0(VALU_DEP_3)
	v_add_co_ci_u32_e32 v3, vcc_lo, s15, v29, vcc_lo
	v_add_co_u32 v4, vcc_lo, s12, v28
	v_add_co_ci_u32_e32 v5, vcc_lo, s13, v29, vcc_lo
	v_add_co_u32 v6, vcc_lo, s4, v28
	;; [unrolled: 2-line block ×3, first 2 shown]
	s_waitcnt lgkmcnt(0)
	s_and_b32 s25, s10, 0xffff
	s_and_b32 s10, s11, exec_lo
	s_mul_i32 s27, s25, 3
	s_cselect_b32 s11, s9, 0
	s_cselect_b32 s10, s8, 0x10000
	s_lshl_b32 s26, s25, 1
	s_lshl_b32 s24, s25, 2
	s_add_u32 s28, s16, s27
	s_addc_u32 s29, s17, 0
	v_add_co_u32 v16, s28, s28, v0
	s_delay_alu instid0(VALU_DEP_1) | instskip(SKIP_1) | instid1(VALU_DEP_3)
	v_add_co_ci_u32_e64 v17, null, s29, 0, s28
	v_add_co_ci_u32_e32 v9, vcc_lo, s3, v29, vcc_lo
	v_add_co_u32 v10, vcc_lo, s14, v16
	s_delay_alu instid0(VALU_DEP_3)
	v_add_co_ci_u32_e32 v11, vcc_lo, s15, v17, vcc_lo
	v_add_co_u32 v12, vcc_lo, s12, v16
	v_add_co_ci_u32_e32 v13, vcc_lo, s13, v17, vcc_lo
	s_add_u32 s16, s16, s26
	v_add_co_u32 v14, vcc_lo, s4, v16
	s_addc_u32 s17, s17, 0
	v_add_co_u32 v26, s16, s16, v0
	v_add_co_ci_u32_e32 v15, vcc_lo, s5, v17, vcc_lo
	v_add_co_u32 v16, vcc_lo, s2, v16
	v_add_co_ci_u32_e64 v27, null, s17, 0, s16
	v_add_co_ci_u32_e32 v17, vcc_lo, s3, v17, vcc_lo
	v_add_co_u32 v20, vcc_lo, s14, v26
	s_delay_alu instid0(VALU_DEP_3)
	v_add_co_ci_u32_e32 v21, vcc_lo, s15, v27, vcc_lo
	v_add_co_u32 v22, vcc_lo, s12, v26
	v_add_co_ci_u32_e32 v23, vcc_lo, s13, v27, vcc_lo
	v_add_co_u32 v24, vcc_lo, s4, v26
	;; [unrolled: 2-line block ×4, first 2 shown]
	v_add_co_ci_u32_e32 v37, vcc_lo, 0, v29, vcc_lo
	v_add_co_u32 v18, s16, s27, v0
	s_delay_alu instid0(VALU_DEP_3) | instskip(NEXT) | instid1(VALU_DEP_3)
	v_add_co_u32 v30, vcc_lo, s14, v36
	v_add_co_ci_u32_e32 v31, vcc_lo, s15, v37, vcc_lo
	v_add_co_u32 v32, vcc_lo, s12, v36
	v_add_co_ci_u32_e32 v33, vcc_lo, s13, v37, vcc_lo
	;; [unrolled: 2-line block ×3, first 2 shown]
	v_add_co_ci_u32_e64 v19, null, 0, 0, s16
	v_add_co_u32 v28, s16, s26, v0
	v_add_co_u32 v36, vcc_lo, s2, v36
	v_add_co_u32 v38, s2, v0, s25
	v_add_co_ci_u32_e64 v29, null, 0, 0, s16
	v_add_co_ci_u32_e32 v37, vcc_lo, s3, v37, vcc_lo
	v_add_co_ci_u32_e64 v39, null, 0, 0, s2
	s_mov_b64 s[12:13], 0
	s_branch .LBB89_4
.LBB89_3:                               ;   in Loop: Header=BB89_4 Depth=1
	s_or_b32 exec_lo, exec_lo, s2
	s_add_u32 s12, s12, s24
	s_addc_u32 s13, s13, 0
	s_delay_alu instid0(SALU_CYCLE_1) | instskip(SKIP_1) | instid1(VALU_DEP_1)
	v_cmp_lt_i64_e64 s2, s[12:13], s[8:9]
	v_cmp_gt_u64_e64 s3, 0x10000, s[12:13]
	s_and_b32 s2, s2, s3
	s_delay_alu instid0(SALU_CYCLE_1)
	s_and_b32 vcc_lo, exec_lo, s2
	s_cbranch_vccz .LBB89_28
.LBB89_4:                               ; =>This Inner Loop Header: Depth=1
	s_waitcnt vmcnt(1)
	v_add_co_u32 v40, s2, v0, s12
	s_waitcnt vmcnt(0)
	v_add_co_ci_u32_e64 v41, null, 0, s13, s2
	s_delay_alu instid0(VALU_DEP_1)
	v_cmp_gt_u64_e32 vcc_lo, s[10:11], v[40:41]
	v_dual_mov_b32 v40, 0 :: v_dual_mov_b32 v41, 0
	s_and_saveexec_b32 s3, vcc_lo
	s_cbranch_execz .LBB89_6
; %bb.5:                                ;   in Loop: Header=BB89_4 Depth=1
	v_add_co_u32 v40, s2, v1, s12
	s_delay_alu instid0(VALU_DEP_1) | instskip(SKIP_1) | instid1(VALU_DEP_1)
	v_add_co_ci_u32_e64 v41, s2, s13, v3, s2
	v_add_co_u32 v42, s2, v4, s12
	v_add_co_ci_u32_e64 v43, s2, s13, v5, s2
	global_load_u8 v40, v[40:41], off
	global_load_u8 v41, v[42:43], off
.LBB89_6:                               ;   in Loop: Header=BB89_4 Depth=1
	s_or_b32 exec_lo, exec_lo, s3
	v_dual_mov_b32 v42, 0 :: v_dual_mov_b32 v43, 0
	s_and_saveexec_b32 s3, vcc_lo
	s_cbranch_execz .LBB89_8
; %bb.7:                                ;   in Loop: Header=BB89_4 Depth=1
	v_add_co_u32 v43, s2, v6, s12
	s_delay_alu instid0(VALU_DEP_1)
	v_add_co_ci_u32_e64 v44, s2, s13, v7, s2
	global_load_u8 v43, v[43:44], off
.LBB89_8:                               ;   in Loop: Header=BB89_4 Depth=1
	s_or_b32 exec_lo, exec_lo, s3
	v_add_co_u32 v44, s2, v38, s12
	s_delay_alu instid0(VALU_DEP_1) | instskip(NEXT) | instid1(VALU_DEP_1)
	v_add_co_ci_u32_e64 v45, s2, s13, v39, s2
	v_cmp_gt_u64_e64 s2, s[10:11], v[44:45]
	v_mov_b32_e32 v44, 0
	s_delay_alu instid0(VALU_DEP_2)
	s_and_saveexec_b32 s4, s2
	s_cbranch_execz .LBB89_10
; %bb.9:                                ;   in Loop: Header=BB89_4 Depth=1
	v_add_co_u32 v44, s3, v30, s12
	s_delay_alu instid0(VALU_DEP_1) | instskip(SKIP_1) | instid1(VALU_DEP_1)
	v_add_co_ci_u32_e64 v45, s3, s13, v31, s3
	v_add_co_u32 v46, s3, v32, s12
	v_add_co_ci_u32_e64 v47, s3, s13, v33, s3
	global_load_u8 v42, v[44:45], off
	global_load_u8 v44, v[46:47], off
.LBB89_10:                              ;   in Loop: Header=BB89_4 Depth=1
	s_or_b32 exec_lo, exec_lo, s4
	v_dual_mov_b32 v45, 0 :: v_dual_mov_b32 v46, 0
	s_and_saveexec_b32 s4, s2
	s_cbranch_execz .LBB89_12
; %bb.11:                               ;   in Loop: Header=BB89_4 Depth=1
	v_add_co_u32 v46, s3, v34, s12
	s_delay_alu instid0(VALU_DEP_1)
	v_add_co_ci_u32_e64 v47, s3, s13, v35, s3
	global_load_u8 v46, v[46:47], off
.LBB89_12:                              ;   in Loop: Header=BB89_4 Depth=1
	s_or_b32 exec_lo, exec_lo, s4
	v_add_co_u32 v47, s3, v28, s12
	s_delay_alu instid0(VALU_DEP_1) | instskip(NEXT) | instid1(VALU_DEP_1)
	v_add_co_ci_u32_e64 v48, s3, s13, v29, s3
	v_cmp_gt_u64_e64 s3, s[10:11], v[47:48]
	v_mov_b32_e32 v47, 0
	s_delay_alu instid0(VALU_DEP_2)
	s_and_saveexec_b32 s5, s3
	s_cbranch_execz .LBB89_14
; %bb.13:                               ;   in Loop: Header=BB89_4 Depth=1
	v_add_co_u32 v47, s4, v20, s12
	s_delay_alu instid0(VALU_DEP_1) | instskip(SKIP_1) | instid1(VALU_DEP_1)
	v_add_co_ci_u32_e64 v48, s4, s13, v21, s4
	v_add_co_u32 v49, s4, v22, s12
	v_add_co_ci_u32_e64 v50, s4, s13, v23, s4
	global_load_u8 v45, v[47:48], off
	global_load_u8 v47, v[49:50], off
.LBB89_14:                              ;   in Loop: Header=BB89_4 Depth=1
	s_or_b32 exec_lo, exec_lo, s5
	v_dual_mov_b32 v48, 0 :: v_dual_mov_b32 v49, 0
	s_and_saveexec_b32 s5, s3
	s_cbranch_execz .LBB89_16
; %bb.15:                               ;   in Loop: Header=BB89_4 Depth=1
	v_add_co_u32 v49, s4, v24, s12
	s_delay_alu instid0(VALU_DEP_1)
	v_add_co_ci_u32_e64 v50, s4, s13, v25, s4
	global_load_u8 v49, v[49:50], off
.LBB89_16:                              ;   in Loop: Header=BB89_4 Depth=1
	s_or_b32 exec_lo, exec_lo, s5
	v_add_co_u32 v50, s4, v18, s12
	s_delay_alu instid0(VALU_DEP_1) | instskip(NEXT) | instid1(VALU_DEP_1)
	v_add_co_ci_u32_e64 v51, s4, s13, v19, s4
	v_cmp_gt_u64_e64 s4, s[10:11], v[50:51]
	v_mov_b32_e32 v50, 0
	s_delay_alu instid0(VALU_DEP_2)
	s_and_saveexec_b32 s14, s4
	s_cbranch_execnz .LBB89_22
; %bb.17:                               ;   in Loop: Header=BB89_4 Depth=1
	s_or_b32 exec_lo, exec_lo, s14
	v_mov_b32_e32 v51, 0
	s_and_saveexec_b32 s14, s4
	s_cbranch_execnz .LBB89_23
.LBB89_18:                              ;   in Loop: Header=BB89_4 Depth=1
	s_or_b32 exec_lo, exec_lo, s14
	s_and_saveexec_b32 s5, vcc_lo
	s_cbranch_execnz .LBB89_24
.LBB89_19:                              ;   in Loop: Header=BB89_4 Depth=1
	s_or_b32 exec_lo, exec_lo, s5
	s_and_saveexec_b32 s5, s2
	s_cbranch_execnz .LBB89_25
.LBB89_20:                              ;   in Loop: Header=BB89_4 Depth=1
	s_or_b32 exec_lo, exec_lo, s5
	s_and_saveexec_b32 s2, s3
	s_cbranch_execnz .LBB89_26
.LBB89_21:                              ;   in Loop: Header=BB89_4 Depth=1
	s_or_b32 exec_lo, exec_lo, s2
	s_and_saveexec_b32 s2, s4
	s_cbranch_execz .LBB89_3
	s_branch .LBB89_27
.LBB89_22:                              ;   in Loop: Header=BB89_4 Depth=1
	v_add_co_u32 v50, s5, v10, s12
	s_delay_alu instid0(VALU_DEP_1) | instskip(SKIP_1) | instid1(VALU_DEP_1)
	v_add_co_ci_u32_e64 v51, s5, s13, v11, s5
	v_add_co_u32 v52, s5, v12, s12
	v_add_co_ci_u32_e64 v53, s5, s13, v13, s5
	global_load_u8 v48, v[50:51], off
	global_load_u8 v50, v[52:53], off
	s_or_b32 exec_lo, exec_lo, s14
	v_mov_b32_e32 v51, 0
	s_and_saveexec_b32 s14, s4
	s_cbranch_execz .LBB89_18
.LBB89_23:                              ;   in Loop: Header=BB89_4 Depth=1
	v_add_co_u32 v51, s5, v14, s12
	s_delay_alu instid0(VALU_DEP_1)
	v_add_co_ci_u32_e64 v52, s5, s13, v15, s5
	global_load_u8 v51, v[51:52], off
	s_or_b32 exec_lo, exec_lo, s14
	s_and_saveexec_b32 s5, vcc_lo
	s_cbranch_execz .LBB89_19
.LBB89_24:                              ;   in Loop: Header=BB89_4 Depth=1
	s_waitcnt vmcnt(0)
	v_mul_lo_u16 v41, v41, v2
	s_delay_alu instid0(VALU_DEP_1)
	v_mad_u16 v43, v41, v43, v40
	v_add_co_u32 v40, vcc_lo, v8, s12
	v_add_co_ci_u32_e32 v41, vcc_lo, s13, v9, vcc_lo
	global_store_b8 v[40:41], v43, off
	s_or_b32 exec_lo, exec_lo, s5
	s_and_saveexec_b32 s5, s2
	s_cbranch_execz .LBB89_20
.LBB89_25:                              ;   in Loop: Header=BB89_4 Depth=1
	s_waitcnt vmcnt(0)
	v_mul_lo_u16 v40, v44, v2
	s_delay_alu instid0(VALU_DEP_1)
	v_mad_u16 v42, v40, v46, v42
	v_add_co_u32 v40, vcc_lo, v36, s12
	v_add_co_ci_u32_e32 v41, vcc_lo, s13, v37, vcc_lo
	global_store_b8 v[40:41], v42, off
	s_or_b32 exec_lo, exec_lo, s5
	s_and_saveexec_b32 s2, s3
	s_cbranch_execz .LBB89_21
.LBB89_26:                              ;   in Loop: Header=BB89_4 Depth=1
	s_waitcnt vmcnt(0)
	v_mul_lo_u16 v40, v47, v2
	s_delay_alu instid0(VALU_DEP_1)
	v_mad_u16 v42, v40, v49, v45
	v_add_co_u32 v40, vcc_lo, v26, s12
	v_add_co_ci_u32_e32 v41, vcc_lo, s13, v27, vcc_lo
	global_store_b8 v[40:41], v42, off
	s_or_b32 exec_lo, exec_lo, s2
	s_and_saveexec_b32 s2, s4
	s_cbranch_execz .LBB89_3
.LBB89_27:                              ;   in Loop: Header=BB89_4 Depth=1
	s_waitcnt vmcnt(0)
	v_mul_lo_u16 v40, v50, v2
	s_delay_alu instid0(VALU_DEP_1)
	v_mad_u16 v42, v40, v51, v48
	v_add_co_u32 v40, vcc_lo, v16, s12
	v_add_co_ci_u32_e32 v41, vcc_lo, s13, v17, vcc_lo
	global_store_b8 v[40:41], v42, off
	s_branch .LBB89_3
.LBB89_28:
	s_mov_b32 s10, 0
.LBB89_29:
	s_delay_alu instid0(SALU_CYCLE_1)
	s_and_not1_b32 vcc_lo, exec_lo, s10
	s_cbranch_vccnz .LBB89_33
; %bb.30:
	v_dual_mov_b32 v1, 0 :: v_dual_lshlrev_b32 v0, 2, v0
	s_mov_b32 s2, exec_lo
	s_delay_alu instid0(VALU_DEP_1)
	v_cmpx_gt_i64_e64 s[8:9], v[0:1]
	s_cbranch_execz .LBB89_33
; %bb.31:
	s_load_b32 s0, s[0:1], 0xc1c
	s_mov_b32 s2, 0
	s_waitcnt lgkmcnt(0)
	s_and_b32 s0, s0, 0xffff
	s_delay_alu instid0(SALU_CYCLE_1)
	s_lshl_b32 s1, s0, 2
.LBB89_32:                              ; =>This Inner Loop Header: Depth=1
	v_add_co_u32 v3, vcc_lo, s6, v0
	v_add_co_ci_u32_e32 v4, vcc_lo, s7, v1, vcc_lo
	v_add_co_u32 v5, vcc_lo, s18, v0
	v_add_co_ci_u32_e32 v6, vcc_lo, s19, v1, vcc_lo
	;; [unrolled: 2-line block ×3, first 2 shown]
	global_load_b32 v5, v[5:6], off
	global_load_b32 v6, v[3:4], off
	global_load_b32 v7, v[7:8], off
	v_add_co_u32 v3, vcc_lo, s22, v0
	v_add_co_ci_u32_e32 v4, vcc_lo, s23, v1, vcc_lo
	v_add_co_u32 v0, vcc_lo, s1, v0
	v_add_co_ci_u32_e32 v1, vcc_lo, 0, v1, vcc_lo
	s_delay_alu instid0(VALU_DEP_1) | instskip(SKIP_1) | instid1(VALU_DEP_1)
	v_cmp_le_i64_e32 vcc_lo, s[8:9], v[0:1]
	v_cmp_lt_u64_e64 s0, 0xffff, v[0:1]
	s_or_b32 s0, vcc_lo, s0
	s_delay_alu instid0(SALU_CYCLE_1) | instskip(NEXT) | instid1(SALU_CYCLE_1)
	s_and_b32 s0, exec_lo, s0
	s_or_b32 s2, s0, s2
	s_waitcnt vmcnt(2)
	v_lshrrev_b32_e32 v10, 8, v5
	v_lshrrev_b32_e32 v13, 16, v5
	v_mul_lo_u16 v8, v2, v5
	s_waitcnt vmcnt(1)
	v_lshrrev_b32_e32 v9, 8, v6
	s_waitcnt vmcnt(0)
	v_lshrrev_b32_e32 v11, 8, v7
	v_lshrrev_b32_e32 v12, 16, v6
	v_lshrrev_b32_e32 v14, 16, v7
	v_lshrrev_b32_e32 v5, 24, v5
	v_mul_lo_u16 v10, v2, v10
	v_mul_lo_u16 v13, v2, v13
	v_lshrrev_b32_e32 v15, 24, v6
	v_lshrrev_b32_e32 v16, 24, v7
	v_mul_lo_u16 v5, v2, v5
	v_mad_u16 v9, v10, v11, v9
	v_mad_u16 v10, v13, v14, v12
	;; [unrolled: 1-line block ×3, first 2 shown]
	s_delay_alu instid0(VALU_DEP_4) | instskip(NEXT) | instid1(VALU_DEP_4)
	v_mad_u16 v5, v5, v16, v15
	v_and_b32_e32 v7, 0xff, v9
	s_delay_alu instid0(VALU_DEP_4) | instskip(NEXT) | instid1(VALU_DEP_3)
	v_and_b32_e32 v8, 0xff, v10
	v_lshlrev_b32_e32 v5, 24, v5
	s_delay_alu instid0(VALU_DEP_3) | instskip(NEXT) | instid1(VALU_DEP_3)
	v_perm_b32 v6, v7, v6, 0x6050400
	v_lshlrev_b32_e32 v7, 16, v8
	s_delay_alu instid0(VALU_DEP_1)
	v_or3_b32 v5, v6, v7, v5
	global_store_b32 v[3:4], v5, off
	s_and_not1_b32 exec_lo, exec_lo, s2
	s_cbranch_execnz .LBB89_32
.LBB89_33:
	s_nop 0
	s_sendmsg sendmsg(MSG_DEALLOC_VGPRS)
	s_endpgm
	.section	.rodata,"a",@progbits
	.p2align	6, 0x0
	.amdhsa_kernel _ZN2at6native12_GLOBAL__N_125multi_tensor_apply_kernelINS1_28TensorListScalarListMetadataIaLi4EEENS1_28PointwiseOpScalarListFunctorIaLi4ELi3ELi3EEEJSt10multipliesIaEEEEvT_T0_DpT1_
		.amdhsa_group_segment_fixed_size 0
		.amdhsa_private_segment_fixed_size 0
		.amdhsa_kernarg_size 3344
		.amdhsa_user_sgpr_count 15
		.amdhsa_user_sgpr_dispatch_ptr 0
		.amdhsa_user_sgpr_queue_ptr 0
		.amdhsa_user_sgpr_kernarg_segment_ptr 1
		.amdhsa_user_sgpr_dispatch_id 0
		.amdhsa_user_sgpr_private_segment_size 0
		.amdhsa_wavefront_size32 1
		.amdhsa_uses_dynamic_stack 0
		.amdhsa_enable_private_segment 0
		.amdhsa_system_sgpr_workgroup_id_x 1
		.amdhsa_system_sgpr_workgroup_id_y 0
		.amdhsa_system_sgpr_workgroup_id_z 0
		.amdhsa_system_sgpr_workgroup_info 0
		.amdhsa_system_vgpr_workitem_id 0
		.amdhsa_next_free_vgpr 54
		.amdhsa_next_free_sgpr 30
		.amdhsa_reserve_vcc 1
		.amdhsa_float_round_mode_32 0
		.amdhsa_float_round_mode_16_64 0
		.amdhsa_float_denorm_mode_32 3
		.amdhsa_float_denorm_mode_16_64 3
		.amdhsa_dx10_clamp 1
		.amdhsa_ieee_mode 1
		.amdhsa_fp16_overflow 0
		.amdhsa_workgroup_processor_mode 1
		.amdhsa_memory_ordered 1
		.amdhsa_forward_progress 0
		.amdhsa_shared_vgpr_count 0
		.amdhsa_exception_fp_ieee_invalid_op 0
		.amdhsa_exception_fp_denorm_src 0
		.amdhsa_exception_fp_ieee_div_zero 0
		.amdhsa_exception_fp_ieee_overflow 0
		.amdhsa_exception_fp_ieee_underflow 0
		.amdhsa_exception_fp_ieee_inexact 0
		.amdhsa_exception_int_div_zero 0
	.end_amdhsa_kernel
	.section	.text._ZN2at6native12_GLOBAL__N_125multi_tensor_apply_kernelINS1_28TensorListScalarListMetadataIaLi4EEENS1_28PointwiseOpScalarListFunctorIaLi4ELi3ELi3EEEJSt10multipliesIaEEEEvT_T0_DpT1_,"axG",@progbits,_ZN2at6native12_GLOBAL__N_125multi_tensor_apply_kernelINS1_28TensorListScalarListMetadataIaLi4EEENS1_28PointwiseOpScalarListFunctorIaLi4ELi3ELi3EEEJSt10multipliesIaEEEEvT_T0_DpT1_,comdat
.Lfunc_end89:
	.size	_ZN2at6native12_GLOBAL__N_125multi_tensor_apply_kernelINS1_28TensorListScalarListMetadataIaLi4EEENS1_28PointwiseOpScalarListFunctorIaLi4ELi3ELi3EEEJSt10multipliesIaEEEEvT_T0_DpT1_, .Lfunc_end89-_ZN2at6native12_GLOBAL__N_125multi_tensor_apply_kernelINS1_28TensorListScalarListMetadataIaLi4EEENS1_28PointwiseOpScalarListFunctorIaLi4ELi3ELi3EEEJSt10multipliesIaEEEEvT_T0_DpT1_
                                        ; -- End function
	.section	.AMDGPU.csdata,"",@progbits
; Kernel info:
; codeLenInByte = 2036
; NumSgprs: 32
; NumVgprs: 54
; ScratchSize: 0
; MemoryBound: 0
; FloatMode: 240
; IeeeMode: 1
; LDSByteSize: 0 bytes/workgroup (compile time only)
; SGPRBlocks: 3
; VGPRBlocks: 6
; NumSGPRsForWavesPerEU: 32
; NumVGPRsForWavesPerEU: 54
; Occupancy: 16
; WaveLimiterHint : 0
; COMPUTE_PGM_RSRC2:SCRATCH_EN: 0
; COMPUTE_PGM_RSRC2:USER_SGPR: 15
; COMPUTE_PGM_RSRC2:TRAP_HANDLER: 0
; COMPUTE_PGM_RSRC2:TGID_X_EN: 1
; COMPUTE_PGM_RSRC2:TGID_Y_EN: 0
; COMPUTE_PGM_RSRC2:TGID_Z_EN: 0
; COMPUTE_PGM_RSRC2:TIDIG_COMP_CNT: 0
	.section	.text._ZN2at6native12_GLOBAL__N_125multi_tensor_apply_kernelINS1_28TensorListScalarListMetadataIiLi4EEENS1_28PointwiseOpScalarListFunctorIiLi4ELi3ELi3EEEJSt10multipliesIiEEEEvT_T0_DpT1_,"axG",@progbits,_ZN2at6native12_GLOBAL__N_125multi_tensor_apply_kernelINS1_28TensorListScalarListMetadataIiLi4EEENS1_28PointwiseOpScalarListFunctorIiLi4ELi3ELi3EEEJSt10multipliesIiEEEEvT_T0_DpT1_,comdat
	.globl	_ZN2at6native12_GLOBAL__N_125multi_tensor_apply_kernelINS1_28TensorListScalarListMetadataIiLi4EEENS1_28PointwiseOpScalarListFunctorIiLi4ELi3ELi3EEEJSt10multipliesIiEEEEvT_T0_DpT1_ ; -- Begin function _ZN2at6native12_GLOBAL__N_125multi_tensor_apply_kernelINS1_28TensorListScalarListMetadataIiLi4EEENS1_28PointwiseOpScalarListFunctorIiLi4ELi3ELi3EEEJSt10multipliesIiEEEEvT_T0_DpT1_
	.p2align	8
	.type	_ZN2at6native12_GLOBAL__N_125multi_tensor_apply_kernelINS1_28TensorListScalarListMetadataIiLi4EEENS1_28PointwiseOpScalarListFunctorIiLi4ELi3ELi3EEEJSt10multipliesIiEEEEvT_T0_DpT1_,@function
_ZN2at6native12_GLOBAL__N_125multi_tensor_apply_kernelINS1_28TensorListScalarListMetadataIiLi4EEENS1_28PointwiseOpScalarListFunctorIiLi4ELi3ELi3EEEJSt10multipliesIiEEEEvT_T0_DpT1_: ; @_ZN2at6native12_GLOBAL__N_125multi_tensor_apply_kernelINS1_28TensorListScalarListMetadataIiLi4EEENS1_28PointwiseOpScalarListFunctorIiLi4ELi3ELi3EEEJSt10multipliesIiEEEEvT_T0_DpT1_
; %bb.0:
	v_mov_b32_e32 v1, s15
	s_add_u32 s2, s0, s15
	s_mul_i32 s3, s15, 3
	s_mul_hi_u32 s4, s15, 3
	s_addc_u32 s5, s1, 0
	global_load_u8 v1, v1, s[0:1] offset:1584
	s_add_u32 s2, s2, s3
	s_addc_u32 s3, s5, s4
	s_mov_b32 s11, 0
	s_load_b32 s6, s[2:3], 0x770
	s_waitcnt lgkmcnt(0)
	s_ashr_i32 s7, s6, 31
	s_waitcnt vmcnt(0)
	v_readfirstlane_b32 s2, v1
	v_lshlrev_b32_e32 v1, 2, v1
	s_delay_alu instid0(VALU_DEP_2)
	s_lshl_b32 s8, s2, 3
	s_clause 0x1
	s_load_b64 s[2:3], s[0:1], s8 offset:0x0
	s_load_b64 s[4:5], s[0:1], s8 offset:0x120
	s_add_u32 s10, s0, s8
	s_addc_u32 s16, s1, 0
	v_sub_co_u32 v1, s10, s10, v1
	s_delay_alu instid0(VALU_DEP_1)
	v_sub_co_ci_u32_e64 v2, null, s16, 0, s10
	s_clause 0x2
	s_load_b64 s[26:27], s[0:1], s8 offset:0x480
	s_load_b64 s[14:15], s[0:1], s8 offset:0x240
	;; [unrolled: 1-line block ×3, first 2 shown]
	v_readfirstlane_b32 s24, v1
	v_readfirstlane_b32 s25, v2
	s_load_b32 s24, s[24:25], 0x5a0
	s_lshl_b64 s[8:9], s[6:7], 18
	s_waitcnt lgkmcnt(0)
	s_add_u32 s16, s2, s8
	s_addc_u32 s17, s3, s9
	s_and_b32 s28, s16, 15
	s_add_u32 s18, s4, s8
	s_addc_u32 s19, s5, s9
	s_and_b32 s10, s18, 15
	s_delay_alu instid0(SALU_CYCLE_1)
	s_cmp_eq_u64 s[10:11], 0
	s_cselect_b32 s10, -1, 0
	s_add_u32 s20, s14, s8
	s_addc_u32 s21, s15, s9
	s_add_u32 s22, s12, s8
	s_addc_u32 s23, s13, s9
	s_or_b32 s29, s22, s20
	s_delay_alu instid0(SALU_CYCLE_1) | instskip(NEXT) | instid1(SALU_CYCLE_1)
	s_and_b32 s29, s29, 15
	s_cmp_eq_u32 s29, 0
	s_cselect_b32 s25, -1, 0
	s_lshl_b64 s[6:7], s[6:7], 16
	s_and_b32 s25, s25, s10
	s_sub_u32 s6, s26, s6
	s_subb_u32 s7, s27, s7
	s_and_b32 s10, s26, 3
	s_delay_alu instid0(SALU_CYCLE_1) | instskip(NEXT) | instid1(SALU_CYCLE_1)
	s_or_b32 s10, s28, s10
	s_cmp_eq_u64 s[10:11], 0
	s_cselect_b32 s10, -1, 0
	s_delay_alu instid0(SALU_CYCLE_1) | instskip(NEXT) | instid1(SALU_CYCLE_1)
	s_and_b32 s10, s25, s10
	s_and_b32 vcc_lo, exec_lo, s10
	s_mov_b32 s10, -1
	s_cbranch_vccnz .LBB90_29
; %bb.1:
	v_cmp_lt_i64_e64 s10, s[6:7], 1
	s_delay_alu instid0(VALU_DEP_1)
	s_and_b32 vcc_lo, exec_lo, s10
	s_cbranch_vccnz .LBB90_28
; %bb.2:
	s_load_b32 s10, s[0:1], 0xc84
	v_dual_mov_b32 v2, 0 :: v_dual_lshlrev_b32 v1, 2, v0
	v_cmp_gt_u64_e64 s11, 0x10000, s[6:7]
	s_delay_alu instid0(VALU_DEP_2) | instskip(NEXT) | instid1(VALU_DEP_1)
	v_add_co_u32 v5, s25, s2, v1
	v_add_co_ci_u32_e64 v6, null, s3, 0, s25
	v_add_co_u32 v7, s25, s4, v1
	s_delay_alu instid0(VALU_DEP_1) | instskip(SKIP_1) | instid1(VALU_DEP_1)
	v_add_co_ci_u32_e64 v8, null, s5, 0, s25
	v_add_co_u32 v9, s25, s14, v1
	v_add_co_ci_u32_e64 v10, null, s15, 0, s25
	s_waitcnt lgkmcnt(0)
	s_and_b32 s25, s10, 0xffff
	v_add_co_u32 v11, s10, s12, v1
	v_mad_u64_u32 v[3:4], null, s25, 12, v[1:2]
	v_add_co_ci_u32_e64 v12, null, s13, 0, s10
	s_and_b32 s10, s11, exec_lo
	s_cselect_b32 s11, s7, 0
	s_cselect_b32 s10, s6, 0x10000
	s_lshl_b32 s28, s25, 3
	s_delay_alu instid0(VALU_DEP_2) | instskip(NEXT) | instid1(VALU_DEP_3)
	v_add_co_u32 v13, vcc_lo, s2, v3
	v_add_co_ci_u32_e32 v14, vcc_lo, s3, v4, vcc_lo
	v_add_co_u32 v15, vcc_lo, s4, v3
	v_add_co_ci_u32_e32 v16, vcc_lo, s5, v4, vcc_lo
	v_add_co_u32 v17, vcc_lo, s14, v3
	v_add_co_u32 v1, s28, s28, v1
	v_add_co_ci_u32_e32 v18, vcc_lo, s15, v4, vcc_lo
	v_add_co_u32 v19, vcc_lo, s12, v3
	v_add_co_ci_u32_e64 v2, null, 0, 0, s28
	v_add_co_ci_u32_e32 v20, vcc_lo, s13, v4, vcc_lo
	s_mul_i32 s27, s25, 3
	v_add_co_u32 v23, vcc_lo, s2, v1
	v_add_co_u32 v21, s27, s27, v0
	v_add_co_ci_u32_e32 v24, vcc_lo, s3, v2, vcc_lo
	v_add_co_u32 v25, vcc_lo, s4, v1
	v_add_co_ci_u32_e64 v22, null, 0, 0, s27
	v_add_co_u32 v29, s27, v0, s25
	v_add_co_ci_u32_e32 v26, vcc_lo, s5, v2, vcc_lo
	v_add_co_u32 v27, vcc_lo, s14, v1
	v_add_co_ci_u32_e32 v28, vcc_lo, s15, v2, vcc_lo
	v_add_co_u32 v30, vcc_lo, s12, v1
	v_lshlrev_b32_e32 v1, 2, v29
	s_lshl_b32 s26, s25, 1
	v_add_co_ci_u32_e32 v31, vcc_lo, s13, v2, vcc_lo
	v_add_co_u32 v33, s26, s26, v0
	s_delay_alu instid0(VALU_DEP_3) | instskip(NEXT) | instid1(VALU_DEP_1)
	v_add_co_u32 v35, s2, s2, v1
	v_add_co_ci_u32_e64 v36, null, s3, 0, s2
	v_add_co_u32 v37, s2, s4, v1
	s_delay_alu instid0(VALU_DEP_1) | instskip(SKIP_1) | instid1(VALU_DEP_1)
	v_add_co_ci_u32_e64 v38, null, s5, 0, s2
	v_add_co_u32 v39, s2, s14, v1
	v_add_co_ci_u32_e64 v40, null, s15, 0, s2
	v_add_co_u32 v41, s2, s12, v1
	v_add_co_ci_u32_e64 v32, null, 0, 0, s27
	v_add_co_ci_u32_e64 v34, null, 0, 0, s26
	;; [unrolled: 1-line block ×3, first 2 shown]
	s_lshl_b32 s14, s25, 2
	s_lshl_b32 s15, s25, 4
	s_mov_b64 s[12:13], 0
	s_branch .LBB90_4
.LBB90_3:                               ;   in Loop: Header=BB90_4 Depth=1
	s_or_b32 exec_lo, exec_lo, s2
	v_add_co_u32 v5, vcc_lo, v5, s15
	v_add_co_ci_u32_e32 v6, vcc_lo, 0, v6, vcc_lo
	v_add_co_u32 v7, vcc_lo, v7, s15
	v_add_co_ci_u32_e32 v8, vcc_lo, 0, v8, vcc_lo
	;; [unrolled: 2-line block ×13, first 2 shown]
	s_add_u32 s12, s12, s14
	v_add_co_u32 v37, vcc_lo, v37, s15
	s_addc_u32 s13, s13, 0
	v_add_co_ci_u32_e32 v38, vcc_lo, 0, v38, vcc_lo
	v_cmp_lt_i64_e64 s2, s[12:13], s[6:7]
	v_cmp_gt_u64_e64 s3, 0x10000, s[12:13]
	v_add_co_u32 v39, vcc_lo, v39, s15
	v_add_co_ci_u32_e32 v40, vcc_lo, 0, v40, vcc_lo
	v_add_co_u32 v41, vcc_lo, v41, s15
	v_add_co_ci_u32_e32 v42, vcc_lo, 0, v42, vcc_lo
	s_and_b32 s2, s2, s3
	s_delay_alu instid0(SALU_CYCLE_1)
	s_and_b32 vcc_lo, exec_lo, s2
	s_cbranch_vccz .LBB90_28
.LBB90_4:                               ; =>This Inner Loop Header: Depth=1
	s_waitcnt vmcnt(1)
	v_add_co_u32 v1, s2, v0, s12
	s_delay_alu instid0(VALU_DEP_1) | instskip(SKIP_2) | instid1(VALU_DEP_2)
	v_add_co_ci_u32_e64 v2, null, 0, s13, s2
	s_waitcnt vmcnt(0)
	v_mov_b32_e32 v43, 0
	v_cmp_gt_u64_e32 vcc_lo, s[10:11], v[1:2]
	v_mov_b32_e32 v1, 0
	s_and_saveexec_b32 s3, vcc_lo
	s_cbranch_execz .LBB90_6
; %bb.5:                                ;   in Loop: Header=BB90_4 Depth=1
	v_add_co_u32 v1, s2, v5, s8
	s_delay_alu instid0(VALU_DEP_1) | instskip(SKIP_1) | instid1(VALU_DEP_1)
	v_add_co_ci_u32_e64 v2, s2, s9, v6, s2
	v_add_co_u32 v3, s2, v7, s8
	v_add_co_ci_u32_e64 v4, s2, s9, v8, s2
	global_load_b32 v1, v[1:2], off
	global_load_b32 v43, v[3:4], off
.LBB90_6:                               ;   in Loop: Header=BB90_4 Depth=1
	s_or_b32 exec_lo, exec_lo, s3
	v_mov_b32_e32 v2, 0
	v_mov_b32_e32 v44, 0
	s_and_saveexec_b32 s3, vcc_lo
	s_cbranch_execz .LBB90_8
; %bb.7:                                ;   in Loop: Header=BB90_4 Depth=1
	v_add_co_u32 v3, s2, v9, s8
	s_delay_alu instid0(VALU_DEP_1)
	v_add_co_ci_u32_e64 v4, s2, s9, v10, s2
	global_load_b32 v44, v[3:4], off
.LBB90_8:                               ;   in Loop: Header=BB90_4 Depth=1
	s_or_b32 exec_lo, exec_lo, s3
	v_add_co_u32 v3, s2, v29, s12
	s_delay_alu instid0(VALU_DEP_1) | instskip(SKIP_1) | instid1(VALU_DEP_2)
	v_add_co_ci_u32_e64 v4, s2, s13, v32, s2
	v_mov_b32_e32 v45, 0
	v_cmp_gt_u64_e64 s2, s[10:11], v[3:4]
	s_delay_alu instid0(VALU_DEP_1)
	s_and_saveexec_b32 s4, s2
	s_cbranch_execz .LBB90_10
; %bb.9:                                ;   in Loop: Header=BB90_4 Depth=1
	v_add_co_u32 v2, s3, v35, s8
	s_delay_alu instid0(VALU_DEP_1) | instskip(SKIP_1) | instid1(VALU_DEP_1)
	v_add_co_ci_u32_e64 v3, s3, s9, v36, s3
	v_add_co_u32 v45, s3, v37, s8
	v_add_co_ci_u32_e64 v46, s3, s9, v38, s3
	global_load_b32 v2, v[2:3], off
	global_load_b32 v45, v[45:46], off
.LBB90_10:                              ;   in Loop: Header=BB90_4 Depth=1
	s_or_b32 exec_lo, exec_lo, s4
	v_dual_mov_b32 v3, 0 :: v_dual_mov_b32 v46, 0
	s_and_saveexec_b32 s4, s2
	s_cbranch_execz .LBB90_12
; %bb.11:                               ;   in Loop: Header=BB90_4 Depth=1
	v_add_co_u32 v46, s3, v39, s8
	s_delay_alu instid0(VALU_DEP_1)
	v_add_co_ci_u32_e64 v47, s3, s9, v40, s3
	global_load_b32 v46, v[46:47], off
.LBB90_12:                              ;   in Loop: Header=BB90_4 Depth=1
	s_or_b32 exec_lo, exec_lo, s4
	v_add_co_u32 v47, s3, v33, s12
	s_delay_alu instid0(VALU_DEP_1) | instskip(NEXT) | instid1(VALU_DEP_1)
	v_add_co_ci_u32_e64 v48, s3, s13, v34, s3
	v_cmp_gt_u64_e64 s3, s[10:11], v[47:48]
	v_mov_b32_e32 v47, 0
	s_delay_alu instid0(VALU_DEP_2)
	s_and_saveexec_b32 s5, s3
	s_cbranch_execz .LBB90_14
; %bb.13:                               ;   in Loop: Header=BB90_4 Depth=1
	v_add_co_u32 v3, s4, v23, s8
	s_delay_alu instid0(VALU_DEP_1) | instskip(SKIP_1) | instid1(VALU_DEP_1)
	v_add_co_ci_u32_e64 v4, s4, s9, v24, s4
	v_add_co_u32 v47, s4, v25, s8
	v_add_co_ci_u32_e64 v48, s4, s9, v26, s4
	global_load_b32 v3, v[3:4], off
	global_load_b32 v47, v[47:48], off
.LBB90_14:                              ;   in Loop: Header=BB90_4 Depth=1
	s_or_b32 exec_lo, exec_lo, s5
	v_mov_b32_e32 v4, 0
	v_mov_b32_e32 v48, 0
	s_and_saveexec_b32 s5, s3
	s_cbranch_execz .LBB90_16
; %bb.15:                               ;   in Loop: Header=BB90_4 Depth=1
	v_add_co_u32 v48, s4, v27, s8
	s_delay_alu instid0(VALU_DEP_1)
	v_add_co_ci_u32_e64 v49, s4, s9, v28, s4
	global_load_b32 v48, v[48:49], off
.LBB90_16:                              ;   in Loop: Header=BB90_4 Depth=1
	s_or_b32 exec_lo, exec_lo, s5
	v_add_co_u32 v49, s4, v21, s12
	s_delay_alu instid0(VALU_DEP_1) | instskip(NEXT) | instid1(VALU_DEP_1)
	v_add_co_ci_u32_e64 v50, s4, s13, v22, s4
	v_cmp_gt_u64_e64 s4, s[10:11], v[49:50]
	v_mov_b32_e32 v49, 0
	s_delay_alu instid0(VALU_DEP_2)
	s_and_saveexec_b32 s25, s4
	s_cbranch_execnz .LBB90_22
; %bb.17:                               ;   in Loop: Header=BB90_4 Depth=1
	s_or_b32 exec_lo, exec_lo, s25
	v_mov_b32_e32 v50, 0
	s_and_saveexec_b32 s25, s4
	s_cbranch_execnz .LBB90_23
.LBB90_18:                              ;   in Loop: Header=BB90_4 Depth=1
	s_or_b32 exec_lo, exec_lo, s25
	s_and_saveexec_b32 s5, vcc_lo
	s_cbranch_execnz .LBB90_24
.LBB90_19:                              ;   in Loop: Header=BB90_4 Depth=1
	s_or_b32 exec_lo, exec_lo, s5
	s_and_saveexec_b32 s5, s2
	s_cbranch_execnz .LBB90_25
.LBB90_20:                              ;   in Loop: Header=BB90_4 Depth=1
	s_or_b32 exec_lo, exec_lo, s5
	s_and_saveexec_b32 s2, s3
	s_cbranch_execnz .LBB90_26
.LBB90_21:                              ;   in Loop: Header=BB90_4 Depth=1
	s_or_b32 exec_lo, exec_lo, s2
	s_and_saveexec_b32 s2, s4
	s_cbranch_execz .LBB90_3
	s_branch .LBB90_27
.LBB90_22:                              ;   in Loop: Header=BB90_4 Depth=1
	v_add_co_u32 v49, s5, v13, s8
	s_delay_alu instid0(VALU_DEP_1) | instskip(SKIP_1) | instid1(VALU_DEP_1)
	v_add_co_ci_u32_e64 v50, s5, s9, v14, s5
	v_add_co_u32 v51, s5, v15, s8
	v_add_co_ci_u32_e64 v52, s5, s9, v16, s5
	global_load_b32 v4, v[49:50], off
	global_load_b32 v49, v[51:52], off
	s_or_b32 exec_lo, exec_lo, s25
	v_mov_b32_e32 v50, 0
	s_and_saveexec_b32 s25, s4
	s_cbranch_execz .LBB90_18
.LBB90_23:                              ;   in Loop: Header=BB90_4 Depth=1
	v_add_co_u32 v50, s5, v17, s8
	s_delay_alu instid0(VALU_DEP_1)
	v_add_co_ci_u32_e64 v51, s5, s9, v18, s5
	global_load_b32 v50, v[50:51], off
	s_or_b32 exec_lo, exec_lo, s25
	s_and_saveexec_b32 s5, vcc_lo
	s_cbranch_execz .LBB90_19
.LBB90_24:                              ;   in Loop: Header=BB90_4 Depth=1
	s_waitcnt vmcnt(0)
	v_mul_lo_u32 v43, v43, s24
	s_delay_alu instid0(VALU_DEP_1)
	v_mad_u64_u32 v[51:52], null, v43, v44, v[1:2]
	v_add_co_u32 v43, vcc_lo, v11, s8
	v_add_co_ci_u32_e32 v44, vcc_lo, s9, v12, vcc_lo
	global_store_b32 v[43:44], v51, off
	s_or_b32 exec_lo, exec_lo, s5
	s_and_saveexec_b32 s5, s2
	s_cbranch_execz .LBB90_20
.LBB90_25:                              ;   in Loop: Header=BB90_4 Depth=1
	s_waitcnt vmcnt(0)
	v_mul_lo_u32 v1, v45, s24
	s_delay_alu instid0(VALU_DEP_1)
	v_mad_u64_u32 v[43:44], null, v1, v46, v[2:3]
	v_add_co_u32 v1, vcc_lo, v41, s8
	v_add_co_ci_u32_e32 v2, vcc_lo, s9, v42, vcc_lo
	global_store_b32 v[1:2], v43, off
	s_or_b32 exec_lo, exec_lo, s5
	s_and_saveexec_b32 s2, s3
	s_cbranch_execz .LBB90_21
.LBB90_26:                              ;   in Loop: Header=BB90_4 Depth=1
	s_waitcnt vmcnt(0)
	v_mul_lo_u32 v43, v47, s24
	s_delay_alu instid0(VALU_DEP_1)
	v_mad_u64_u32 v[1:2], null, v43, v48, v[3:4]
	v_add_co_u32 v2, vcc_lo, v30, s8
	v_add_co_ci_u32_e32 v3, vcc_lo, s9, v31, vcc_lo
	global_store_b32 v[2:3], v1, off
	s_or_b32 exec_lo, exec_lo, s2
	s_and_saveexec_b32 s2, s4
	s_cbranch_execz .LBB90_3
.LBB90_27:                              ;   in Loop: Header=BB90_4 Depth=1
	s_waitcnt vmcnt(0)
	v_mul_lo_u32 v3, v49, s24
	s_delay_alu instid0(VALU_DEP_1)
	v_mad_u64_u32 v[1:2], null, v3, v50, v[4:5]
	v_add_co_u32 v2, vcc_lo, v19, s8
	v_add_co_ci_u32_e32 v3, vcc_lo, s9, v20, vcc_lo
	global_store_b32 v[2:3], v1, off
	s_branch .LBB90_3
.LBB90_28:
	s_mov_b32 s10, 0
.LBB90_29:
	s_delay_alu instid0(SALU_CYCLE_1)
	s_and_not1_b32 vcc_lo, exec_lo, s10
	s_cbranch_vccnz .LBB90_33
; %bb.30:
	s_waitcnt vmcnt(1)
	v_dual_mov_b32 v2, 0 :: v_dual_lshlrev_b32 v1, 2, v0
	s_mov_b32 s2, 0
	s_mov_b32 s3, exec_lo
	s_delay_alu instid0(VALU_DEP_1)
	v_cmpx_gt_i64_e64 s[6:7], v[1:2]
	s_cbranch_execz .LBB90_33
; %bb.31:
	s_load_b32 s0, s[0:1], 0xc84
	s_waitcnt lgkmcnt(0)
	s_and_b32 s0, s0, 0xffff
	s_delay_alu instid0(SALU_CYCLE_1)
	v_add_lshl_u32 v1, v0, s0, 2
	v_lshlrev_b32_e32 v0, 4, v0
	s_lshl_b32 s3, s0, 2
	s_lshl_b32 s4, s0, 4
.LBB90_32:                              ; =>This Inner Loop Header: Depth=1
	s_delay_alu instid0(VALU_DEP_1) | instskip(NEXT) | instid1(VALU_DEP_1)
	v_add_co_u32 v3, s0, s18, v0
	v_add_co_ci_u32_e64 v4, null, s19, 0, s0
	v_add_co_u32 v7, s0, s16, v0
	s_delay_alu instid0(VALU_DEP_1)
	v_add_co_ci_u32_e64 v8, null, s17, 0, s0
	v_add_co_u32 v11, s0, s20, v0
	global_load_b128 v[3:6], v[3:4], off
	v_add_co_ci_u32_e64 v12, null, s21, 0, s0
	global_load_b128 v[7:10], v[7:8], off
	global_load_b128 v[11:14], v[11:12], off
	v_cmp_le_i64_e32 vcc_lo, s[6:7], v[1:2]
	v_cmp_lt_u64_e64 s0, 0xffff, v[1:2]
	v_add_co_u32 v15, s1, s22, v0
	s_delay_alu instid0(VALU_DEP_1) | instskip(SKIP_1) | instid1(VALU_DEP_4)
	v_add_co_ci_u32_e64 v16, null, s23, 0, s1
	v_add_co_u32 v1, s1, v1, s3
	s_or_b32 s0, vcc_lo, s0
	s_add_u32 s16, s16, s4
	s_addc_u32 s17, s17, 0
	s_add_u32 s22, s22, s4
	s_addc_u32 s23, s23, 0
	;; [unrolled: 2-line block ×3, first 2 shown]
	s_add_u32 s20, s20, s4
	v_add_co_ci_u32_e64 v2, s1, 0, v2, s1
	s_addc_u32 s21, s21, 0
	s_and_b32 s0, exec_lo, s0
	s_delay_alu instid0(SALU_CYCLE_1)
	s_or_b32 s2, s0, s2
	s_waitcnt vmcnt(2)
	v_mul_lo_u32 v6, v6, s24
	v_mul_lo_u32 v19, v3, s24
	;; [unrolled: 1-line block ×4, first 2 shown]
	s_waitcnt vmcnt(1)
	v_mov_b32_e32 v3, v10
	s_waitcnt vmcnt(0)
	s_delay_alu instid0(VALU_DEP_1) | instskip(SKIP_3) | instid1(VALU_DEP_4)
	v_mad_u64_u32 v[17:18], null, v6, v14, v[3:4]
	v_mad_u64_u32 v[3:4], null, v19, v11, v[7:8]
	;; [unrolled: 1-line block ×4, first 2 shown]
	v_mov_b32_e32 v6, v17
	global_store_b128 v[15:16], v[3:6], off
	s_and_not1_b32 exec_lo, exec_lo, s2
	s_cbranch_execnz .LBB90_32
.LBB90_33:
	s_nop 0
	s_sendmsg sendmsg(MSG_DEALLOC_VGPRS)
	s_endpgm
	.section	.rodata,"a",@progbits
	.p2align	6, 0x0
	.amdhsa_kernel _ZN2at6native12_GLOBAL__N_125multi_tensor_apply_kernelINS1_28TensorListScalarListMetadataIiLi4EEENS1_28PointwiseOpScalarListFunctorIiLi4ELi3ELi3EEEJSt10multipliesIiEEEEvT_T0_DpT1_
		.amdhsa_group_segment_fixed_size 0
		.amdhsa_private_segment_fixed_size 0
		.amdhsa_kernarg_size 3448
		.amdhsa_user_sgpr_count 15
		.amdhsa_user_sgpr_dispatch_ptr 0
		.amdhsa_user_sgpr_queue_ptr 0
		.amdhsa_user_sgpr_kernarg_segment_ptr 1
		.amdhsa_user_sgpr_dispatch_id 0
		.amdhsa_user_sgpr_private_segment_size 0
		.amdhsa_wavefront_size32 1
		.amdhsa_uses_dynamic_stack 0
		.amdhsa_enable_private_segment 0
		.amdhsa_system_sgpr_workgroup_id_x 1
		.amdhsa_system_sgpr_workgroup_id_y 0
		.amdhsa_system_sgpr_workgroup_id_z 0
		.amdhsa_system_sgpr_workgroup_info 0
		.amdhsa_system_vgpr_workitem_id 0
		.amdhsa_next_free_vgpr 53
		.amdhsa_next_free_sgpr 30
		.amdhsa_reserve_vcc 1
		.amdhsa_float_round_mode_32 0
		.amdhsa_float_round_mode_16_64 0
		.amdhsa_float_denorm_mode_32 3
		.amdhsa_float_denorm_mode_16_64 3
		.amdhsa_dx10_clamp 1
		.amdhsa_ieee_mode 1
		.amdhsa_fp16_overflow 0
		.amdhsa_workgroup_processor_mode 1
		.amdhsa_memory_ordered 1
		.amdhsa_forward_progress 0
		.amdhsa_shared_vgpr_count 0
		.amdhsa_exception_fp_ieee_invalid_op 0
		.amdhsa_exception_fp_denorm_src 0
		.amdhsa_exception_fp_ieee_div_zero 0
		.amdhsa_exception_fp_ieee_overflow 0
		.amdhsa_exception_fp_ieee_underflow 0
		.amdhsa_exception_fp_ieee_inexact 0
		.amdhsa_exception_int_div_zero 0
	.end_amdhsa_kernel
	.section	.text._ZN2at6native12_GLOBAL__N_125multi_tensor_apply_kernelINS1_28TensorListScalarListMetadataIiLi4EEENS1_28PointwiseOpScalarListFunctorIiLi4ELi3ELi3EEEJSt10multipliesIiEEEEvT_T0_DpT1_,"axG",@progbits,_ZN2at6native12_GLOBAL__N_125multi_tensor_apply_kernelINS1_28TensorListScalarListMetadataIiLi4EEENS1_28PointwiseOpScalarListFunctorIiLi4ELi3ELi3EEEJSt10multipliesIiEEEEvT_T0_DpT1_,comdat
.Lfunc_end90:
	.size	_ZN2at6native12_GLOBAL__N_125multi_tensor_apply_kernelINS1_28TensorListScalarListMetadataIiLi4EEENS1_28PointwiseOpScalarListFunctorIiLi4ELi3ELi3EEEJSt10multipliesIiEEEEvT_T0_DpT1_, .Lfunc_end90-_ZN2at6native12_GLOBAL__N_125multi_tensor_apply_kernelINS1_28TensorListScalarListMetadataIiLi4EEENS1_28PointwiseOpScalarListFunctorIiLi4ELi3ELi3EEEJSt10multipliesIiEEEEvT_T0_DpT1_
                                        ; -- End function
	.section	.AMDGPU.csdata,"",@progbits
; Kernel info:
; codeLenInByte = 2244
; NumSgprs: 32
; NumVgprs: 53
; ScratchSize: 0
; MemoryBound: 0
; FloatMode: 240
; IeeeMode: 1
; LDSByteSize: 0 bytes/workgroup (compile time only)
; SGPRBlocks: 3
; VGPRBlocks: 6
; NumSGPRsForWavesPerEU: 32
; NumVGPRsForWavesPerEU: 53
; Occupancy: 16
; WaveLimiterHint : 0
; COMPUTE_PGM_RSRC2:SCRATCH_EN: 0
; COMPUTE_PGM_RSRC2:USER_SGPR: 15
; COMPUTE_PGM_RSRC2:TRAP_HANDLER: 0
; COMPUTE_PGM_RSRC2:TGID_X_EN: 1
; COMPUTE_PGM_RSRC2:TGID_Y_EN: 0
; COMPUTE_PGM_RSRC2:TGID_Z_EN: 0
; COMPUTE_PGM_RSRC2:TIDIG_COMP_CNT: 0
	.section	.text._ZN2at6native12_GLOBAL__N_125multi_tensor_apply_kernelINS1_28TensorListScalarListMetadataIlLi4EEENS1_28PointwiseOpScalarListFunctorIlLi4ELi3ELi3EEEJSt10multipliesIlEEEEvT_T0_DpT1_,"axG",@progbits,_ZN2at6native12_GLOBAL__N_125multi_tensor_apply_kernelINS1_28TensorListScalarListMetadataIlLi4EEENS1_28PointwiseOpScalarListFunctorIlLi4ELi3ELi3EEEJSt10multipliesIlEEEEvT_T0_DpT1_,comdat
	.globl	_ZN2at6native12_GLOBAL__N_125multi_tensor_apply_kernelINS1_28TensorListScalarListMetadataIlLi4EEENS1_28PointwiseOpScalarListFunctorIlLi4ELi3ELi3EEEJSt10multipliesIlEEEEvT_T0_DpT1_ ; -- Begin function _ZN2at6native12_GLOBAL__N_125multi_tensor_apply_kernelINS1_28TensorListScalarListMetadataIlLi4EEENS1_28PointwiseOpScalarListFunctorIlLi4ELi3ELi3EEEJSt10multipliesIlEEEEvT_T0_DpT1_
	.p2align	8
	.type	_ZN2at6native12_GLOBAL__N_125multi_tensor_apply_kernelINS1_28TensorListScalarListMetadataIlLi4EEENS1_28PointwiseOpScalarListFunctorIlLi4ELi3ELi3EEEJSt10multipliesIlEEEEvT_T0_DpT1_,@function
_ZN2at6native12_GLOBAL__N_125multi_tensor_apply_kernelINS1_28TensorListScalarListMetadataIlLi4EEENS1_28PointwiseOpScalarListFunctorIlLi4ELi3ELi3EEEJSt10multipliesIlEEEEvT_T0_DpT1_: ; @_ZN2at6native12_GLOBAL__N_125multi_tensor_apply_kernelINS1_28TensorListScalarListMetadataIlLi4EEENS1_28PointwiseOpScalarListFunctorIlLi4ELi3ELi3EEEJSt10multipliesIlEEEEvT_T0_DpT1_
; %bb.0:
	v_mov_b32_e32 v1, s15
	s_add_u32 s2, s0, s15
	s_mul_hi_u32 s3, s15, 3
	s_mul_i32 s15, s15, 3
	s_addc_u32 s4, s1, 0
	global_load_u8 v1, v1, s[0:1] offset:1728
	s_add_u32 s2, s2, s15
	s_addc_u32 s3, s4, s3
	s_mov_b32 s27, 0
	s_load_b32 s8, s[2:3], 0x800
	s_mov_b32 s23, s27
	s_waitcnt lgkmcnt(0)
	s_ashr_i32 s9, s8, 31
	s_delay_alu instid0(SALU_CYCLE_1) | instskip(SKIP_2) | instid1(VALU_DEP_1)
	s_lshl_b64 s[10:11], s[8:9], 19
	s_waitcnt vmcnt(0)
	v_readfirstlane_b32 s5, v1
	s_lshl_b32 s6, s5, 3
	s_clause 0x5
	s_load_b64 s[2:3], s[0:1], s6 offset:0x0
	s_load_b64 s[4:5], s[0:1], s6 offset:0x120
	;; [unrolled: 1-line block ×6, first 2 shown]
	s_waitcnt lgkmcnt(0)
	s_add_u32 s18, s2, s10
	s_addc_u32 s19, s3, s11
	s_and_b32 s26, s18, 31
	s_add_u32 s20, s4, s10
	s_addc_u32 s21, s5, s11
	s_and_b32 s22, s20, 31
	s_delay_alu instid0(SALU_CYCLE_1)
	s_cmp_eq_u64 s[22:23], 0
	s_cselect_b32 s28, -1, 0
	s_add_u32 s22, s14, s10
	s_addc_u32 s23, s15, s11
	s_add_u32 s24, s16, s10
	s_addc_u32 s25, s17, s11
	s_or_b32 s29, s24, s22
	s_delay_alu instid0(SALU_CYCLE_1) | instskip(NEXT) | instid1(SALU_CYCLE_1)
	s_and_b32 s29, s29, 31
	s_cmp_eq_u32 s29, 0
	s_cselect_b32 s29, -1, 0
	s_lshl_b64 s[8:9], s[8:9], 16
	s_and_b32 s28, s29, s28
	s_sub_u32 s8, s12, s8
	s_subb_u32 s9, s13, s9
	s_and_b32 s12, s12, 3
	s_mov_b32 s13, s27
	s_delay_alu instid0(SALU_CYCLE_1) | instskip(NEXT) | instid1(SALU_CYCLE_1)
	s_or_b64 s[12:13], s[26:27], s[12:13]
	s_cmp_eq_u64 s[12:13], 0
	s_cselect_b32 s12, -1, 0
	s_delay_alu instid0(SALU_CYCLE_1) | instskip(NEXT) | instid1(SALU_CYCLE_1)
	s_and_b32 s12, s28, s12
	s_and_b32 vcc_lo, exec_lo, s12
	s_mov_b32 s12, -1
	s_cbranch_vccnz .LBB91_29
; %bb.1:
	v_cmp_lt_i64_e64 s12, s[8:9], 1
	s_delay_alu instid0(VALU_DEP_1)
	s_and_b32 vcc_lo, exec_lo, s12
	s_cbranch_vccnz .LBB91_28
; %bb.2:
	s_load_b32 s12, s[0:1], 0xd14
	v_dual_mov_b32 v2, 0 :: v_dual_lshlrev_b32 v1, 3, v0
	v_cmp_gt_u64_e64 s13, 0x10000, s[8:9]
	s_delay_alu instid0(VALU_DEP_2) | instskip(NEXT) | instid1(VALU_DEP_1)
	v_add_co_u32 v25, s26, s2, v1
	v_add_co_ci_u32_e64 v26, null, s3, 0, s26
	v_add_co_u32 v27, s26, s4, v1
	s_delay_alu instid0(VALU_DEP_1) | instskip(SKIP_1) | instid1(VALU_DEP_1)
	v_add_co_ci_u32_e64 v28, null, s5, 0, s26
	v_add_co_u32 v29, s26, s14, v1
	v_add_co_ci_u32_e64 v30, null, s15, 0, s26
	s_waitcnt lgkmcnt(0)
	s_and_b32 s26, s12, 0xffff
	v_add_co_u32 v31, s12, s16, v1
	v_mad_u64_u32 v[3:4], null, s26, 24, v[1:2]
	v_add_co_ci_u32_e64 v32, null, s17, 0, s12
	s_and_b32 s12, s13, exec_lo
	s_cselect_b32 s13, s9, 0
	s_cselect_b32 s12, s8, 0x10000
	s_lshl_b32 s29, s26, 4
	s_delay_alu instid0(VALU_DEP_2) | instskip(NEXT) | instid1(VALU_DEP_3)
	v_add_co_u32 v33, vcc_lo, s2, v3
	v_add_co_ci_u32_e32 v34, vcc_lo, s3, v4, vcc_lo
	v_add_co_u32 v35, vcc_lo, s4, v3
	v_add_co_ci_u32_e32 v36, vcc_lo, s5, v4, vcc_lo
	v_add_co_u32 v37, vcc_lo, s14, v3
	v_add_co_u32 v1, s29, s29, v1
	v_add_co_ci_u32_e32 v38, vcc_lo, s15, v4, vcc_lo
	v_add_co_u32 v39, vcc_lo, s16, v3
	v_add_co_ci_u32_e64 v2, null, 0, 0, s29
	v_add_co_ci_u32_e32 v40, vcc_lo, s17, v4, vcc_lo
	s_mul_i32 s28, s26, 3
	v_add_co_u32 v43, vcc_lo, s2, v1
	v_add_co_u32 v41, s28, s28, v0
	v_add_co_ci_u32_e32 v44, vcc_lo, s3, v2, vcc_lo
	v_add_co_u32 v45, vcc_lo, s4, v1
	v_add_co_ci_u32_e64 v42, null, 0, 0, s28
	v_add_co_u32 v49, s28, v0, s26
	v_add_co_ci_u32_e32 v46, vcc_lo, s5, v2, vcc_lo
	v_add_co_u32 v47, vcc_lo, s14, v1
	v_add_co_ci_u32_e32 v48, vcc_lo, s15, v2, vcc_lo
	v_add_co_u32 v50, vcc_lo, s16, v1
	v_lshlrev_b32_e32 v1, 3, v49
	s_lshl_b32 s27, s26, 1
	v_add_co_ci_u32_e32 v51, vcc_lo, s17, v2, vcc_lo
	v_add_co_u32 v53, s27, s27, v0
	s_delay_alu instid0(VALU_DEP_3) | instskip(NEXT) | instid1(VALU_DEP_1)
	v_add_co_u32 v55, s2, s2, v1
	v_add_co_ci_u32_e64 v56, null, s3, 0, s2
	v_add_co_u32 v57, s2, s4, v1
	s_delay_alu instid0(VALU_DEP_1) | instskip(SKIP_1) | instid1(VALU_DEP_1)
	v_add_co_ci_u32_e64 v58, null, s5, 0, s2
	v_add_co_u32 v59, s2, s14, v1
	v_add_co_ci_u32_e64 v60, null, s15, 0, s2
	v_add_co_u32 v61, s2, s16, v1
	v_add_co_ci_u32_e64 v52, null, 0, 0, s28
	v_add_co_ci_u32_e64 v54, null, 0, 0, s27
	v_add_co_ci_u32_e64 v62, null, s17, 0, s2
	s_lshl_b32 s16, s26, 2
	s_lshl_b32 s17, s26, 5
	s_mov_b64 s[14:15], 0
	s_branch .LBB91_4
.LBB91_3:                               ;   in Loop: Header=BB91_4 Depth=1
	s_or_b32 exec_lo, exec_lo, s2
	v_add_co_u32 v25, vcc_lo, v25, s17
	v_add_co_ci_u32_e32 v26, vcc_lo, 0, v26, vcc_lo
	v_add_co_u32 v27, vcc_lo, v27, s17
	v_add_co_ci_u32_e32 v28, vcc_lo, 0, v28, vcc_lo
	;; [unrolled: 2-line block ×13, first 2 shown]
	s_add_u32 s14, s14, s16
	v_add_co_u32 v57, vcc_lo, v57, s17
	s_addc_u32 s15, s15, 0
	v_add_co_ci_u32_e32 v58, vcc_lo, 0, v58, vcc_lo
	v_cmp_lt_i64_e64 s2, s[14:15], s[8:9]
	v_cmp_gt_u64_e64 s3, 0x10000, s[14:15]
	v_add_co_u32 v59, vcc_lo, v59, s17
	v_add_co_ci_u32_e32 v60, vcc_lo, 0, v60, vcc_lo
	v_add_co_u32 v61, vcc_lo, v61, s17
	v_add_co_ci_u32_e32 v62, vcc_lo, 0, v62, vcc_lo
	s_and_b32 s2, s2, s3
	s_delay_alu instid0(SALU_CYCLE_1)
	s_and_b32 vcc_lo, exec_lo, s2
	s_cbranch_vccz .LBB91_28
.LBB91_4:                               ; =>This Inner Loop Header: Depth=1
	s_waitcnt vmcnt(1)
	v_add_co_u32 v3, s2, v0, s14
	s_delay_alu instid0(VALU_DEP_1) | instskip(SKIP_3) | instid1(VALU_DEP_3)
	v_add_co_ci_u32_e64 v4, null, 0, s15, s2
	s_waitcnt vmcnt(0)
	v_mov_b32_e32 v1, 0
	v_mov_b32_e32 v2, 0
	v_cmp_gt_u64_e32 vcc_lo, s[12:13], v[3:4]
	s_delay_alu instid0(VALU_DEP_2)
	v_dual_mov_b32 v4, v2 :: v_dual_mov_b32 v3, v1
	v_dual_mov_b32 v6, v2 :: v_dual_mov_b32 v5, v1
	s_and_saveexec_b32 s3, vcc_lo
	s_cbranch_execz .LBB91_6
; %bb.5:                                ;   in Loop: Header=BB91_4 Depth=1
	v_add_co_u32 v3, s2, v25, s10
	s_delay_alu instid0(VALU_DEP_1) | instskip(SKIP_1) | instid1(VALU_DEP_1)
	v_add_co_ci_u32_e64 v4, s2, s11, v26, s2
	v_add_co_u32 v5, s2, v27, s10
	v_add_co_ci_u32_e64 v6, s2, s11, v28, s2
	global_load_b64 v[3:4], v[3:4], off
	global_load_b64 v[5:6], v[5:6], off
.LBB91_6:                               ;   in Loop: Header=BB91_4 Depth=1
	s_or_b32 exec_lo, exec_lo, s3
	s_and_saveexec_b32 s3, vcc_lo
	s_cbranch_execz .LBB91_8
; %bb.7:                                ;   in Loop: Header=BB91_4 Depth=1
	v_add_co_u32 v1, s2, v29, s10
	s_delay_alu instid0(VALU_DEP_1)
	v_add_co_ci_u32_e64 v2, s2, s11, v30, s2
	global_load_b64 v[1:2], v[1:2], off
.LBB91_8:                               ;   in Loop: Header=BB91_4 Depth=1
	s_or_b32 exec_lo, exec_lo, s3
	v_add_co_u32 v9, s2, v49, s14
	s_delay_alu instid0(VALU_DEP_1) | instskip(SKIP_2) | instid1(VALU_DEP_3)
	v_add_co_ci_u32_e64 v10, s2, s15, v52, s2
	v_mov_b32_e32 v7, 0
	v_mov_b32_e32 v8, 0
	v_cmp_gt_u64_e64 s2, s[12:13], v[9:10]
	s_delay_alu instid0(VALU_DEP_2) | instskip(SKIP_1) | instid1(VALU_DEP_3)
	v_dual_mov_b32 v10, v8 :: v_dual_mov_b32 v9, v7
	v_dual_mov_b32 v12, v8 :: v_dual_mov_b32 v11, v7
	s_and_saveexec_b32 s4, s2
	s_cbranch_execz .LBB91_10
; %bb.9:                                ;   in Loop: Header=BB91_4 Depth=1
	v_add_co_u32 v9, s3, v55, s10
	s_delay_alu instid0(VALU_DEP_1) | instskip(SKIP_1) | instid1(VALU_DEP_1)
	v_add_co_ci_u32_e64 v10, s3, s11, v56, s3
	v_add_co_u32 v11, s3, v57, s10
	v_add_co_ci_u32_e64 v12, s3, s11, v58, s3
	global_load_b64 v[9:10], v[9:10], off
	global_load_b64 v[11:12], v[11:12], off
.LBB91_10:                              ;   in Loop: Header=BB91_4 Depth=1
	s_or_b32 exec_lo, exec_lo, s4
	s_and_saveexec_b32 s4, s2
	s_cbranch_execz .LBB91_12
; %bb.11:                               ;   in Loop: Header=BB91_4 Depth=1
	v_add_co_u32 v7, s3, v59, s10
	s_delay_alu instid0(VALU_DEP_1)
	v_add_co_ci_u32_e64 v8, s3, s11, v60, s3
	global_load_b64 v[7:8], v[7:8], off
.LBB91_12:                              ;   in Loop: Header=BB91_4 Depth=1
	s_or_b32 exec_lo, exec_lo, s4
	v_add_co_u32 v15, s3, v53, s14
	s_delay_alu instid0(VALU_DEP_1) | instskip(SKIP_2) | instid1(VALU_DEP_3)
	v_add_co_ci_u32_e64 v16, s3, s15, v54, s3
	v_mov_b32_e32 v13, 0
	v_mov_b32_e32 v14, 0
	v_cmp_gt_u64_e64 s3, s[12:13], v[15:16]
	s_delay_alu instid0(VALU_DEP_2) | instskip(SKIP_1) | instid1(VALU_DEP_3)
	v_dual_mov_b32 v16, v14 :: v_dual_mov_b32 v15, v13
	v_dual_mov_b32 v18, v14 :: v_dual_mov_b32 v17, v13
	s_and_saveexec_b32 s5, s3
	s_cbranch_execz .LBB91_14
; %bb.13:                               ;   in Loop: Header=BB91_4 Depth=1
	v_add_co_u32 v15, s4, v43, s10
	s_delay_alu instid0(VALU_DEP_1) | instskip(SKIP_1) | instid1(VALU_DEP_1)
	v_add_co_ci_u32_e64 v16, s4, s11, v44, s4
	v_add_co_u32 v17, s4, v45, s10
	v_add_co_ci_u32_e64 v18, s4, s11, v46, s4
	global_load_b64 v[15:16], v[15:16], off
	global_load_b64 v[17:18], v[17:18], off
.LBB91_14:                              ;   in Loop: Header=BB91_4 Depth=1
	s_or_b32 exec_lo, exec_lo, s5
	s_and_saveexec_b32 s5, s3
	s_cbranch_execz .LBB91_16
; %bb.15:                               ;   in Loop: Header=BB91_4 Depth=1
	v_add_co_u32 v13, s4, v47, s10
	s_delay_alu instid0(VALU_DEP_1)
	v_add_co_ci_u32_e64 v14, s4, s11, v48, s4
	global_load_b64 v[13:14], v[13:14], off
.LBB91_16:                              ;   in Loop: Header=BB91_4 Depth=1
	s_or_b32 exec_lo, exec_lo, s5
	v_add_co_u32 v21, s4, v41, s14
	s_delay_alu instid0(VALU_DEP_1) | instskip(SKIP_2) | instid1(VALU_DEP_3)
	v_add_co_ci_u32_e64 v22, s4, s15, v42, s4
	v_mov_b32_e32 v19, 0
	v_mov_b32_e32 v20, 0
	v_cmp_gt_u64_e64 s4, s[12:13], v[21:22]
	s_delay_alu instid0(VALU_DEP_2) | instskip(SKIP_1) | instid1(VALU_DEP_3)
	v_dual_mov_b32 v22, v20 :: v_dual_mov_b32 v21, v19
	v_dual_mov_b32 v24, v20 :: v_dual_mov_b32 v23, v19
	s_and_saveexec_b32 s26, s4
	s_cbranch_execnz .LBB91_22
; %bb.17:                               ;   in Loop: Header=BB91_4 Depth=1
	s_or_b32 exec_lo, exec_lo, s26
	s_and_saveexec_b32 s26, s4
	s_cbranch_execnz .LBB91_23
.LBB91_18:                              ;   in Loop: Header=BB91_4 Depth=1
	s_or_b32 exec_lo, exec_lo, s26
	s_and_saveexec_b32 s5, vcc_lo
	s_cbranch_execnz .LBB91_24
.LBB91_19:                              ;   in Loop: Header=BB91_4 Depth=1
	s_or_b32 exec_lo, exec_lo, s5
	s_and_saveexec_b32 s5, s2
	s_cbranch_execnz .LBB91_25
.LBB91_20:                              ;   in Loop: Header=BB91_4 Depth=1
	s_or_b32 exec_lo, exec_lo, s5
	s_and_saveexec_b32 s2, s3
	s_cbranch_execnz .LBB91_26
.LBB91_21:                              ;   in Loop: Header=BB91_4 Depth=1
	s_or_b32 exec_lo, exec_lo, s2
	s_and_saveexec_b32 s2, s4
	s_cbranch_execz .LBB91_3
	s_branch .LBB91_27
.LBB91_22:                              ;   in Loop: Header=BB91_4 Depth=1
	v_add_co_u32 v21, s5, v33, s10
	s_delay_alu instid0(VALU_DEP_1) | instskip(SKIP_1) | instid1(VALU_DEP_1)
	v_add_co_ci_u32_e64 v22, s5, s11, v34, s5
	v_add_co_u32 v23, s5, v35, s10
	v_add_co_ci_u32_e64 v24, s5, s11, v36, s5
	global_load_b64 v[21:22], v[21:22], off
	global_load_b64 v[23:24], v[23:24], off
	s_or_b32 exec_lo, exec_lo, s26
	s_and_saveexec_b32 s26, s4
	s_cbranch_execz .LBB91_18
.LBB91_23:                              ;   in Loop: Header=BB91_4 Depth=1
	v_add_co_u32 v19, s5, v37, s10
	s_delay_alu instid0(VALU_DEP_1)
	v_add_co_ci_u32_e64 v20, s5, s11, v38, s5
	global_load_b64 v[19:20], v[19:20], off
	s_or_b32 exec_lo, exec_lo, s26
	s_and_saveexec_b32 s5, vcc_lo
	s_cbranch_execz .LBB91_19
.LBB91_24:                              ;   in Loop: Header=BB91_4 Depth=1
	s_waitcnt vmcnt(0)
	v_mul_lo_u32 v6, v6, s6
	v_mul_lo_u32 v65, v5, s7
	v_mad_u64_u32 v[63:64], null, v5, s6, 0
	s_delay_alu instid0(VALU_DEP_1) | instskip(NEXT) | instid1(VALU_DEP_2)
	v_add3_u32 v5, v64, v65, v6
	v_mul_lo_u32 v64, v63, v2
	s_delay_alu instid0(VALU_DEP_2) | instskip(SKIP_3) | instid1(VALU_DEP_3)
	v_mul_lo_u32 v65, v5, v1
	v_mad_u64_u32 v[5:6], null, v63, v1, v[3:4]
	v_add_co_u32 v1, vcc_lo, v31, s10
	v_add_co_ci_u32_e32 v2, vcc_lo, s11, v32, vcc_lo
	v_add3_u32 v6, v65, v6, v64
	global_store_b64 v[1:2], v[5:6], off
	s_or_b32 exec_lo, exec_lo, s5
	s_and_saveexec_b32 s5, s2
	s_cbranch_execz .LBB91_20
.LBB91_25:                              ;   in Loop: Header=BB91_4 Depth=1
	s_waitcnt vmcnt(0)
	v_mul_lo_u32 v3, v12, s6
	v_mul_lo_u32 v4, v11, s7
	v_mad_u64_u32 v[1:2], null, v11, s6, 0
	s_delay_alu instid0(VALU_DEP_1) | instskip(NEXT) | instid1(VALU_DEP_2)
	v_add3_u32 v4, v2, v4, v3
	v_mul_lo_u32 v5, v1, v8
	v_mad_u64_u32 v[2:3], null, v1, v7, v[9:10]
	s_delay_alu instid0(VALU_DEP_3) | instskip(SKIP_1) | instid1(VALU_DEP_2)
	v_mul_lo_u32 v1, v4, v7
	v_add_co_u32 v4, vcc_lo, v61, s10
	v_add3_u32 v3, v1, v3, v5
	v_add_co_ci_u32_e32 v5, vcc_lo, s11, v62, vcc_lo
	global_store_b64 v[4:5], v[2:3], off
	s_or_b32 exec_lo, exec_lo, s5
	s_and_saveexec_b32 s2, s3
	s_cbranch_execz .LBB91_21
.LBB91_26:                              ;   in Loop: Header=BB91_4 Depth=1
	s_waitcnt vmcnt(0)
	v_mul_lo_u32 v3, v18, s6
	v_mul_lo_u32 v4, v17, s7
	v_mad_u64_u32 v[1:2], null, v17, s6, 0
	s_delay_alu instid0(VALU_DEP_1) | instskip(NEXT) | instid1(VALU_DEP_2)
	v_add3_u32 v4, v2, v4, v3
	v_mul_lo_u32 v5, v1, v14
	v_mad_u64_u32 v[2:3], null, v1, v13, v[15:16]
	s_delay_alu instid0(VALU_DEP_3) | instskip(SKIP_1) | instid1(VALU_DEP_2)
	v_mul_lo_u32 v1, v4, v13
	v_add_co_u32 v4, vcc_lo, v50, s10
	v_add3_u32 v3, v1, v3, v5
	v_add_co_ci_u32_e32 v5, vcc_lo, s11, v51, vcc_lo
	global_store_b64 v[4:5], v[2:3], off
	s_or_b32 exec_lo, exec_lo, s2
	s_and_saveexec_b32 s2, s4
	s_cbranch_execz .LBB91_3
.LBB91_27:                              ;   in Loop: Header=BB91_4 Depth=1
	s_waitcnt vmcnt(0)
	v_mul_lo_u32 v3, v24, s6
	v_mul_lo_u32 v4, v23, s7
	v_mad_u64_u32 v[1:2], null, v23, s6, 0
	s_delay_alu instid0(VALU_DEP_1) | instskip(NEXT) | instid1(VALU_DEP_2)
	v_add3_u32 v4, v2, v4, v3
	v_mul_lo_u32 v5, v1, v20
	v_mad_u64_u32 v[2:3], null, v1, v19, v[21:22]
	s_delay_alu instid0(VALU_DEP_3) | instskip(SKIP_1) | instid1(VALU_DEP_2)
	v_mul_lo_u32 v1, v4, v19
	v_add_co_u32 v4, vcc_lo, v39, s10
	v_add3_u32 v3, v1, v3, v5
	v_add_co_ci_u32_e32 v5, vcc_lo, s11, v40, vcc_lo
	global_store_b64 v[4:5], v[2:3], off
	s_branch .LBB91_3
.LBB91_28:
	s_mov_b32 s12, 0
.LBB91_29:
	s_delay_alu instid0(SALU_CYCLE_1)
	s_and_not1_b32 vcc_lo, exec_lo, s12
	s_cbranch_vccnz .LBB91_33
; %bb.30:
	s_waitcnt vmcnt(0)
	v_dual_mov_b32 v2, 0 :: v_dual_lshlrev_b32 v1, 2, v0
	s_mov_b32 s2, 0
	s_mov_b32 s3, exec_lo
	s_delay_alu instid0(VALU_DEP_1)
	v_cmpx_gt_i64_e64 s[8:9], v[1:2]
	s_cbranch_execz .LBB91_33
; %bb.31:
	s_load_b32 s0, s[0:1], 0xd14
	s_waitcnt lgkmcnt(0)
	s_and_b32 s0, s0, 0xffff
	s_delay_alu instid0(SALU_CYCLE_1)
	v_add_lshl_u32 v1, v0, s0, 2
	v_lshlrev_b32_e32 v0, 5, v0
	s_lshl_b32 s3, s0, 2
	s_lshl_b32 s4, s0, 5
.LBB91_32:                              ; =>This Inner Loop Header: Depth=1
	s_delay_alu instid0(VALU_DEP_1) | instskip(NEXT) | instid1(VALU_DEP_1)
	v_add_co_u32 v23, s0, s18, v0
	v_add_co_ci_u32_e64 v24, null, s19, 0, s0
	v_add_co_u32 v7, s0, s20, v0
	s_delay_alu instid0(VALU_DEP_1) | instskip(SKIP_1) | instid1(VALU_DEP_1)
	v_add_co_ci_u32_e64 v8, null, s21, 0, s0
	v_add_co_u32 v19, s0, s22, v0
	v_add_co_ci_u32_e64 v20, null, s23, 0, s0
	s_clause 0x1
	global_load_b128 v[3:6], v[7:8], off
	global_load_b128 v[7:10], v[7:8], off offset:16
	global_load_b128 v[11:14], v[19:20], off
	global_load_b128 v[15:18], v[23:24], off
	global_load_b128 v[19:22], v[19:20], off offset:16
	global_load_b128 v[23:26], v[23:24], off offset:16
	v_cmp_le_i64_e32 vcc_lo, s[8:9], v[1:2]
	v_cmp_lt_u64_e64 s0, 0xffff, v[1:2]
	v_add_co_u32 v27, s1, s24, v0
	s_delay_alu instid0(VALU_DEP_1) | instskip(SKIP_1) | instid1(VALU_DEP_4)
	v_add_co_ci_u32_e64 v28, null, s25, 0, s1
	v_add_co_u32 v1, s1, v1, s3
	s_or_b32 s0, vcc_lo, s0
	s_add_u32 s18, s18, s4
	s_addc_u32 s19, s19, 0
	s_add_u32 s24, s24, s4
	s_addc_u32 s25, s25, 0
	;; [unrolled: 2-line block ×3, first 2 shown]
	s_add_u32 s22, s22, s4
	v_add_co_ci_u32_e64 v2, s1, 0, v2, s1
	s_addc_u32 s23, s23, 0
	s_and_b32 s0, exec_lo, s0
	s_delay_alu instid0(SALU_CYCLE_1)
	s_or_b32 s2, s0, s2
	s_waitcnt vmcnt(5)
	v_mul_lo_u32 v4, v4, s6
	v_mul_lo_u32 v37, v3, s7
	v_mad_u64_u32 v[29:30], null, v3, s6, 0
	v_mul_lo_u32 v6, v6, s6
	v_mul_lo_u32 v38, v5, s7
	v_mad_u64_u32 v[31:32], null, v5, s6, 0
	s_waitcnt vmcnt(4)
	v_mul_lo_u32 v8, v8, s6
	v_mul_lo_u32 v39, v7, s7
	v_mad_u64_u32 v[33:34], null, v7, s6, 0
	v_mul_lo_u32 v10, v10, s6
	v_mul_lo_u32 v40, v9, s7
	v_mad_u64_u32 v[35:36], null, v9, s6, 0
	v_add3_u32 v30, v30, v37, v4
	s_waitcnt vmcnt(2)
	v_mad_u64_u32 v[3:4], null, v29, v11, v[15:16]
	v_add3_u32 v15, v32, v38, v6
	v_mad_u64_u32 v[5:6], null, v31, v13, v[17:18]
	v_add3_u32 v16, v34, v39, v8
	v_add3_u32 v18, v36, v40, v10
	v_mul_lo_u32 v12, v29, v12
	v_mul_lo_u32 v14, v31, v14
	;; [unrolled: 1-line block ×4, first 2 shown]
	s_waitcnt vmcnt(1)
	v_mul_lo_u32 v17, v33, v20
	s_waitcnt vmcnt(0)
	v_mad_u64_u32 v[7:8], null, v33, v19, v[23:24]
	v_mul_lo_u32 v20, v35, v22
	v_mad_u64_u32 v[9:10], null, v35, v21, v[25:26]
	v_mul_lo_u32 v15, v16, v19
	v_mul_lo_u32 v16, v18, v21
	v_add3_u32 v4, v11, v4, v12
	v_add3_u32 v6, v13, v6, v14
	s_delay_alu instid0(VALU_DEP_4) | instskip(NEXT) | instid1(VALU_DEP_4)
	v_add3_u32 v8, v15, v8, v17
	v_add3_u32 v10, v16, v10, v20
	s_clause 0x1
	global_store_b128 v[27:28], v[3:6], off
	global_store_b128 v[27:28], v[7:10], off offset:16
	s_and_not1_b32 exec_lo, exec_lo, s2
	s_cbranch_execnz .LBB91_32
.LBB91_33:
	s_nop 0
	s_sendmsg sendmsg(MSG_DEALLOC_VGPRS)
	s_endpgm
	.section	.rodata,"a",@progbits
	.p2align	6, 0x0
	.amdhsa_kernel _ZN2at6native12_GLOBAL__N_125multi_tensor_apply_kernelINS1_28TensorListScalarListMetadataIlLi4EEENS1_28PointwiseOpScalarListFunctorIlLi4ELi3ELi3EEEJSt10multipliesIlEEEEvT_T0_DpT1_
		.amdhsa_group_segment_fixed_size 0
		.amdhsa_private_segment_fixed_size 0
		.amdhsa_kernarg_size 3592
		.amdhsa_user_sgpr_count 15
		.amdhsa_user_sgpr_dispatch_ptr 0
		.amdhsa_user_sgpr_queue_ptr 0
		.amdhsa_user_sgpr_kernarg_segment_ptr 1
		.amdhsa_user_sgpr_dispatch_id 0
		.amdhsa_user_sgpr_private_segment_size 0
		.amdhsa_wavefront_size32 1
		.amdhsa_uses_dynamic_stack 0
		.amdhsa_enable_private_segment 0
		.amdhsa_system_sgpr_workgroup_id_x 1
		.amdhsa_system_sgpr_workgroup_id_y 0
		.amdhsa_system_sgpr_workgroup_id_z 0
		.amdhsa_system_sgpr_workgroup_info 0
		.amdhsa_system_vgpr_workitem_id 0
		.amdhsa_next_free_vgpr 66
		.amdhsa_next_free_sgpr 30
		.amdhsa_reserve_vcc 1
		.amdhsa_float_round_mode_32 0
		.amdhsa_float_round_mode_16_64 0
		.amdhsa_float_denorm_mode_32 3
		.amdhsa_float_denorm_mode_16_64 3
		.amdhsa_dx10_clamp 1
		.amdhsa_ieee_mode 1
		.amdhsa_fp16_overflow 0
		.amdhsa_workgroup_processor_mode 1
		.amdhsa_memory_ordered 1
		.amdhsa_forward_progress 0
		.amdhsa_shared_vgpr_count 0
		.amdhsa_exception_fp_ieee_invalid_op 0
		.amdhsa_exception_fp_denorm_src 0
		.amdhsa_exception_fp_ieee_div_zero 0
		.amdhsa_exception_fp_ieee_overflow 0
		.amdhsa_exception_fp_ieee_underflow 0
		.amdhsa_exception_fp_ieee_inexact 0
		.amdhsa_exception_int_div_zero 0
	.end_amdhsa_kernel
	.section	.text._ZN2at6native12_GLOBAL__N_125multi_tensor_apply_kernelINS1_28TensorListScalarListMetadataIlLi4EEENS1_28PointwiseOpScalarListFunctorIlLi4ELi3ELi3EEEJSt10multipliesIlEEEEvT_T0_DpT1_,"axG",@progbits,_ZN2at6native12_GLOBAL__N_125multi_tensor_apply_kernelINS1_28TensorListScalarListMetadataIlLi4EEENS1_28PointwiseOpScalarListFunctorIlLi4ELi3ELi3EEEJSt10multipliesIlEEEEvT_T0_DpT1_,comdat
.Lfunc_end91:
	.size	_ZN2at6native12_GLOBAL__N_125multi_tensor_apply_kernelINS1_28TensorListScalarListMetadataIlLi4EEENS1_28PointwiseOpScalarListFunctorIlLi4ELi3ELi3EEEJSt10multipliesIlEEEEvT_T0_DpT1_, .Lfunc_end91-_ZN2at6native12_GLOBAL__N_125multi_tensor_apply_kernelINS1_28TensorListScalarListMetadataIlLi4EEENS1_28PointwiseOpScalarListFunctorIlLi4ELi3ELi3EEEJSt10multipliesIlEEEEvT_T0_DpT1_
                                        ; -- End function
	.section	.AMDGPU.csdata,"",@progbits
; Kernel info:
; codeLenInByte = 2696
; NumSgprs: 32
; NumVgprs: 66
; ScratchSize: 0
; MemoryBound: 0
; FloatMode: 240
; IeeeMode: 1
; LDSByteSize: 0 bytes/workgroup (compile time only)
; SGPRBlocks: 3
; VGPRBlocks: 8
; NumSGPRsForWavesPerEU: 32
; NumVGPRsForWavesPerEU: 66
; Occupancy: 16
; WaveLimiterHint : 1
; COMPUTE_PGM_RSRC2:SCRATCH_EN: 0
; COMPUTE_PGM_RSRC2:USER_SGPR: 15
; COMPUTE_PGM_RSRC2:TRAP_HANDLER: 0
; COMPUTE_PGM_RSRC2:TGID_X_EN: 1
; COMPUTE_PGM_RSRC2:TGID_Y_EN: 0
; COMPUTE_PGM_RSRC2:TGID_Z_EN: 0
; COMPUTE_PGM_RSRC2:TIDIG_COMP_CNT: 0
	.section	.text._ZN2at6native12_GLOBAL__N_125multi_tensor_apply_kernelINS1_28TensorListScalarListMetadataIsLi4EEENS1_28PointwiseOpScalarListFunctorIsLi4ELi3ELi3EEEJSt10multipliesIsEEEEvT_T0_DpT1_,"axG",@progbits,_ZN2at6native12_GLOBAL__N_125multi_tensor_apply_kernelINS1_28TensorListScalarListMetadataIsLi4EEENS1_28PointwiseOpScalarListFunctorIsLi4ELi3ELi3EEEJSt10multipliesIsEEEEvT_T0_DpT1_,comdat
	.globl	_ZN2at6native12_GLOBAL__N_125multi_tensor_apply_kernelINS1_28TensorListScalarListMetadataIsLi4EEENS1_28PointwiseOpScalarListFunctorIsLi4ELi3ELi3EEEJSt10multipliesIsEEEEvT_T0_DpT1_ ; -- Begin function _ZN2at6native12_GLOBAL__N_125multi_tensor_apply_kernelINS1_28TensorListScalarListMetadataIsLi4EEENS1_28PointwiseOpScalarListFunctorIsLi4ELi3ELi3EEEJSt10multipliesIsEEEEvT_T0_DpT1_
	.p2align	8
	.type	_ZN2at6native12_GLOBAL__N_125multi_tensor_apply_kernelINS1_28TensorListScalarListMetadataIsLi4EEENS1_28PointwiseOpScalarListFunctorIsLi4ELi3ELi3EEEJSt10multipliesIsEEEEvT_T0_DpT1_,@function
_ZN2at6native12_GLOBAL__N_125multi_tensor_apply_kernelINS1_28TensorListScalarListMetadataIsLi4EEENS1_28PointwiseOpScalarListFunctorIsLi4ELi3ELi3EEEJSt10multipliesIsEEEEvT_T0_DpT1_: ; @_ZN2at6native12_GLOBAL__N_125multi_tensor_apply_kernelINS1_28TensorListScalarListMetadataIsLi4EEENS1_28PointwiseOpScalarListFunctorIsLi4ELi3ELi3EEEJSt10multipliesIsEEEEvT_T0_DpT1_
; %bb.0:
	v_mov_b32_e32 v1, s15
	s_add_u32 s2, s0, s15
	s_mul_i32 s3, s15, 3
	s_mul_hi_u32 s4, s15, 3
	s_addc_u32 s5, s1, 0
	global_load_u8 v1, v1, s[0:1] offset:1512
	s_add_u32 s2, s2, s3
	s_addc_u32 s3, s5, s4
	s_mov_b32 s19, 0
	s_load_b32 s2, s[2:3], 0x728
	s_waitcnt vmcnt(0)
	v_readfirstlane_b32 s3, v1
	v_mul_lo_u32 v2, v1, -6
	v_mul_hi_i32 v3, v1, -6
	s_delay_alu instid0(VALU_DEP_3) | instskip(SKIP_4) | instid1(VALU_DEP_2)
	s_lshl_b32 s12, s3, 3
	s_waitcnt lgkmcnt(0)
	s_ashr_i32 s3, s2, 31
	s_add_u32 s6, s0, s12
	s_addc_u32 s7, s1, 0
	v_add_co_u32 v1, vcc_lo, s6, v2
	s_delay_alu instid0(VALU_DEP_2)
	v_add_co_ci_u32_e32 v2, vcc_lo, s7, v3, vcc_lo
	s_load_b64 s[4:5], s[0:1], s12 offset:0x480
	s_lshl_b64 s[16:17], s[2:3], 17
	global_load_u16 v3, v[1:2], off offset:1440
	s_clause 0x3
	s_load_b64 s[6:7], s[0:1], s12 offset:0x120
	s_load_b64 s[8:9], s[0:1], s12 offset:0x0
	s_load_b64 s[10:11], s[0:1], s12 offset:0x240
	s_load_b64 s[12:13], s[0:1], s12 offset:0x360
	s_waitcnt lgkmcnt(0)
	s_add_u32 s14, s6, s16
	s_and_b32 s20, s8, 7
	s_and_b32 s18, s14, 7
	s_delay_alu instid0(SALU_CYCLE_1) | instskip(SKIP_2) | instid1(SALU_CYCLE_1)
	s_cmp_eq_u64 s[18:19], 0
	s_cselect_b32 s14, -1, 0
	s_add_u32 s15, s10, s16
	s_or_b32 s15, s12, s15
	s_delay_alu instid0(SALU_CYCLE_1) | instskip(NEXT) | instid1(SALU_CYCLE_1)
	s_and_b32 s15, s15, 7
	s_cmp_eq_u32 s15, 0
	s_cselect_b32 s15, -1, 0
	s_lshl_b64 s[2:3], s[2:3], 16
	s_and_b32 s21, s15, s14
	s_sub_u32 s14, s4, s2
	s_subb_u32 s15, s5, s3
	s_and_b32 s2, s4, 3
	s_delay_alu instid0(SALU_CYCLE_1) | instskip(NEXT) | instid1(SALU_CYCLE_1)
	s_or_b32 s18, s20, s2
	s_cmp_eq_u64 s[18:19], 0
	s_cselect_b32 s2, -1, 0
	s_delay_alu instid0(SALU_CYCLE_1) | instskip(NEXT) | instid1(SALU_CYCLE_1)
	s_and_b32 s2, s21, s2
	s_and_b32 vcc_lo, exec_lo, s2
	s_mov_b32 s2, -1
	s_cbranch_vccnz .LBB92_29
; %bb.1:
	v_cmp_lt_i64_e64 s2, s[14:15], 1
	s_delay_alu instid0(VALU_DEP_1)
	s_and_b32 vcc_lo, exec_lo, s2
	s_cbranch_vccnz .LBB92_28
; %bb.2:
	s_load_b32 s2, s[0:1], 0xc3c
	v_dual_mov_b32 v19, 0 :: v_dual_lshlrev_b32 v18, 1, v0
	v_cmp_gt_u64_e64 s3, 0x10000, s[14:15]
	s_mov_b64 s[20:21], 0
	s_delay_alu instid0(VALU_DEP_2) | instskip(NEXT) | instid1(VALU_DEP_1)
	v_add_co_u32 v1, s4, s8, v18
	v_add_co_ci_u32_e64 v2, null, s9, 0, s4
	v_add_co_u32 v4, s4, s6, v18
	s_delay_alu instid0(VALU_DEP_1) | instskip(SKIP_1) | instid1(VALU_DEP_1)
	v_add_co_ci_u32_e64 v5, null, s7, 0, s4
	v_add_co_u32 v6, s4, s10, v18
	v_add_co_ci_u32_e64 v7, null, s11, 0, s4
	v_add_co_u32 v8, s4, s12, v18
	s_waitcnt lgkmcnt(0)
	s_and_b32 s2, s2, 0xffff
	s_and_b32 s3, s3, exec_lo
	v_mad_u64_u32 v[16:17], null, s2, 6, v[18:19]
	v_add_co_ci_u32_e64 v9, null, s13, 0, s4
	s_cselect_b32 s19, s15, 0
	s_cselect_b32 s18, s14, 0x10000
	s_mul_i32 s4, s2, 3
	s_lshl_b32 s22, s2, 2
	s_delay_alu instid0(VALU_DEP_2) | instskip(NEXT) | instid1(VALU_DEP_3)
	v_add_co_u32 v10, vcc_lo, s8, v16
	v_add_co_ci_u32_e32 v11, vcc_lo, s9, v17, vcc_lo
	v_add_co_u32 v12, vcc_lo, s6, v16
	v_add_co_u32 v27, s5, s22, v18
	v_add_co_u32 v18, s4, s4, v0
	v_add_co_ci_u32_e32 v13, vcc_lo, s7, v17, vcc_lo
	v_add_co_ci_u32_e64 v19, null, 0, 0, s4
	v_add_co_u32 v26, s4, v0, s2
	v_add_co_u32 v14, vcc_lo, s10, v16
	v_add_co_ci_u32_e32 v15, vcc_lo, s11, v17, vcc_lo
	v_add_co_u32 v16, vcc_lo, s12, v16
	v_add_co_ci_u32_e64 v28, null, 0, 0, s5
	v_lshlrev_b32_e32 v38, 1, v26
	s_lshl_b32 s3, s2, 1
	v_add_co_ci_u32_e32 v17, vcc_lo, s13, v17, vcc_lo
	v_add_co_u32 v20, vcc_lo, s8, v27
	v_add_co_u32 v30, s3, s3, v0
	v_add_co_ci_u32_e32 v21, vcc_lo, s9, v28, vcc_lo
	v_add_co_u32 v22, vcc_lo, s6, v27
	v_add_co_ci_u32_e64 v31, null, 0, 0, s3
	v_add_co_u32 v32, s3, s8, v38
	v_add_co_ci_u32_e32 v23, vcc_lo, s7, v28, vcc_lo
	v_add_co_ci_u32_e64 v33, null, s9, 0, s3
	v_add_co_u32 v34, s3, s6, v38
	v_add_co_u32 v24, vcc_lo, s10, v27
	v_add_co_ci_u32_e64 v35, null, s7, 0, s3
	v_add_co_u32 v36, s3, s10, v38
	v_add_co_ci_u32_e32 v25, vcc_lo, s11, v28, vcc_lo
	v_add_co_u32 v27, vcc_lo, s12, v27
	v_add_co_ci_u32_e64 v37, null, s11, 0, s3
	v_add_co_u32 v38, s3, s12, v38
	v_add_co_ci_u32_e32 v28, vcc_lo, s13, v28, vcc_lo
	v_add_co_ci_u32_e64 v29, null, 0, 0, s4
	v_add_co_ci_u32_e64 v39, null, s13, 0, s3
	s_lshl_b32 s23, s2, 3
	s_branch .LBB92_4
.LBB92_3:                               ;   in Loop: Header=BB92_4 Depth=1
	s_or_b32 exec_lo, exec_lo, s2
	v_add_co_u32 v1, vcc_lo, v1, s23
	v_add_co_ci_u32_e32 v2, vcc_lo, 0, v2, vcc_lo
	v_add_co_u32 v4, vcc_lo, v4, s23
	v_add_co_ci_u32_e32 v5, vcc_lo, 0, v5, vcc_lo
	;; [unrolled: 2-line block ×13, first 2 shown]
	s_add_u32 s20, s20, s22
	v_add_co_u32 v34, vcc_lo, v34, s23
	s_addc_u32 s21, s21, 0
	v_add_co_ci_u32_e32 v35, vcc_lo, 0, v35, vcc_lo
	v_cmp_lt_i64_e64 s2, s[20:21], s[14:15]
	v_cmp_gt_u64_e64 s3, 0x10000, s[20:21]
	v_add_co_u32 v36, vcc_lo, v36, s23
	v_add_co_ci_u32_e32 v37, vcc_lo, 0, v37, vcc_lo
	v_add_co_u32 v38, vcc_lo, v38, s23
	v_add_co_ci_u32_e32 v39, vcc_lo, 0, v39, vcc_lo
	s_and_b32 s2, s2, s3
	s_delay_alu instid0(SALU_CYCLE_1)
	s_and_b32 vcc_lo, exec_lo, s2
	s_cbranch_vccz .LBB92_28
.LBB92_4:                               ; =>This Inner Loop Header: Depth=1
	s_waitcnt vmcnt(1)
	v_add_co_u32 v40, s2, v0, s20
	s_waitcnt vmcnt(0)
	v_add_co_ci_u32_e64 v41, null, 0, s21, s2
	s_delay_alu instid0(VALU_DEP_1)
	v_cmp_gt_u64_e32 vcc_lo, s[18:19], v[40:41]
	v_dual_mov_b32 v40, 0 :: v_dual_mov_b32 v41, 0
	s_and_saveexec_b32 s3, vcc_lo
	s_cbranch_execz .LBB92_6
; %bb.5:                                ;   in Loop: Header=BB92_4 Depth=1
	v_add_co_u32 v40, s2, v1, s16
	s_delay_alu instid0(VALU_DEP_1) | instskip(SKIP_1) | instid1(VALU_DEP_1)
	v_add_co_ci_u32_e64 v41, s2, s17, v2, s2
	v_add_co_u32 v42, s2, v4, s16
	v_add_co_ci_u32_e64 v43, s2, s17, v5, s2
	global_load_u16 v40, v[40:41], off
	global_load_u16 v41, v[42:43], off
.LBB92_6:                               ;   in Loop: Header=BB92_4 Depth=1
	s_or_b32 exec_lo, exec_lo, s3
	v_dual_mov_b32 v42, 0 :: v_dual_mov_b32 v43, 0
	s_and_saveexec_b32 s3, vcc_lo
	s_cbranch_execz .LBB92_8
; %bb.7:                                ;   in Loop: Header=BB92_4 Depth=1
	v_add_co_u32 v43, s2, v6, s16
	s_delay_alu instid0(VALU_DEP_1)
	v_add_co_ci_u32_e64 v44, s2, s17, v7, s2
	global_load_u16 v43, v[43:44], off
.LBB92_8:                               ;   in Loop: Header=BB92_4 Depth=1
	s_or_b32 exec_lo, exec_lo, s3
	v_add_co_u32 v44, s2, v26, s20
	s_delay_alu instid0(VALU_DEP_1) | instskip(NEXT) | instid1(VALU_DEP_1)
	v_add_co_ci_u32_e64 v45, s2, s21, v29, s2
	v_cmp_gt_u64_e64 s2, s[18:19], v[44:45]
	v_mov_b32_e32 v44, 0
	s_delay_alu instid0(VALU_DEP_2)
	s_and_saveexec_b32 s4, s2
	s_cbranch_execz .LBB92_10
; %bb.9:                                ;   in Loop: Header=BB92_4 Depth=1
	v_add_co_u32 v44, s3, v32, s16
	s_delay_alu instid0(VALU_DEP_1) | instskip(SKIP_1) | instid1(VALU_DEP_1)
	v_add_co_ci_u32_e64 v45, s3, s17, v33, s3
	v_add_co_u32 v46, s3, v34, s16
	v_add_co_ci_u32_e64 v47, s3, s17, v35, s3
	global_load_u16 v42, v[44:45], off
	global_load_u16 v44, v[46:47], off
.LBB92_10:                              ;   in Loop: Header=BB92_4 Depth=1
	s_or_b32 exec_lo, exec_lo, s4
	v_dual_mov_b32 v45, 0 :: v_dual_mov_b32 v46, 0
	s_and_saveexec_b32 s4, s2
	s_cbranch_execz .LBB92_12
; %bb.11:                               ;   in Loop: Header=BB92_4 Depth=1
	v_add_co_u32 v46, s3, v36, s16
	s_delay_alu instid0(VALU_DEP_1)
	v_add_co_ci_u32_e64 v47, s3, s17, v37, s3
	global_load_u16 v46, v[46:47], off
.LBB92_12:                              ;   in Loop: Header=BB92_4 Depth=1
	s_or_b32 exec_lo, exec_lo, s4
	v_add_co_u32 v47, s3, v30, s20
	s_delay_alu instid0(VALU_DEP_1) | instskip(NEXT) | instid1(VALU_DEP_1)
	v_add_co_ci_u32_e64 v48, s3, s21, v31, s3
	v_cmp_gt_u64_e64 s3, s[18:19], v[47:48]
	v_mov_b32_e32 v47, 0
	s_delay_alu instid0(VALU_DEP_2)
	s_and_saveexec_b32 s5, s3
	s_cbranch_execz .LBB92_14
; %bb.13:                               ;   in Loop: Header=BB92_4 Depth=1
	v_add_co_u32 v47, s4, v20, s16
	s_delay_alu instid0(VALU_DEP_1) | instskip(SKIP_1) | instid1(VALU_DEP_1)
	v_add_co_ci_u32_e64 v48, s4, s17, v21, s4
	v_add_co_u32 v49, s4, v22, s16
	v_add_co_ci_u32_e64 v50, s4, s17, v23, s4
	global_load_u16 v45, v[47:48], off
	global_load_u16 v47, v[49:50], off
.LBB92_14:                              ;   in Loop: Header=BB92_4 Depth=1
	s_or_b32 exec_lo, exec_lo, s5
	v_dual_mov_b32 v48, 0 :: v_dual_mov_b32 v49, 0
	s_and_saveexec_b32 s5, s3
	s_cbranch_execz .LBB92_16
; %bb.15:                               ;   in Loop: Header=BB92_4 Depth=1
	v_add_co_u32 v49, s4, v24, s16
	s_delay_alu instid0(VALU_DEP_1)
	v_add_co_ci_u32_e64 v50, s4, s17, v25, s4
	global_load_u16 v49, v[49:50], off
.LBB92_16:                              ;   in Loop: Header=BB92_4 Depth=1
	s_or_b32 exec_lo, exec_lo, s5
	v_add_co_u32 v50, s4, v18, s20
	s_delay_alu instid0(VALU_DEP_1) | instskip(NEXT) | instid1(VALU_DEP_1)
	v_add_co_ci_u32_e64 v51, s4, s21, v19, s4
	v_cmp_gt_u64_e64 s4, s[18:19], v[50:51]
	v_mov_b32_e32 v50, 0
	s_delay_alu instid0(VALU_DEP_2)
	s_and_saveexec_b32 s24, s4
	s_cbranch_execnz .LBB92_22
; %bb.17:                               ;   in Loop: Header=BB92_4 Depth=1
	s_or_b32 exec_lo, exec_lo, s24
	v_mov_b32_e32 v51, 0
	s_and_saveexec_b32 s24, s4
	s_cbranch_execnz .LBB92_23
.LBB92_18:                              ;   in Loop: Header=BB92_4 Depth=1
	s_or_b32 exec_lo, exec_lo, s24
	s_and_saveexec_b32 s5, vcc_lo
	s_cbranch_execnz .LBB92_24
.LBB92_19:                              ;   in Loop: Header=BB92_4 Depth=1
	s_or_b32 exec_lo, exec_lo, s5
	s_and_saveexec_b32 s5, s2
	s_cbranch_execnz .LBB92_25
.LBB92_20:                              ;   in Loop: Header=BB92_4 Depth=1
	s_or_b32 exec_lo, exec_lo, s5
	s_and_saveexec_b32 s2, s3
	s_cbranch_execnz .LBB92_26
.LBB92_21:                              ;   in Loop: Header=BB92_4 Depth=1
	s_or_b32 exec_lo, exec_lo, s2
	s_and_saveexec_b32 s2, s4
	s_cbranch_execz .LBB92_3
	s_branch .LBB92_27
.LBB92_22:                              ;   in Loop: Header=BB92_4 Depth=1
	v_add_co_u32 v50, s5, v10, s16
	s_delay_alu instid0(VALU_DEP_1) | instskip(SKIP_1) | instid1(VALU_DEP_1)
	v_add_co_ci_u32_e64 v51, s5, s17, v11, s5
	v_add_co_u32 v52, s5, v12, s16
	v_add_co_ci_u32_e64 v53, s5, s17, v13, s5
	global_load_u16 v48, v[50:51], off
	global_load_u16 v50, v[52:53], off
	s_or_b32 exec_lo, exec_lo, s24
	v_mov_b32_e32 v51, 0
	s_and_saveexec_b32 s24, s4
	s_cbranch_execz .LBB92_18
.LBB92_23:                              ;   in Loop: Header=BB92_4 Depth=1
	v_add_co_u32 v51, s5, v14, s16
	s_delay_alu instid0(VALU_DEP_1)
	v_add_co_ci_u32_e64 v52, s5, s17, v15, s5
	global_load_u16 v51, v[51:52], off
	s_or_b32 exec_lo, exec_lo, s24
	s_and_saveexec_b32 s5, vcc_lo
	s_cbranch_execz .LBB92_19
.LBB92_24:                              ;   in Loop: Header=BB92_4 Depth=1
	s_waitcnt vmcnt(0)
	v_mul_lo_u16 v41, v41, v3
	s_delay_alu instid0(VALU_DEP_1)
	v_mad_u16 v43, v41, v43, v40
	v_add_co_u32 v40, vcc_lo, v8, s16
	v_add_co_ci_u32_e32 v41, vcc_lo, s17, v9, vcc_lo
	global_store_b16 v[40:41], v43, off
	s_or_b32 exec_lo, exec_lo, s5
	s_and_saveexec_b32 s5, s2
	s_cbranch_execz .LBB92_20
.LBB92_25:                              ;   in Loop: Header=BB92_4 Depth=1
	s_waitcnt vmcnt(0)
	v_mul_lo_u16 v40, v44, v3
	s_delay_alu instid0(VALU_DEP_1)
	v_mad_u16 v42, v40, v46, v42
	v_add_co_u32 v40, vcc_lo, v38, s16
	v_add_co_ci_u32_e32 v41, vcc_lo, s17, v39, vcc_lo
	global_store_b16 v[40:41], v42, off
	s_or_b32 exec_lo, exec_lo, s5
	s_and_saveexec_b32 s2, s3
	s_cbranch_execz .LBB92_21
.LBB92_26:                              ;   in Loop: Header=BB92_4 Depth=1
	s_waitcnt vmcnt(0)
	v_mul_lo_u16 v40, v47, v3
	s_delay_alu instid0(VALU_DEP_1)
	v_mad_u16 v42, v40, v49, v45
	v_add_co_u32 v40, vcc_lo, v27, s16
	v_add_co_ci_u32_e32 v41, vcc_lo, s17, v28, vcc_lo
	global_store_b16 v[40:41], v42, off
	s_or_b32 exec_lo, exec_lo, s2
	s_and_saveexec_b32 s2, s4
	s_cbranch_execz .LBB92_3
.LBB92_27:                              ;   in Loop: Header=BB92_4 Depth=1
	s_waitcnt vmcnt(0)
	v_mul_lo_u16 v40, v50, v3
	s_delay_alu instid0(VALU_DEP_1)
	v_mad_u16 v42, v40, v51, v48
	v_add_co_u32 v40, vcc_lo, v16, s16
	v_add_co_ci_u32_e32 v41, vcc_lo, s17, v17, vcc_lo
	global_store_b16 v[40:41], v42, off
	s_branch .LBB92_3
.LBB92_28:
	s_mov_b32 s2, 0
.LBB92_29:
	s_delay_alu instid0(SALU_CYCLE_1)
	s_and_not1_b32 vcc_lo, exec_lo, s2
	s_cbranch_vccnz .LBB92_33
; %bb.30:
	v_dual_mov_b32 v2, 0 :: v_dual_lshlrev_b32 v1, 2, v0
	s_mov_b32 s2, 0
	s_mov_b32 s3, exec_lo
	s_delay_alu instid0(VALU_DEP_1)
	v_cmpx_gt_i64_e64 s[14:15], v[1:2]
	s_cbranch_execz .LBB92_33
; %bb.31:
	s_load_b32 s0, s[0:1], 0xc3c
	v_lshlrev_b32_e32 v1, 3, v0
	s_delay_alu instid0(VALU_DEP_1) | instskip(NEXT) | instid1(VALU_DEP_1)
	v_add_co_u32 v4, s1, s16, v1
	v_add_co_ci_u32_e64 v5, null, s17, 0, s1
	s_waitcnt lgkmcnt(0)
	s_and_b32 s0, s0, 0xffff
	s_delay_alu instid0(SALU_CYCLE_1)
	v_add_lshl_u32 v1, v0, s0, 2
	s_lshl_b32 s3, s0, 3
	s_lshl_b32 s4, s0, 2
.LBB92_32:                              ; =>This Inner Loop Header: Depth=1
	v_add_co_u32 v6, vcc_lo, s8, v4
	v_add_co_ci_u32_e32 v7, vcc_lo, s9, v5, vcc_lo
	v_add_co_u32 v8, vcc_lo, s6, v4
	v_add_co_ci_u32_e32 v9, vcc_lo, s7, v5, vcc_lo
	;; [unrolled: 2-line block ×3, first 2 shown]
	global_load_b64 v[8:9], v[8:9], off
	global_load_b64 v[6:7], v[6:7], off
	global_load_b64 v[10:11], v[10:11], off
	v_add_co_u32 v12, vcc_lo, s12, v4
	v_add_co_ci_u32_e32 v13, vcc_lo, s13, v5, vcc_lo
	v_cmp_le_i64_e32 vcc_lo, s[14:15], v[1:2]
	v_cmp_lt_u64_e64 s0, 0xffff, v[1:2]
	v_add_co_u32 v4, s1, v4, s3
	s_delay_alu instid0(VALU_DEP_1) | instskip(SKIP_1) | instid1(VALU_DEP_4)
	v_add_co_ci_u32_e64 v5, s1, 0, v5, s1
	v_add_co_u32 v1, s1, v1, s4
	s_or_b32 s0, vcc_lo, s0
	v_add_co_ci_u32_e64 v2, s1, 0, v2, s1
	s_and_b32 s0, exec_lo, s0
	s_delay_alu instid0(SALU_CYCLE_1)
	s_or_b32 s2, s0, s2
	s_waitcnt vmcnt(2)
	v_mul_lo_u16 v0, v3, v8
	v_lshrrev_b32_e32 v8, 16, v8
	s_waitcnt vmcnt(1)
	v_lshrrev_b32_e32 v14, 16, v6
	s_waitcnt vmcnt(0)
	v_lshrrev_b32_e32 v15, 16, v10
	v_mul_lo_u16 v16, v3, v9
	v_lshrrev_b32_e32 v9, 16, v9
	v_mul_lo_u16 v8, v3, v8
	v_lshrrev_b32_e32 v17, 16, v7
	v_lshrrev_b32_e32 v18, 16, v11
	v_mad_u16 v0, v0, v10, v6
	v_mul_lo_u16 v6, v3, v9
	v_mad_u16 v8, v8, v15, v14
	v_mad_u16 v7, v16, v11, v7
	s_delay_alu instid0(VALU_DEP_4) | instskip(NEXT) | instid1(VALU_DEP_4)
	v_and_b32_e32 v0, 0xffff, v0
	v_mad_u16 v6, v6, v18, v17
	s_delay_alu instid0(VALU_DEP_4) | instskip(NEXT) | instid1(VALU_DEP_4)
	v_lshlrev_b32_e32 v8, 16, v8
	v_and_b32_e32 v7, 0xffff, v7
	s_delay_alu instid0(VALU_DEP_3) | instskip(NEXT) | instid1(VALU_DEP_3)
	v_lshlrev_b32_e32 v6, 16, v6
	v_or_b32_e32 v0, v8, v0
	s_delay_alu instid0(VALU_DEP_2) | instskip(NEXT) | instid1(VALU_DEP_2)
	v_or3_b32 v7, 0, v7, v6
	v_or3_b32 v6, v0, 0, 0
	global_store_b64 v[12:13], v[6:7], off
	s_and_not1_b32 exec_lo, exec_lo, s2
	s_cbranch_execnz .LBB92_32
.LBB92_33:
	s_nop 0
	s_sendmsg sendmsg(MSG_DEALLOC_VGPRS)
	s_endpgm
	.section	.rodata,"a",@progbits
	.p2align	6, 0x0
	.amdhsa_kernel _ZN2at6native12_GLOBAL__N_125multi_tensor_apply_kernelINS1_28TensorListScalarListMetadataIsLi4EEENS1_28PointwiseOpScalarListFunctorIsLi4ELi3ELi3EEEJSt10multipliesIsEEEEvT_T0_DpT1_
		.amdhsa_group_segment_fixed_size 0
		.amdhsa_private_segment_fixed_size 0
		.amdhsa_kernarg_size 3376
		.amdhsa_user_sgpr_count 15
		.amdhsa_user_sgpr_dispatch_ptr 0
		.amdhsa_user_sgpr_queue_ptr 0
		.amdhsa_user_sgpr_kernarg_segment_ptr 1
		.amdhsa_user_sgpr_dispatch_id 0
		.amdhsa_user_sgpr_private_segment_size 0
		.amdhsa_wavefront_size32 1
		.amdhsa_uses_dynamic_stack 0
		.amdhsa_enable_private_segment 0
		.amdhsa_system_sgpr_workgroup_id_x 1
		.amdhsa_system_sgpr_workgroup_id_y 0
		.amdhsa_system_sgpr_workgroup_id_z 0
		.amdhsa_system_sgpr_workgroup_info 0
		.amdhsa_system_vgpr_workitem_id 0
		.amdhsa_next_free_vgpr 54
		.amdhsa_next_free_sgpr 25
		.amdhsa_reserve_vcc 1
		.amdhsa_float_round_mode_32 0
		.amdhsa_float_round_mode_16_64 0
		.amdhsa_float_denorm_mode_32 3
		.amdhsa_float_denorm_mode_16_64 3
		.amdhsa_dx10_clamp 1
		.amdhsa_ieee_mode 1
		.amdhsa_fp16_overflow 0
		.amdhsa_workgroup_processor_mode 1
		.amdhsa_memory_ordered 1
		.amdhsa_forward_progress 0
		.amdhsa_shared_vgpr_count 0
		.amdhsa_exception_fp_ieee_invalid_op 0
		.amdhsa_exception_fp_denorm_src 0
		.amdhsa_exception_fp_ieee_div_zero 0
		.amdhsa_exception_fp_ieee_overflow 0
		.amdhsa_exception_fp_ieee_underflow 0
		.amdhsa_exception_fp_ieee_inexact 0
		.amdhsa_exception_int_div_zero 0
	.end_amdhsa_kernel
	.section	.text._ZN2at6native12_GLOBAL__N_125multi_tensor_apply_kernelINS1_28TensorListScalarListMetadataIsLi4EEENS1_28PointwiseOpScalarListFunctorIsLi4ELi3ELi3EEEJSt10multipliesIsEEEEvT_T0_DpT1_,"axG",@progbits,_ZN2at6native12_GLOBAL__N_125multi_tensor_apply_kernelINS1_28TensorListScalarListMetadataIsLi4EEENS1_28PointwiseOpScalarListFunctorIsLi4ELi3ELi3EEEJSt10multipliesIsEEEEvT_T0_DpT1_,comdat
.Lfunc_end92:
	.size	_ZN2at6native12_GLOBAL__N_125multi_tensor_apply_kernelINS1_28TensorListScalarListMetadataIsLi4EEENS1_28PointwiseOpScalarListFunctorIsLi4ELi3ELi3EEEJSt10multipliesIsEEEEvT_T0_DpT1_, .Lfunc_end92-_ZN2at6native12_GLOBAL__N_125multi_tensor_apply_kernelINS1_28TensorListScalarListMetadataIsLi4EEENS1_28PointwiseOpScalarListFunctorIsLi4ELi3ELi3EEEJSt10multipliesIsEEEEvT_T0_DpT1_
                                        ; -- End function
	.section	.AMDGPU.csdata,"",@progbits
; Kernel info:
; codeLenInByte = 2252
; NumSgprs: 27
; NumVgprs: 54
; ScratchSize: 0
; MemoryBound: 0
; FloatMode: 240
; IeeeMode: 1
; LDSByteSize: 0 bytes/workgroup (compile time only)
; SGPRBlocks: 3
; VGPRBlocks: 6
; NumSGPRsForWavesPerEU: 27
; NumVGPRsForWavesPerEU: 54
; Occupancy: 16
; WaveLimiterHint : 0
; COMPUTE_PGM_RSRC2:SCRATCH_EN: 0
; COMPUTE_PGM_RSRC2:USER_SGPR: 15
; COMPUTE_PGM_RSRC2:TRAP_HANDLER: 0
; COMPUTE_PGM_RSRC2:TGID_X_EN: 1
; COMPUTE_PGM_RSRC2:TGID_Y_EN: 0
; COMPUTE_PGM_RSRC2:TGID_Z_EN: 0
; COMPUTE_PGM_RSRC2:TIDIG_COMP_CNT: 0
	.section	.text._ZN2at6native12_GLOBAL__N_125multi_tensor_apply_kernelINS1_28TensorListScalarListMetadataIdLi4EEENS1_28PointwiseOpScalarListFunctorIdLi4ELi3ELi3EEEJSt10multipliesIdEEEEvT_T0_DpT1_,"axG",@progbits,_ZN2at6native12_GLOBAL__N_125multi_tensor_apply_kernelINS1_28TensorListScalarListMetadataIdLi4EEENS1_28PointwiseOpScalarListFunctorIdLi4ELi3ELi3EEEJSt10multipliesIdEEEEvT_T0_DpT1_,comdat
	.globl	_ZN2at6native12_GLOBAL__N_125multi_tensor_apply_kernelINS1_28TensorListScalarListMetadataIdLi4EEENS1_28PointwiseOpScalarListFunctorIdLi4ELi3ELi3EEEJSt10multipliesIdEEEEvT_T0_DpT1_ ; -- Begin function _ZN2at6native12_GLOBAL__N_125multi_tensor_apply_kernelINS1_28TensorListScalarListMetadataIdLi4EEENS1_28PointwiseOpScalarListFunctorIdLi4ELi3ELi3EEEJSt10multipliesIdEEEEvT_T0_DpT1_
	.p2align	8
	.type	_ZN2at6native12_GLOBAL__N_125multi_tensor_apply_kernelINS1_28TensorListScalarListMetadataIdLi4EEENS1_28PointwiseOpScalarListFunctorIdLi4ELi3ELi3EEEJSt10multipliesIdEEEEvT_T0_DpT1_,@function
_ZN2at6native12_GLOBAL__N_125multi_tensor_apply_kernelINS1_28TensorListScalarListMetadataIdLi4EEENS1_28PointwiseOpScalarListFunctorIdLi4ELi3ELi3EEEJSt10multipliesIdEEEEvT_T0_DpT1_: ; @_ZN2at6native12_GLOBAL__N_125multi_tensor_apply_kernelINS1_28TensorListScalarListMetadataIdLi4EEENS1_28PointwiseOpScalarListFunctorIdLi4ELi3ELi3EEEJSt10multipliesIdEEEEvT_T0_DpT1_
; %bb.0:
	v_mov_b32_e32 v1, s15
	s_add_u32 s2, s0, s15
	s_mul_hi_u32 s3, s15, 3
	s_mul_i32 s15, s15, 3
	s_addc_u32 s4, s1, 0
	global_load_u8 v1, v1, s[0:1] offset:1728
	s_add_u32 s2, s2, s15
	s_addc_u32 s3, s4, s3
	s_mov_b32 s27, 0
	s_load_b32 s8, s[2:3], 0x800
	s_mov_b32 s23, s27
	s_waitcnt lgkmcnt(0)
	s_ashr_i32 s9, s8, 31
	s_delay_alu instid0(SALU_CYCLE_1) | instskip(SKIP_2) | instid1(VALU_DEP_1)
	s_lshl_b64 s[10:11], s[8:9], 19
	s_waitcnt vmcnt(0)
	v_readfirstlane_b32 s5, v1
	s_lshl_b32 s6, s5, 3
	s_clause 0x5
	s_load_b64 s[2:3], s[0:1], s6 offset:0x0
	s_load_b64 s[4:5], s[0:1], s6 offset:0x120
	;; [unrolled: 1-line block ×6, first 2 shown]
	s_waitcnt lgkmcnt(0)
	s_add_u32 s18, s2, s10
	s_addc_u32 s19, s3, s11
	s_and_b32 s26, s18, 31
	s_add_u32 s20, s4, s10
	s_addc_u32 s21, s5, s11
	s_and_b32 s22, s20, 31
	s_delay_alu instid0(SALU_CYCLE_1)
	s_cmp_eq_u64 s[22:23], 0
	s_cselect_b32 s28, -1, 0
	s_add_u32 s22, s14, s10
	s_addc_u32 s23, s15, s11
	s_add_u32 s24, s16, s10
	s_addc_u32 s25, s17, s11
	s_or_b32 s29, s24, s22
	s_delay_alu instid0(SALU_CYCLE_1) | instskip(NEXT) | instid1(SALU_CYCLE_1)
	s_and_b32 s29, s29, 31
	s_cmp_eq_u32 s29, 0
	s_cselect_b32 s29, -1, 0
	s_lshl_b64 s[8:9], s[8:9], 16
	s_and_b32 s28, s29, s28
	s_sub_u32 s8, s12, s8
	s_subb_u32 s9, s13, s9
	s_and_b32 s12, s12, 3
	s_mov_b32 s13, s27
	s_delay_alu instid0(SALU_CYCLE_1) | instskip(NEXT) | instid1(SALU_CYCLE_1)
	s_or_b64 s[12:13], s[26:27], s[12:13]
	s_cmp_eq_u64 s[12:13], 0
	s_cselect_b32 s12, -1, 0
	s_delay_alu instid0(SALU_CYCLE_1) | instskip(NEXT) | instid1(SALU_CYCLE_1)
	s_and_b32 s12, s28, s12
	s_and_b32 vcc_lo, exec_lo, s12
	s_mov_b32 s12, -1
	s_cbranch_vccnz .LBB93_45
; %bb.1:
	v_cmp_lt_i64_e64 s12, s[8:9], 1
	s_delay_alu instid0(VALU_DEP_1)
	s_and_b32 vcc_lo, exec_lo, s12
	s_cbranch_vccnz .LBB93_44
; %bb.2:
	s_load_b32 s12, s[0:1], 0xd14
	v_dual_mov_b32 v2, 0 :: v_dual_lshlrev_b32 v1, 3, v0
	v_cmp_gt_u64_e64 s13, 0x10000, s[8:9]
	v_cmp_neq_f64_e64 s26, s[6:7], 1.0
	s_delay_alu instid0(VALU_DEP_3) | instskip(NEXT) | instid1(VALU_DEP_1)
	v_add_co_u32 v27, s27, s2, v1
	v_add_co_ci_u32_e64 v28, null, s3, 0, s27
	v_add_co_u32 v29, s27, s4, v1
	s_delay_alu instid0(VALU_DEP_1) | instskip(SKIP_1) | instid1(VALU_DEP_1)
	v_add_co_ci_u32_e64 v30, null, s5, 0, s27
	v_add_co_u32 v31, s27, s14, v1
	v_add_co_ci_u32_e64 v32, null, s15, 0, s27
	s_waitcnt lgkmcnt(0)
	s_and_b32 s27, s12, 0xffff
	v_add_co_u32 v33, s12, s16, v1
	v_mad_u64_u32 v[3:4], null, s27, 24, v[1:2]
	v_add_co_ci_u32_e64 v34, null, s17, 0, s12
	s_and_b32 s12, s13, exec_lo
	s_cselect_b32 s13, s9, 0
	s_cselect_b32 s12, s8, 0x10000
	s_lshl_b32 s30, s27, 4
	s_delay_alu instid0(VALU_DEP_2) | instskip(NEXT) | instid1(VALU_DEP_3)
	v_add_co_u32 v35, vcc_lo, s2, v3
	v_add_co_ci_u32_e32 v36, vcc_lo, s3, v4, vcc_lo
	v_add_co_u32 v37, vcc_lo, s4, v3
	v_add_co_ci_u32_e32 v38, vcc_lo, s5, v4, vcc_lo
	v_add_co_u32 v39, vcc_lo, s14, v3
	v_add_co_u32 v1, s30, s30, v1
	v_add_co_ci_u32_e32 v40, vcc_lo, s15, v4, vcc_lo
	v_add_co_u32 v41, vcc_lo, s16, v3
	v_add_co_ci_u32_e64 v2, null, 0, 0, s30
	v_add_co_ci_u32_e32 v42, vcc_lo, s17, v4, vcc_lo
	s_mul_i32 s29, s27, 3
	v_add_co_u32 v45, vcc_lo, s2, v1
	v_add_co_u32 v43, s29, s29, v0
	v_add_co_ci_u32_e32 v46, vcc_lo, s3, v2, vcc_lo
	v_add_co_u32 v47, vcc_lo, s4, v1
	v_add_co_ci_u32_e64 v44, null, 0, 0, s29
	v_add_co_u32 v51, s29, v0, s27
	v_add_co_ci_u32_e32 v48, vcc_lo, s5, v2, vcc_lo
	v_add_co_u32 v49, vcc_lo, s14, v1
	v_add_co_ci_u32_e32 v50, vcc_lo, s15, v2, vcc_lo
	v_add_co_u32 v52, vcc_lo, s16, v1
	v_lshlrev_b32_e32 v1, 3, v51
	s_lshl_b32 s28, s27, 1
	v_add_co_ci_u32_e32 v53, vcc_lo, s17, v2, vcc_lo
	v_add_co_u32 v55, s28, s28, v0
	s_delay_alu instid0(VALU_DEP_3) | instskip(NEXT) | instid1(VALU_DEP_1)
	v_add_co_u32 v57, s2, s2, v1
	v_add_co_ci_u32_e64 v58, null, s3, 0, s2
	v_add_co_u32 v59, s2, s4, v1
	s_delay_alu instid0(VALU_DEP_1) | instskip(SKIP_1) | instid1(VALU_DEP_1)
	v_add_co_ci_u32_e64 v60, null, s5, 0, s2
	v_add_co_u32 v61, s2, s14, v1
	v_add_co_ci_u32_e64 v62, null, s15, 0, s2
	v_add_co_u32 v63, s2, s16, v1
	v_add_co_ci_u32_e64 v54, null, 0, 0, s29
	v_add_co_ci_u32_e64 v56, null, 0, 0, s28
	;; [unrolled: 1-line block ×3, first 2 shown]
	s_lshl_b32 s16, s27, 2
	s_lshl_b32 s17, s27, 5
	s_mov_b64 s[14:15], 0
	s_branch .LBB93_4
.LBB93_3:                               ;   in Loop: Header=BB93_4 Depth=1
	s_or_b32 exec_lo, exec_lo, s2
	v_add_co_u32 v27, vcc_lo, v27, s17
	v_add_co_ci_u32_e32 v28, vcc_lo, 0, v28, vcc_lo
	v_add_co_u32 v29, vcc_lo, v29, s17
	v_add_co_ci_u32_e32 v30, vcc_lo, 0, v30, vcc_lo
	;; [unrolled: 2-line block ×13, first 2 shown]
	s_add_u32 s14, s14, s16
	v_add_co_u32 v59, vcc_lo, v59, s17
	s_addc_u32 s15, s15, 0
	v_add_co_ci_u32_e32 v60, vcc_lo, 0, v60, vcc_lo
	v_cmp_ge_i64_e64 s2, s[14:15], s[8:9]
	v_cmp_lt_u64_e64 s3, 0xffff, s[14:15]
	v_add_co_u32 v61, vcc_lo, v61, s17
	v_add_co_ci_u32_e32 v62, vcc_lo, 0, v62, vcc_lo
	v_add_co_u32 v63, vcc_lo, v63, s17
	v_add_co_ci_u32_e32 v64, vcc_lo, 0, v64, vcc_lo
	s_or_b32 s2, s2, s3
	s_delay_alu instid0(SALU_CYCLE_1)
	s_and_b32 vcc_lo, exec_lo, s2
	s_cbranch_vccnz .LBB93_44
.LBB93_4:                               ; =>This Inner Loop Header: Depth=1
	s_waitcnt vmcnt(1)
	v_add_co_u32 v3, s2, v0, s14
	s_delay_alu instid0(VALU_DEP_1) | instskip(SKIP_3) | instid1(VALU_DEP_3)
	v_add_co_ci_u32_e64 v4, null, 0, s15, s2
	s_waitcnt vmcnt(0)
	v_mov_b32_e32 v1, 0
	v_mov_b32_e32 v2, 0
	v_cmp_gt_u64_e64 s2, s[12:13], v[3:4]
	s_delay_alu instid0(VALU_DEP_2) | instskip(SKIP_1) | instid1(VALU_DEP_3)
	v_dual_mov_b32 v4, v2 :: v_dual_mov_b32 v3, v1
	v_dual_mov_b32 v6, v2 :: v_dual_mov_b32 v5, v1
	s_and_saveexec_b32 s3, s2
	s_cbranch_execz .LBB93_6
; %bb.5:                                ;   in Loop: Header=BB93_4 Depth=1
	v_add_co_u32 v3, vcc_lo, v27, s10
	v_add_co_ci_u32_e32 v4, vcc_lo, s11, v28, vcc_lo
	v_add_co_u32 v5, vcc_lo, v29, s10
	v_add_co_ci_u32_e32 v6, vcc_lo, s11, v30, vcc_lo
	global_load_b64 v[3:4], v[3:4], off
	global_load_b64 v[5:6], v[5:6], off
.LBB93_6:                               ;   in Loop: Header=BB93_4 Depth=1
	s_or_b32 exec_lo, exec_lo, s3
	s_and_saveexec_b32 s3, s2
	s_cbranch_execz .LBB93_8
; %bb.7:                                ;   in Loop: Header=BB93_4 Depth=1
	v_add_co_u32 v1, vcc_lo, v31, s10
	v_add_co_ci_u32_e32 v2, vcc_lo, s11, v32, vcc_lo
	global_load_b64 v[1:2], v[1:2], off
.LBB93_8:                               ;   in Loop: Header=BB93_4 Depth=1
	s_or_b32 exec_lo, exec_lo, s3
	v_add_co_u32 v9, vcc_lo, v51, s14
	v_add_co_ci_u32_e32 v10, vcc_lo, s15, v54, vcc_lo
	v_mov_b32_e32 v7, 0
	v_mov_b32_e32 v8, 0
	s_delay_alu instid0(VALU_DEP_3) | instskip(NEXT) | instid1(VALU_DEP_2)
	v_cmp_gt_u64_e64 s3, s[12:13], v[9:10]
	v_dual_mov_b32 v10, v8 :: v_dual_mov_b32 v9, v7
	v_dual_mov_b32 v12, v8 :: v_dual_mov_b32 v11, v7
	s_delay_alu instid0(VALU_DEP_3)
	s_and_saveexec_b32 s4, s3
	s_cbranch_execz .LBB93_10
; %bb.9:                                ;   in Loop: Header=BB93_4 Depth=1
	v_add_co_u32 v9, vcc_lo, v57, s10
	v_add_co_ci_u32_e32 v10, vcc_lo, s11, v58, vcc_lo
	v_add_co_u32 v11, vcc_lo, v59, s10
	v_add_co_ci_u32_e32 v12, vcc_lo, s11, v60, vcc_lo
	global_load_b64 v[9:10], v[9:10], off
	global_load_b64 v[11:12], v[11:12], off
.LBB93_10:                              ;   in Loop: Header=BB93_4 Depth=1
	s_or_b32 exec_lo, exec_lo, s4
	s_and_saveexec_b32 s4, s3
	s_cbranch_execz .LBB93_12
; %bb.11:                               ;   in Loop: Header=BB93_4 Depth=1
	v_add_co_u32 v7, vcc_lo, v61, s10
	v_add_co_ci_u32_e32 v8, vcc_lo, s11, v62, vcc_lo
	global_load_b64 v[7:8], v[7:8], off
.LBB93_12:                              ;   in Loop: Header=BB93_4 Depth=1
	s_or_b32 exec_lo, exec_lo, s4
	v_add_co_u32 v15, vcc_lo, v55, s14
	v_add_co_ci_u32_e32 v16, vcc_lo, s15, v56, vcc_lo
	v_mov_b32_e32 v13, 0
	v_mov_b32_e32 v14, 0
	s_delay_alu instid0(VALU_DEP_3) | instskip(NEXT) | instid1(VALU_DEP_2)
	v_cmp_gt_u64_e64 s4, s[12:13], v[15:16]
	v_dual_mov_b32 v16, v14 :: v_dual_mov_b32 v15, v13
	v_dual_mov_b32 v18, v14 :: v_dual_mov_b32 v17, v13
	s_delay_alu instid0(VALU_DEP_3)
	s_and_saveexec_b32 s5, s4
	s_cbranch_execz .LBB93_14
; %bb.13:                               ;   in Loop: Header=BB93_4 Depth=1
	v_add_co_u32 v15, vcc_lo, v45, s10
	v_add_co_ci_u32_e32 v16, vcc_lo, s11, v46, vcc_lo
	v_add_co_u32 v17, vcc_lo, v47, s10
	v_add_co_ci_u32_e32 v18, vcc_lo, s11, v48, vcc_lo
	global_load_b64 v[15:16], v[15:16], off
	global_load_b64 v[17:18], v[17:18], off
.LBB93_14:                              ;   in Loop: Header=BB93_4 Depth=1
	s_or_b32 exec_lo, exec_lo, s5
	s_and_saveexec_b32 s5, s4
	s_cbranch_execz .LBB93_16
; %bb.15:                               ;   in Loop: Header=BB93_4 Depth=1
	v_add_co_u32 v13, vcc_lo, v49, s10
	v_add_co_ci_u32_e32 v14, vcc_lo, s11, v50, vcc_lo
	global_load_b64 v[13:14], v[13:14], off
.LBB93_16:                              ;   in Loop: Header=BB93_4 Depth=1
	s_or_b32 exec_lo, exec_lo, s5
	v_add_co_u32 v21, vcc_lo, v43, s14
	v_add_co_ci_u32_e32 v22, vcc_lo, s15, v44, vcc_lo
	v_mov_b32_e32 v19, 0
	v_mov_b32_e32 v20, 0
	s_delay_alu instid0(VALU_DEP_3) | instskip(NEXT) | instid1(VALU_DEP_2)
	v_cmp_gt_u64_e64 s5, s[12:13], v[21:22]
	v_dual_mov_b32 v22, v20 :: v_dual_mov_b32 v21, v19
	v_dual_mov_b32 v24, v20 :: v_dual_mov_b32 v23, v19
	s_delay_alu instid0(VALU_DEP_3)
	s_and_saveexec_b32 s27, s5
	s_cbranch_execnz .LBB93_34
; %bb.17:                               ;   in Loop: Header=BB93_4 Depth=1
	s_or_b32 exec_lo, exec_lo, s27
	s_and_saveexec_b32 s27, s5
	s_cbranch_execnz .LBB93_35
.LBB93_18:                              ;   in Loop: Header=BB93_4 Depth=1
	s_or_b32 exec_lo, exec_lo, s27
	s_delay_alu instid0(SALU_CYCLE_1)
	s_and_b32 vcc_lo, exec_lo, s26
	s_cbranch_vccz .LBB93_36
.LBB93_19:                              ;   in Loop: Header=BB93_4 Depth=1
	s_waitcnt vmcnt(0)
	v_mul_f64 v[25:26], v[5:6], v[1:2]
	s_delay_alu instid0(VALU_DEP_1)
	v_fma_f64 v[25:26], s[6:7], v[25:26], v[3:4]
	s_cbranch_execnz .LBB93_21
.LBB93_20:                              ;   in Loop: Header=BB93_4 Depth=1
	s_waitcnt vmcnt(0)
	v_fma_f64 v[25:26], v[5:6], v[1:2], v[3:4]
.LBB93_21:                              ;   in Loop: Header=BB93_4 Depth=1
	s_and_not1_b32 vcc_lo, exec_lo, s26
	s_cbranch_vccnz .LBB93_41
; %bb.22:                               ;   in Loop: Header=BB93_4 Depth=1
	s_waitcnt vmcnt(0)
	v_mul_f64 v[1:2], v[11:12], v[7:8]
	s_delay_alu instid0(VALU_DEP_1)
	v_fma_f64 v[1:2], s[6:7], v[1:2], v[9:10]
	s_cbranch_execnz .LBB93_24
.LBB93_23:                              ;   in Loop: Header=BB93_4 Depth=1
	s_waitcnt vmcnt(0)
	v_fma_f64 v[1:2], v[11:12], v[7:8], v[9:10]
.LBB93_24:                              ;   in Loop: Header=BB93_4 Depth=1
	s_and_not1_b32 vcc_lo, exec_lo, s26
	s_cbranch_vccnz .LBB93_42
; %bb.25:                               ;   in Loop: Header=BB93_4 Depth=1
	s_waitcnt vmcnt(0)
	v_mul_f64 v[3:4], v[17:18], v[13:14]
	s_delay_alu instid0(VALU_DEP_1)
	v_fma_f64 v[3:4], s[6:7], v[3:4], v[15:16]
	s_cbranch_execnz .LBB93_27
.LBB93_26:                              ;   in Loop: Header=BB93_4 Depth=1
	s_waitcnt vmcnt(0)
	v_fma_f64 v[3:4], v[17:18], v[13:14], v[15:16]
.LBB93_27:                              ;   in Loop: Header=BB93_4 Depth=1
	s_and_not1_b32 vcc_lo, exec_lo, s26
	s_cbranch_vccnz .LBB93_43
; %bb.28:                               ;   in Loop: Header=BB93_4 Depth=1
	s_waitcnt vmcnt(0)
	v_mul_f64 v[5:6], v[23:24], v[19:20]
	s_delay_alu instid0(VALU_DEP_1)
	v_fma_f64 v[5:6], s[6:7], v[5:6], v[21:22]
	s_cbranch_execnz .LBB93_30
.LBB93_29:                              ;   in Loop: Header=BB93_4 Depth=1
	s_waitcnt vmcnt(0)
	v_fma_f64 v[5:6], v[23:24], v[19:20], v[21:22]
.LBB93_30:                              ;   in Loop: Header=BB93_4 Depth=1
	s_and_saveexec_b32 s27, s2
	s_delay_alu instid0(SALU_CYCLE_1)
	s_xor_b32 s2, exec_lo, s27
	s_cbranch_execnz .LBB93_37
; %bb.31:                               ;   in Loop: Header=BB93_4 Depth=1
	s_or_b32 exec_lo, exec_lo, s2
	s_and_saveexec_b32 s2, s3
	s_cbranch_execnz .LBB93_38
.LBB93_32:                              ;   in Loop: Header=BB93_4 Depth=1
	s_or_b32 exec_lo, exec_lo, s2
	s_and_saveexec_b32 s2, s4
	s_cbranch_execnz .LBB93_39
.LBB93_33:                              ;   in Loop: Header=BB93_4 Depth=1
	s_or_b32 exec_lo, exec_lo, s2
	s_and_saveexec_b32 s2, s5
	s_cbranch_execz .LBB93_3
	s_branch .LBB93_40
.LBB93_34:                              ;   in Loop: Header=BB93_4 Depth=1
	v_add_co_u32 v21, vcc_lo, v35, s10
	v_add_co_ci_u32_e32 v22, vcc_lo, s11, v36, vcc_lo
	v_add_co_u32 v23, vcc_lo, v37, s10
	v_add_co_ci_u32_e32 v24, vcc_lo, s11, v38, vcc_lo
	global_load_b64 v[21:22], v[21:22], off
	global_load_b64 v[23:24], v[23:24], off
	s_or_b32 exec_lo, exec_lo, s27
	s_and_saveexec_b32 s27, s5
	s_cbranch_execz .LBB93_18
.LBB93_35:                              ;   in Loop: Header=BB93_4 Depth=1
	v_add_co_u32 v19, vcc_lo, v39, s10
	v_add_co_ci_u32_e32 v20, vcc_lo, s11, v40, vcc_lo
	global_load_b64 v[19:20], v[19:20], off
	s_or_b32 exec_lo, exec_lo, s27
	s_delay_alu instid0(SALU_CYCLE_1)
	s_and_b32 vcc_lo, exec_lo, s26
	s_cbranch_vccnz .LBB93_19
.LBB93_36:                              ;   in Loop: Header=BB93_4 Depth=1
                                        ; implicit-def: $vgpr25_vgpr26
	s_branch .LBB93_20
.LBB93_37:                              ;   in Loop: Header=BB93_4 Depth=1
	s_waitcnt vmcnt(0)
	v_add_co_u32 v7, vcc_lo, v33, s10
	v_add_co_ci_u32_e32 v8, vcc_lo, s11, v34, vcc_lo
	global_store_b64 v[7:8], v[25:26], off
	s_or_b32 exec_lo, exec_lo, s2
	s_and_saveexec_b32 s2, s3
	s_cbranch_execz .LBB93_32
.LBB93_38:                              ;   in Loop: Header=BB93_4 Depth=1
	s_waitcnt vmcnt(0)
	v_add_co_u32 v7, vcc_lo, v63, s10
	v_add_co_ci_u32_e32 v8, vcc_lo, s11, v64, vcc_lo
	global_store_b64 v[7:8], v[1:2], off
	s_or_b32 exec_lo, exec_lo, s2
	s_and_saveexec_b32 s2, s4
	s_cbranch_execz .LBB93_33
.LBB93_39:                              ;   in Loop: Header=BB93_4 Depth=1
	s_waitcnt vmcnt(0)
	v_add_co_u32 v1, vcc_lo, v52, s10
	v_add_co_ci_u32_e32 v2, vcc_lo, s11, v53, vcc_lo
	global_store_b64 v[1:2], v[3:4], off
	s_or_b32 exec_lo, exec_lo, s2
	s_and_saveexec_b32 s2, s5
	s_cbranch_execz .LBB93_3
.LBB93_40:                              ;   in Loop: Header=BB93_4 Depth=1
	s_waitcnt vmcnt(0)
	v_add_co_u32 v1, vcc_lo, v41, s10
	v_add_co_ci_u32_e32 v2, vcc_lo, s11, v42, vcc_lo
	global_store_b64 v[1:2], v[5:6], off
	s_branch .LBB93_3
.LBB93_41:                              ;   in Loop: Header=BB93_4 Depth=1
                                        ; implicit-def: $vgpr1_vgpr2
	s_branch .LBB93_23
.LBB93_42:                              ;   in Loop: Header=BB93_4 Depth=1
                                        ; implicit-def: $vgpr3_vgpr4
	s_branch .LBB93_26
.LBB93_43:                              ;   in Loop: Header=BB93_4 Depth=1
                                        ; implicit-def: $vgpr5_vgpr6
	s_branch .LBB93_29
.LBB93_44:
	s_mov_b32 s12, 0
.LBB93_45:
	s_delay_alu instid0(SALU_CYCLE_1)
	s_and_not1_b32 vcc_lo, exec_lo, s12
	s_cbranch_vccnz .LBB93_65
; %bb.46:
	v_dual_mov_b32 v29, 0 :: v_dual_lshlrev_b32 v28, 2, v0
	s_mov_b32 s2, 0
	s_mov_b32 s3, exec_lo
	s_delay_alu instid0(VALU_DEP_1)
	v_cmpx_gt_i64_e64 s[8:9], v[28:29]
	s_cbranch_execz .LBB93_65
; %bb.47:
	s_load_b32 s0, s[0:1], 0xd14
	v_cmp_neq_f64_e64 s1, s[6:7], 1.0
	v_lshlrev_b32_e32 v30, 5, v0
	s_waitcnt lgkmcnt(0)
	s_and_b32 s0, s0, 0xffff
	s_delay_alu instid0(SALU_CYCLE_1)
	v_add_lshl_u32 v28, v0, s0, 2
	s_lshl_b32 s3, s0, 2
	s_lshl_b32 s4, s0, 5
	s_branch .LBB93_49
.LBB93_48:                              ;   in Loop: Header=BB93_49 Depth=1
	v_cmp_le_i64_e32 vcc_lo, s[8:9], v[28:29]
	v_cmp_lt_u64_e64 s0, 0xffff, v[28:29]
	s_waitcnt vmcnt(5)
	v_add_co_u32 v4, s5, s24, v30
	s_delay_alu instid0(VALU_DEP_1)
	v_add_co_ci_u32_e64 v5, null, s25, 0, s5
	global_store_b128 v[4:5], v[0:3], off
	s_waitcnt vmcnt(4)
	global_store_b128 v[4:5], v[16:19], off offset:16
	s_or_b32 s0, vcc_lo, s0
	s_add_u32 s18, s18, s4
	s_addc_u32 s19, s19, 0
	s_add_u32 s24, s24, s4
	s_addc_u32 s25, s25, 0
	s_add_u32 s20, s20, s4
	v_add_co_u32 v28, vcc_lo, v28, s3
	s_addc_u32 s21, s21, 0
	s_add_u32 s22, s22, s4
	v_add_co_ci_u32_e32 v29, vcc_lo, 0, v29, vcc_lo
	s_addc_u32 s23, s23, 0
	s_and_b32 s0, exec_lo, s0
	s_delay_alu instid0(SALU_CYCLE_1) | instskip(NEXT) | instid1(SALU_CYCLE_1)
	s_or_b32 s2, s0, s2
	s_and_not1_b32 exec_lo, exec_lo, s2
	s_cbranch_execz .LBB93_65
.LBB93_49:                              ; =>This Inner Loop Header: Depth=1
	v_add_co_u32 v0, s0, s18, v30
	s_waitcnt vmcnt(0)
	v_add_co_ci_u32_e64 v1, null, s19, 0, s0
	v_add_co_u32 v2, s0, s20, v30
	s_delay_alu instid0(VALU_DEP_1) | instskip(SKIP_1) | instid1(VALU_DEP_1)
	v_add_co_ci_u32_e64 v3, null, s21, 0, s0
	v_add_co_u32 v24, s0, s22, v30
	v_add_co_ci_u32_e64 v25, null, s23, 0, s0
	s_clause 0x1
	global_load_b128 v[4:7], v[0:1], off offset:16
	global_load_b128 v[16:19], v[0:1], off
	s_clause 0x1
	global_load_b128 v[8:11], v[2:3], off offset:16
	global_load_b128 v[20:23], v[2:3], off
	;; [unrolled: 3-line block ×3, first 2 shown]
	s_and_b32 vcc_lo, exec_lo, s1
	s_cbranch_vccz .LBB93_60
; %bb.50:                               ;   in Loop: Header=BB93_49 Depth=1
	s_waitcnt vmcnt(0)
	v_mul_f64 v[0:1], v[20:21], v[24:25]
	s_delay_alu instid0(VALU_DEP_1)
	v_fma_f64 v[0:1], s[6:7], v[0:1], v[16:17]
	s_cbranch_execnz .LBB93_52
.LBB93_51:                              ;   in Loop: Header=BB93_49 Depth=1
	s_waitcnt vmcnt(0)
	v_fma_f64 v[0:1], v[20:21], v[24:25], v[16:17]
.LBB93_52:                              ;   in Loop: Header=BB93_49 Depth=1
	s_and_not1_b32 vcc_lo, exec_lo, s1
	s_cbranch_vccnz .LBB93_61
; %bb.53:                               ;   in Loop: Header=BB93_49 Depth=1
	s_waitcnt vmcnt(0)
	v_mul_f64 v[2:3], v[22:23], v[26:27]
	s_delay_alu instid0(VALU_DEP_1)
	v_fma_f64 v[2:3], s[6:7], v[2:3], v[18:19]
	s_cbranch_execnz .LBB93_55
.LBB93_54:                              ;   in Loop: Header=BB93_49 Depth=1
	s_waitcnt vmcnt(0)
	v_fma_f64 v[2:3], v[22:23], v[26:27], v[18:19]
.LBB93_55:                              ;   in Loop: Header=BB93_49 Depth=1
	s_and_not1_b32 vcc_lo, exec_lo, s1
	s_cbranch_vccnz .LBB93_62
; %bb.56:                               ;   in Loop: Header=BB93_49 Depth=1
	s_waitcnt vmcnt(1)
	v_mul_f64 v[16:17], v[8:9], v[12:13]
	s_delay_alu instid0(VALU_DEP_1)
	v_fma_f64 v[16:17], s[6:7], v[16:17], v[4:5]
	s_cbranch_execnz .LBB93_58
.LBB93_57:                              ;   in Loop: Header=BB93_49 Depth=1
	s_waitcnt vmcnt(1)
	v_fma_f64 v[16:17], v[8:9], v[12:13], v[4:5]
.LBB93_58:                              ;   in Loop: Header=BB93_49 Depth=1
	s_and_not1_b32 vcc_lo, exec_lo, s1
	s_cbranch_vccnz .LBB93_63
; %bb.59:                               ;   in Loop: Header=BB93_49 Depth=1
	s_waitcnt vmcnt(1)
	v_mul_f64 v[4:5], v[10:11], v[14:15]
	s_delay_alu instid0(VALU_DEP_1)
	v_fma_f64 v[18:19], s[6:7], v[4:5], v[6:7]
	s_cbranch_execnz .LBB93_48
	s_branch .LBB93_64
.LBB93_60:                              ;   in Loop: Header=BB93_49 Depth=1
                                        ; implicit-def: $vgpr0_vgpr1
	s_branch .LBB93_51
.LBB93_61:                              ;   in Loop: Header=BB93_49 Depth=1
	s_branch .LBB93_54
.LBB93_62:                              ;   in Loop: Header=BB93_49 Depth=1
                                        ; implicit-def: $vgpr16_vgpr17
	s_branch .LBB93_57
.LBB93_63:                              ;   in Loop: Header=BB93_49 Depth=1
.LBB93_64:                              ;   in Loop: Header=BB93_49 Depth=1
	s_waitcnt vmcnt(1)
	v_fma_f64 v[18:19], v[10:11], v[14:15], v[6:7]
	s_branch .LBB93_48
.LBB93_65:
	s_nop 0
	s_sendmsg sendmsg(MSG_DEALLOC_VGPRS)
	s_endpgm
	.section	.rodata,"a",@progbits
	.p2align	6, 0x0
	.amdhsa_kernel _ZN2at6native12_GLOBAL__N_125multi_tensor_apply_kernelINS1_28TensorListScalarListMetadataIdLi4EEENS1_28PointwiseOpScalarListFunctorIdLi4ELi3ELi3EEEJSt10multipliesIdEEEEvT_T0_DpT1_
		.amdhsa_group_segment_fixed_size 0
		.amdhsa_private_segment_fixed_size 0
		.amdhsa_kernarg_size 3592
		.amdhsa_user_sgpr_count 15
		.amdhsa_user_sgpr_dispatch_ptr 0
		.amdhsa_user_sgpr_queue_ptr 0
		.amdhsa_user_sgpr_kernarg_segment_ptr 1
		.amdhsa_user_sgpr_dispatch_id 0
		.amdhsa_user_sgpr_private_segment_size 0
		.amdhsa_wavefront_size32 1
		.amdhsa_uses_dynamic_stack 0
		.amdhsa_enable_private_segment 0
		.amdhsa_system_sgpr_workgroup_id_x 1
		.amdhsa_system_sgpr_workgroup_id_y 0
		.amdhsa_system_sgpr_workgroup_id_z 0
		.amdhsa_system_sgpr_workgroup_info 0
		.amdhsa_system_vgpr_workitem_id 0
		.amdhsa_next_free_vgpr 65
		.amdhsa_next_free_sgpr 31
		.amdhsa_reserve_vcc 1
		.amdhsa_float_round_mode_32 0
		.amdhsa_float_round_mode_16_64 0
		.amdhsa_float_denorm_mode_32 3
		.amdhsa_float_denorm_mode_16_64 3
		.amdhsa_dx10_clamp 1
		.amdhsa_ieee_mode 1
		.amdhsa_fp16_overflow 0
		.amdhsa_workgroup_processor_mode 1
		.amdhsa_memory_ordered 1
		.amdhsa_forward_progress 0
		.amdhsa_shared_vgpr_count 0
		.amdhsa_exception_fp_ieee_invalid_op 0
		.amdhsa_exception_fp_denorm_src 0
		.amdhsa_exception_fp_ieee_div_zero 0
		.amdhsa_exception_fp_ieee_overflow 0
		.amdhsa_exception_fp_ieee_underflow 0
		.amdhsa_exception_fp_ieee_inexact 0
		.amdhsa_exception_int_div_zero 0
	.end_amdhsa_kernel
	.section	.text._ZN2at6native12_GLOBAL__N_125multi_tensor_apply_kernelINS1_28TensorListScalarListMetadataIdLi4EEENS1_28PointwiseOpScalarListFunctorIdLi4ELi3ELi3EEEJSt10multipliesIdEEEEvT_T0_DpT1_,"axG",@progbits,_ZN2at6native12_GLOBAL__N_125multi_tensor_apply_kernelINS1_28TensorListScalarListMetadataIdLi4EEENS1_28PointwiseOpScalarListFunctorIdLi4ELi3ELi3EEEJSt10multipliesIdEEEEvT_T0_DpT1_,comdat
.Lfunc_end93:
	.size	_ZN2at6native12_GLOBAL__N_125multi_tensor_apply_kernelINS1_28TensorListScalarListMetadataIdLi4EEENS1_28PointwiseOpScalarListFunctorIdLi4ELi3ELi3EEEJSt10multipliesIdEEEEvT_T0_DpT1_, .Lfunc_end93-_ZN2at6native12_GLOBAL__N_125multi_tensor_apply_kernelINS1_28TensorListScalarListMetadataIdLi4EEENS1_28PointwiseOpScalarListFunctorIdLi4ELi3ELi3EEEJSt10multipliesIdEEEEvT_T0_DpT1_
                                        ; -- End function
	.section	.AMDGPU.csdata,"",@progbits
; Kernel info:
; codeLenInByte = 2500
; NumSgprs: 33
; NumVgprs: 65
; ScratchSize: 0
; MemoryBound: 1
; FloatMode: 240
; IeeeMode: 1
; LDSByteSize: 0 bytes/workgroup (compile time only)
; SGPRBlocks: 4
; VGPRBlocks: 8
; NumSGPRsForWavesPerEU: 33
; NumVGPRsForWavesPerEU: 65
; Occupancy: 16
; WaveLimiterHint : 1
; COMPUTE_PGM_RSRC2:SCRATCH_EN: 0
; COMPUTE_PGM_RSRC2:USER_SGPR: 15
; COMPUTE_PGM_RSRC2:TRAP_HANDLER: 0
; COMPUTE_PGM_RSRC2:TGID_X_EN: 1
; COMPUTE_PGM_RSRC2:TGID_Y_EN: 0
; COMPUTE_PGM_RSRC2:TGID_Z_EN: 0
; COMPUTE_PGM_RSRC2:TIDIG_COMP_CNT: 0
	.section	.text._ZN2at6native12_GLOBAL__N_125multi_tensor_apply_kernelINS1_28TensorListScalarListMetadataIfLi4EEENS1_28PointwiseOpScalarListFunctorIfLi4ELi3ELi3EEEJSt10multipliesIfEEEEvT_T0_DpT1_,"axG",@progbits,_ZN2at6native12_GLOBAL__N_125multi_tensor_apply_kernelINS1_28TensorListScalarListMetadataIfLi4EEENS1_28PointwiseOpScalarListFunctorIfLi4ELi3ELi3EEEJSt10multipliesIfEEEEvT_T0_DpT1_,comdat
	.globl	_ZN2at6native12_GLOBAL__N_125multi_tensor_apply_kernelINS1_28TensorListScalarListMetadataIfLi4EEENS1_28PointwiseOpScalarListFunctorIfLi4ELi3ELi3EEEJSt10multipliesIfEEEEvT_T0_DpT1_ ; -- Begin function _ZN2at6native12_GLOBAL__N_125multi_tensor_apply_kernelINS1_28TensorListScalarListMetadataIfLi4EEENS1_28PointwiseOpScalarListFunctorIfLi4ELi3ELi3EEEJSt10multipliesIfEEEEvT_T0_DpT1_
	.p2align	8
	.type	_ZN2at6native12_GLOBAL__N_125multi_tensor_apply_kernelINS1_28TensorListScalarListMetadataIfLi4EEENS1_28PointwiseOpScalarListFunctorIfLi4ELi3ELi3EEEJSt10multipliesIfEEEEvT_T0_DpT1_,@function
_ZN2at6native12_GLOBAL__N_125multi_tensor_apply_kernelINS1_28TensorListScalarListMetadataIfLi4EEENS1_28PointwiseOpScalarListFunctorIfLi4ELi3ELi3EEEJSt10multipliesIfEEEEvT_T0_DpT1_: ; @_ZN2at6native12_GLOBAL__N_125multi_tensor_apply_kernelINS1_28TensorListScalarListMetadataIfLi4EEENS1_28PointwiseOpScalarListFunctorIfLi4ELi3ELi3EEEJSt10multipliesIfEEEEvT_T0_DpT1_
; %bb.0:
	v_mov_b32_e32 v1, s15
	s_add_u32 s2, s0, s15
	s_mul_i32 s3, s15, 3
	s_mul_hi_u32 s4, s15, 3
	s_addc_u32 s5, s1, 0
	global_load_u8 v1, v1, s[0:1] offset:1584
	s_add_u32 s2, s2, s3
	s_addc_u32 s3, s5, s4
	s_mov_b32 s11, 0
	s_load_b32 s6, s[2:3], 0x770
	s_waitcnt lgkmcnt(0)
	s_ashr_i32 s7, s6, 31
	s_waitcnt vmcnt(0)
	v_readfirstlane_b32 s2, v1
	v_lshlrev_b32_e32 v1, 2, v1
	s_delay_alu instid0(VALU_DEP_2)
	s_lshl_b32 s8, s2, 3
	s_clause 0x1
	s_load_b64 s[2:3], s[0:1], s8 offset:0x0
	s_load_b64 s[4:5], s[0:1], s8 offset:0x120
	s_add_u32 s10, s0, s8
	s_addc_u32 s16, s1, 0
	v_sub_co_u32 v1, s10, s10, v1
	s_delay_alu instid0(VALU_DEP_1)
	v_sub_co_ci_u32_e64 v2, null, s16, 0, s10
	s_clause 0x2
	s_load_b64 s[26:27], s[0:1], s8 offset:0x480
	s_load_b64 s[14:15], s[0:1], s8 offset:0x240
	s_load_b64 s[12:13], s[0:1], s8 offset:0x360
	v_readfirstlane_b32 s24, v1
	v_readfirstlane_b32 s25, v2
	s_load_b32 s24, s[24:25], 0x5a0
	s_lshl_b64 s[8:9], s[6:7], 18
	s_waitcnt lgkmcnt(0)
	s_add_u32 s16, s2, s8
	s_addc_u32 s17, s3, s9
	s_and_b32 s28, s16, 15
	s_add_u32 s18, s4, s8
	s_addc_u32 s19, s5, s9
	s_and_b32 s10, s18, 15
	s_delay_alu instid0(SALU_CYCLE_1)
	s_cmp_eq_u64 s[10:11], 0
	s_cselect_b32 s10, -1, 0
	s_add_u32 s20, s14, s8
	s_addc_u32 s21, s15, s9
	s_add_u32 s22, s12, s8
	s_addc_u32 s23, s13, s9
	s_or_b32 s29, s22, s20
	s_delay_alu instid0(SALU_CYCLE_1) | instskip(NEXT) | instid1(SALU_CYCLE_1)
	s_and_b32 s29, s29, 15
	s_cmp_eq_u32 s29, 0
	s_cselect_b32 s25, -1, 0
	s_lshl_b64 s[6:7], s[6:7], 16
	s_and_b32 s25, s25, s10
	s_sub_u32 s6, s26, s6
	s_subb_u32 s7, s27, s7
	s_and_b32 s10, s26, 3
	s_delay_alu instid0(SALU_CYCLE_1) | instskip(NEXT) | instid1(SALU_CYCLE_1)
	s_or_b32 s10, s28, s10
	s_cmp_eq_u64 s[10:11], 0
	s_cselect_b32 s10, -1, 0
	s_delay_alu instid0(SALU_CYCLE_1) | instskip(NEXT) | instid1(SALU_CYCLE_1)
	s_and_b32 s10, s25, s10
	s_and_b32 vcc_lo, exec_lo, s10
	s_mov_b32 s10, -1
	s_cbranch_vccnz .LBB94_45
; %bb.1:
	v_cmp_lt_i64_e64 s10, s[6:7], 1
	s_delay_alu instid0(VALU_DEP_1)
	s_and_b32 vcc_lo, exec_lo, s10
	s_cbranch_vccnz .LBB94_44
; %bb.2:
	s_load_b32 s10, s[0:1], 0xc84
	v_dual_mov_b32 v18, 0 :: v_dual_lshlrev_b32 v17, 2, v0
	v_cmp_gt_u64_e64 s11, 0x10000, s[6:7]
	v_cmp_neq_f32_e64 s25, s24, 1.0
	s_delay_alu instid0(VALU_DEP_3) | instskip(NEXT) | instid1(VALU_DEP_1)
	v_add_co_u32 v1, s26, s2, v17
	v_add_co_ci_u32_e64 v2, null, s3, 0, s26
	v_add_co_u32 v3, s26, s4, v17
	s_delay_alu instid0(VALU_DEP_1) | instskip(SKIP_1) | instid1(VALU_DEP_1)
	v_add_co_ci_u32_e64 v4, null, s5, 0, s26
	v_add_co_u32 v5, s26, s14, v17
	v_add_co_ci_u32_e64 v6, null, s15, 0, s26
	s_waitcnt lgkmcnt(0)
	s_and_b32 s26, s10, 0xffff
	v_add_co_u32 v7, s10, s12, v17
	v_mad_u64_u32 v[15:16], null, s26, 12, v[17:18]
	v_add_co_ci_u32_e64 v8, null, s13, 0, s10
	s_and_b32 s10, s11, exec_lo
	s_cselect_b32 s11, s7, 0
	s_cselect_b32 s10, s6, 0x10000
	s_mul_i32 s28, s26, 3
	s_delay_alu instid0(VALU_DEP_2)
	v_add_co_u32 v9, vcc_lo, s2, v15
	s_lshl_b32 s29, s26, 3
	v_add_co_ci_u32_e32 v10, vcc_lo, s3, v16, vcc_lo
	v_add_co_u32 v11, vcc_lo, s4, v15
	v_add_co_u32 v26, s29, s29, v17
	v_add_co_u32 v17, s28, s28, v0
	v_add_co_ci_u32_e32 v12, vcc_lo, s5, v16, vcc_lo
	v_add_co_ci_u32_e64 v18, null, 0, 0, s28
	v_add_co_u32 v25, s28, v0, s26
	v_add_co_u32 v13, vcc_lo, s14, v15
	v_add_co_ci_u32_e32 v14, vcc_lo, s15, v16, vcc_lo
	v_add_co_u32 v15, vcc_lo, s12, v15
	v_add_co_ci_u32_e64 v27, null, 0, 0, s29
	v_lshlrev_b32_e32 v37, 2, v25
	v_add_co_ci_u32_e32 v16, vcc_lo, s13, v16, vcc_lo
	v_add_co_u32 v19, vcc_lo, s2, v26
	s_delay_alu instid0(VALU_DEP_4)
	v_add_co_ci_u32_e32 v20, vcc_lo, s3, v27, vcc_lo
	v_add_co_u32 v21, vcc_lo, s4, v26
	v_add_co_u32 v31, s2, s2, v37
	v_add_co_ci_u32_e32 v22, vcc_lo, s5, v27, vcc_lo
	v_add_co_ci_u32_e64 v32, null, s3, 0, s2
	v_add_co_u32 v33, s2, s4, v37
	v_add_co_u32 v23, vcc_lo, s14, v26
	s_lshl_b32 s27, s26, 1
	v_add_co_ci_u32_e64 v34, null, s5, 0, s2
	v_add_co_u32 v35, s2, s14, v37
	v_add_co_ci_u32_e32 v24, vcc_lo, s15, v27, vcc_lo
	v_add_co_u32 v26, vcc_lo, s12, v26
	v_add_co_u32 v29, s27, s27, v0
	v_add_co_ci_u32_e64 v36, null, s15, 0, s2
	v_add_co_u32 v37, s2, s12, v37
	v_add_co_ci_u32_e32 v27, vcc_lo, s13, v27, vcc_lo
	v_add_co_ci_u32_e64 v28, null, 0, 0, s28
	v_add_co_ci_u32_e64 v30, null, 0, 0, s27
	;; [unrolled: 1-line block ×3, first 2 shown]
	s_lshl_b32 s14, s26, 2
	s_lshl_b32 s15, s26, 4
	s_mov_b64 s[12:13], 0
	s_branch .LBB94_4
.LBB94_3:                               ;   in Loop: Header=BB94_4 Depth=1
	s_or_b32 exec_lo, exec_lo, s2
	v_add_co_u32 v1, vcc_lo, v1, s15
	v_add_co_ci_u32_e32 v2, vcc_lo, 0, v2, vcc_lo
	v_add_co_u32 v3, vcc_lo, v3, s15
	v_add_co_ci_u32_e32 v4, vcc_lo, 0, v4, vcc_lo
	;; [unrolled: 2-line block ×13, first 2 shown]
	s_add_u32 s12, s12, s14
	v_add_co_u32 v33, vcc_lo, v33, s15
	s_addc_u32 s13, s13, 0
	v_add_co_ci_u32_e32 v34, vcc_lo, 0, v34, vcc_lo
	v_cmp_ge_i64_e64 s2, s[12:13], s[6:7]
	v_cmp_lt_u64_e64 s3, 0xffff, s[12:13]
	v_add_co_u32 v35, vcc_lo, v35, s15
	v_add_co_ci_u32_e32 v36, vcc_lo, 0, v36, vcc_lo
	v_add_co_u32 v37, vcc_lo, v37, s15
	v_add_co_ci_u32_e32 v38, vcc_lo, 0, v38, vcc_lo
	s_or_b32 s2, s2, s3
	s_delay_alu instid0(SALU_CYCLE_1)
	s_and_b32 vcc_lo, exec_lo, s2
	s_cbranch_vccnz .LBB94_44
.LBB94_4:                               ; =>This Inner Loop Header: Depth=1
	s_waitcnt vmcnt(1)
	v_add_co_u32 v39, s2, v0, s12
	s_delay_alu instid0(VALU_DEP_1) | instskip(SKIP_2) | instid1(VALU_DEP_2)
	v_add_co_ci_u32_e64 v40, null, 0, s13, s2
	s_waitcnt vmcnt(0)
	v_mov_b32_e32 v41, 0
	v_cmp_gt_u64_e64 s2, s[10:11], v[39:40]
	v_mov_b32_e32 v40, 0
	s_delay_alu instid0(VALU_DEP_2)
	s_and_saveexec_b32 s3, s2
	s_cbranch_execz .LBB94_6
; %bb.5:                                ;   in Loop: Header=BB94_4 Depth=1
	v_add_co_u32 v39, vcc_lo, v1, s8
	v_add_co_ci_u32_e32 v40, vcc_lo, s9, v2, vcc_lo
	v_add_co_u32 v41, vcc_lo, v3, s8
	v_add_co_ci_u32_e32 v42, vcc_lo, s9, v4, vcc_lo
	global_load_b32 v40, v[39:40], off
	global_load_b32 v41, v[41:42], off
.LBB94_6:                               ;   in Loop: Header=BB94_4 Depth=1
	s_or_b32 exec_lo, exec_lo, s3
	v_dual_mov_b32 v39, 0 :: v_dual_mov_b32 v44, 0
	s_and_saveexec_b32 s3, s2
	s_cbranch_execz .LBB94_8
; %bb.7:                                ;   in Loop: Header=BB94_4 Depth=1
	v_add_co_u32 v42, vcc_lo, v5, s8
	v_add_co_ci_u32_e32 v43, vcc_lo, s9, v6, vcc_lo
	global_load_b32 v44, v[42:43], off
.LBB94_8:                               ;   in Loop: Header=BB94_4 Depth=1
	s_or_b32 exec_lo, exec_lo, s3
	v_add_co_u32 v42, vcc_lo, v25, s12
	v_add_co_ci_u32_e32 v43, vcc_lo, s13, v28, vcc_lo
	s_delay_alu instid0(VALU_DEP_1) | instskip(SKIP_1) | instid1(VALU_DEP_2)
	v_cmp_gt_u64_e64 s3, s[10:11], v[42:43]
	v_mov_b32_e32 v43, 0
	s_and_saveexec_b32 s4, s3
	s_cbranch_execz .LBB94_10
; %bb.9:                                ;   in Loop: Header=BB94_4 Depth=1
	v_add_co_u32 v42, vcc_lo, v31, s8
	v_add_co_ci_u32_e32 v43, vcc_lo, s9, v32, vcc_lo
	v_add_co_u32 v45, vcc_lo, v33, s8
	v_add_co_ci_u32_e32 v46, vcc_lo, s9, v34, vcc_lo
	global_load_b32 v39, v[42:43], off
	global_load_b32 v43, v[45:46], off
.LBB94_10:                              ;   in Loop: Header=BB94_4 Depth=1
	s_or_b32 exec_lo, exec_lo, s4
	v_dual_mov_b32 v42, 0 :: v_dual_mov_b32 v47, 0
	s_and_saveexec_b32 s4, s3
	s_cbranch_execz .LBB94_12
; %bb.11:                               ;   in Loop: Header=BB94_4 Depth=1
	v_add_co_u32 v45, vcc_lo, v35, s8
	v_add_co_ci_u32_e32 v46, vcc_lo, s9, v36, vcc_lo
	global_load_b32 v47, v[45:46], off
.LBB94_12:                              ;   in Loop: Header=BB94_4 Depth=1
	s_or_b32 exec_lo, exec_lo, s4
	v_add_co_u32 v45, vcc_lo, v29, s12
	v_add_co_ci_u32_e32 v46, vcc_lo, s13, v30, vcc_lo
	s_delay_alu instid0(VALU_DEP_1) | instskip(SKIP_1) | instid1(VALU_DEP_2)
	v_cmp_gt_u64_e64 s4, s[10:11], v[45:46]
	v_mov_b32_e32 v46, 0
	s_and_saveexec_b32 s5, s4
	s_cbranch_execz .LBB94_14
; %bb.13:                               ;   in Loop: Header=BB94_4 Depth=1
	v_add_co_u32 v45, vcc_lo, v19, s8
	v_add_co_ci_u32_e32 v46, vcc_lo, s9, v20, vcc_lo
	v_add_co_u32 v48, vcc_lo, v21, s8
	v_add_co_ci_u32_e32 v49, vcc_lo, s9, v22, vcc_lo
	global_load_b32 v42, v[45:46], off
	global_load_b32 v46, v[48:49], off
.LBB94_14:                              ;   in Loop: Header=BB94_4 Depth=1
	s_or_b32 exec_lo, exec_lo, s5
	v_mov_b32_e32 v45, 0
	v_mov_b32_e32 v49, 0
	s_and_saveexec_b32 s5, s4
	s_cbranch_execz .LBB94_16
; %bb.15:                               ;   in Loop: Header=BB94_4 Depth=1
	v_add_co_u32 v48, vcc_lo, v23, s8
	v_add_co_ci_u32_e32 v49, vcc_lo, s9, v24, vcc_lo
	global_load_b32 v49, v[48:49], off
.LBB94_16:                              ;   in Loop: Header=BB94_4 Depth=1
	s_or_b32 exec_lo, exec_lo, s5
	v_add_co_u32 v50, vcc_lo, v17, s12
	v_add_co_ci_u32_e32 v51, vcc_lo, s13, v18, vcc_lo
	v_mov_b32_e32 v48, 0
	s_delay_alu instid0(VALU_DEP_2) | instskip(NEXT) | instid1(VALU_DEP_1)
	v_cmp_gt_u64_e64 s5, s[10:11], v[50:51]
	s_and_saveexec_b32 s26, s5
	s_cbranch_execnz .LBB94_34
; %bb.17:                               ;   in Loop: Header=BB94_4 Depth=1
	s_or_b32 exec_lo, exec_lo, s26
	v_mov_b32_e32 v50, 0
	s_and_saveexec_b32 s26, s5
	s_cbranch_execnz .LBB94_35
.LBB94_18:                              ;   in Loop: Header=BB94_4 Depth=1
	s_or_b32 exec_lo, exec_lo, s26
	s_delay_alu instid0(SALU_CYCLE_1)
	s_and_b32 vcc_lo, exec_lo, s25
	s_cbranch_vccz .LBB94_36
.LBB94_19:                              ;   in Loop: Header=BB94_4 Depth=1
	s_waitcnt vmcnt(0)
	v_mul_f32_e32 v51, v41, v44
	s_delay_alu instid0(VALU_DEP_1)
	v_fma_f32 v51, s24, v51, v40
	s_cbranch_execnz .LBB94_21
.LBB94_20:                              ;   in Loop: Header=BB94_4 Depth=1
	s_waitcnt vmcnt(0)
	v_fmac_f32_e32 v40, v41, v44
	s_delay_alu instid0(VALU_DEP_1)
	v_mov_b32_e32 v51, v40
.LBB94_21:                              ;   in Loop: Header=BB94_4 Depth=1
	s_and_not1_b32 vcc_lo, exec_lo, s25
	s_cbranch_vccnz .LBB94_41
; %bb.22:                               ;   in Loop: Header=BB94_4 Depth=1
	s_waitcnt vmcnt(0)
	v_mul_f32_e32 v40, v43, v47
	s_delay_alu instid0(VALU_DEP_1)
	v_fma_f32 v40, s24, v40, v39
	s_cbranch_execnz .LBB94_24
.LBB94_23:                              ;   in Loop: Header=BB94_4 Depth=1
	s_waitcnt vmcnt(0)
	v_fmac_f32_e32 v39, v43, v47
	s_delay_alu instid0(VALU_DEP_1)
	v_mov_b32_e32 v40, v39
.LBB94_24:                              ;   in Loop: Header=BB94_4 Depth=1
	s_and_not1_b32 vcc_lo, exec_lo, s25
	s_cbranch_vccnz .LBB94_42
; %bb.25:                               ;   in Loop: Header=BB94_4 Depth=1
	s_waitcnt vmcnt(0)
	v_mul_f32_e32 v39, v46, v49
	s_delay_alu instid0(VALU_DEP_1)
	v_fma_f32 v39, s24, v39, v42
	s_cbranch_execnz .LBB94_27
.LBB94_26:                              ;   in Loop: Header=BB94_4 Depth=1
	s_waitcnt vmcnt(0)
	v_fmac_f32_e32 v42, v46, v49
	s_delay_alu instid0(VALU_DEP_1)
	v_mov_b32_e32 v39, v42
.LBB94_27:                              ;   in Loop: Header=BB94_4 Depth=1
	s_and_not1_b32 vcc_lo, exec_lo, s25
	s_cbranch_vccnz .LBB94_43
; %bb.28:                               ;   in Loop: Header=BB94_4 Depth=1
	s_waitcnt vmcnt(0)
	v_mul_f32_e32 v41, v48, v50
	s_delay_alu instid0(VALU_DEP_1)
	v_fma_f32 v41, s24, v41, v45
	s_cbranch_execnz .LBB94_30
.LBB94_29:                              ;   in Loop: Header=BB94_4 Depth=1
	s_waitcnt vmcnt(0)
	v_fmac_f32_e32 v45, v48, v50
	s_delay_alu instid0(VALU_DEP_1)
	v_mov_b32_e32 v41, v45
.LBB94_30:                              ;   in Loop: Header=BB94_4 Depth=1
	s_and_saveexec_b32 s26, s2
	s_delay_alu instid0(SALU_CYCLE_1)
	s_xor_b32 s2, exec_lo, s26
	s_cbranch_execnz .LBB94_37
; %bb.31:                               ;   in Loop: Header=BB94_4 Depth=1
	s_or_b32 exec_lo, exec_lo, s2
	s_and_saveexec_b32 s2, s3
	s_cbranch_execnz .LBB94_38
.LBB94_32:                              ;   in Loop: Header=BB94_4 Depth=1
	s_or_b32 exec_lo, exec_lo, s2
	s_and_saveexec_b32 s2, s4
	s_cbranch_execnz .LBB94_39
.LBB94_33:                              ;   in Loop: Header=BB94_4 Depth=1
	s_or_b32 exec_lo, exec_lo, s2
	s_and_saveexec_b32 s2, s5
	s_cbranch_execz .LBB94_3
	s_branch .LBB94_40
.LBB94_34:                              ;   in Loop: Header=BB94_4 Depth=1
	v_add_co_u32 v50, vcc_lo, v9, s8
	v_add_co_ci_u32_e32 v51, vcc_lo, s9, v10, vcc_lo
	v_add_co_u32 v52, vcc_lo, v11, s8
	v_add_co_ci_u32_e32 v53, vcc_lo, s9, v12, vcc_lo
	global_load_b32 v45, v[50:51], off
	global_load_b32 v48, v[52:53], off
	s_or_b32 exec_lo, exec_lo, s26
	v_mov_b32_e32 v50, 0
	s_and_saveexec_b32 s26, s5
	s_cbranch_execz .LBB94_18
.LBB94_35:                              ;   in Loop: Header=BB94_4 Depth=1
	v_add_co_u32 v50, vcc_lo, v13, s8
	v_add_co_ci_u32_e32 v51, vcc_lo, s9, v14, vcc_lo
	global_load_b32 v50, v[50:51], off
	s_or_b32 exec_lo, exec_lo, s26
	s_delay_alu instid0(SALU_CYCLE_1)
	s_and_b32 vcc_lo, exec_lo, s25
	s_cbranch_vccnz .LBB94_19
.LBB94_36:                              ;   in Loop: Header=BB94_4 Depth=1
                                        ; implicit-def: $vgpr51
	s_branch .LBB94_20
.LBB94_37:                              ;   in Loop: Header=BB94_4 Depth=1
	s_waitcnt vmcnt(1)
	v_add_co_u32 v42, vcc_lo, v7, s8
	s_waitcnt vmcnt(0)
	v_add_co_ci_u32_e32 v43, vcc_lo, s9, v8, vcc_lo
	global_store_b32 v[42:43], v51, off
	s_or_b32 exec_lo, exec_lo, s2
	s_and_saveexec_b32 s2, s3
	s_cbranch_execz .LBB94_32
.LBB94_38:                              ;   in Loop: Header=BB94_4 Depth=1
	s_waitcnt vmcnt(1)
	v_add_co_u32 v42, vcc_lo, v37, s8
	s_waitcnt vmcnt(0)
	v_add_co_ci_u32_e32 v43, vcc_lo, s9, v38, vcc_lo
	global_store_b32 v[42:43], v40, off
	s_or_b32 exec_lo, exec_lo, s2
	s_and_saveexec_b32 s2, s4
	s_cbranch_execz .LBB94_33
.LBB94_39:                              ;   in Loop: Header=BB94_4 Depth=1
	s_waitcnt vmcnt(1)
	v_add_co_u32 v42, vcc_lo, v26, s8
	s_waitcnt vmcnt(0)
	v_add_co_ci_u32_e32 v43, vcc_lo, s9, v27, vcc_lo
	global_store_b32 v[42:43], v39, off
	s_or_b32 exec_lo, exec_lo, s2
	s_and_saveexec_b32 s2, s5
	s_cbranch_execz .LBB94_3
.LBB94_40:                              ;   in Loop: Header=BB94_4 Depth=1
	s_waitcnt vmcnt(1)
	v_add_co_u32 v39, vcc_lo, v15, s8
	v_add_co_ci_u32_e32 v40, vcc_lo, s9, v16, vcc_lo
	s_waitcnt vmcnt(0)
	global_store_b32 v[39:40], v41, off
	s_branch .LBB94_3
.LBB94_41:                              ;   in Loop: Header=BB94_4 Depth=1
                                        ; implicit-def: $vgpr40
	s_branch .LBB94_23
.LBB94_42:                              ;   in Loop: Header=BB94_4 Depth=1
                                        ; implicit-def: $vgpr39
	s_branch .LBB94_26
.LBB94_43:                              ;   in Loop: Header=BB94_4 Depth=1
                                        ; implicit-def: $vgpr41
	s_branch .LBB94_29
.LBB94_44:
	s_mov_b32 s10, 0
.LBB94_45:
	s_delay_alu instid0(SALU_CYCLE_1)
	s_and_not1_b32 vcc_lo, exec_lo, s10
	s_cbranch_vccnz .LBB94_65
; %bb.46:
	v_dual_mov_b32 v14, 0 :: v_dual_lshlrev_b32 v13, 2, v0
	s_mov_b32 s2, 0
	s_mov_b32 s3, exec_lo
	s_delay_alu instid0(VALU_DEP_1)
	v_cmpx_gt_i64_e64 s[6:7], v[13:14]
	s_cbranch_execz .LBB94_65
; %bb.47:
	s_load_b32 s0, s[0:1], 0xc84
	v_lshlrev_b32_e32 v15, 4, v0
	v_cmp_neq_f32_e64 s1, s24, 1.0
	s_waitcnt lgkmcnt(0)
	s_and_b32 s0, s0, 0xffff
	s_delay_alu instid0(SALU_CYCLE_1)
	v_add_lshl_u32 v13, v0, s0, 2
	s_lshl_b32 s3, s0, 2
	s_lshl_b32 s4, s0, 4
	s_branch .LBB94_49
.LBB94_48:                              ;   in Loop: Header=BB94_49 Depth=1
	v_cmp_le_i64_e32 vcc_lo, s[6:7], v[13:14]
	v_cmp_lt_u64_e64 s0, 0xffff, v[13:14]
	s_waitcnt vmcnt(2)
	v_add_co_u32 v4, s5, s22, v15
	s_waitcnt vmcnt(1)
	v_add_co_ci_u32_e64 v5, null, s23, 0, s5
	s_delay_alu instid0(VALU_DEP_3)
	s_or_b32 s0, vcc_lo, s0
	s_add_u32 s16, s16, s4
	s_addc_u32 s17, s17, 0
	s_add_u32 s22, s22, s4
	s_addc_u32 s23, s23, 0
	s_add_u32 s18, s18, s4
	v_add_co_u32 v13, vcc_lo, v13, s3
	s_addc_u32 s19, s19, 0
	s_add_u32 s20, s20, s4
	v_add_co_ci_u32_e32 v14, vcc_lo, 0, v14, vcc_lo
	s_addc_u32 s21, s21, 0
	s_and_b32 s0, exec_lo, s0
	global_store_b128 v[4:5], v[0:3], off
	s_or_b32 s2, s0, s2
	s_delay_alu instid0(SALU_CYCLE_1)
	s_and_not1_b32 exec_lo, exec_lo, s2
	s_cbranch_execz .LBB94_65
.LBB94_49:                              ; =>This Inner Loop Header: Depth=1
	v_add_co_u32 v0, s0, s16, v15
	s_delay_alu instid0(VALU_DEP_1) | instskip(SKIP_1) | instid1(VALU_DEP_1)
	v_add_co_ci_u32_e64 v1, null, s17, 0, s0
	v_add_co_u32 v5, s0, s18, v15
	v_add_co_ci_u32_e64 v6, null, s19, 0, s0
	s_waitcnt vmcnt(0)
	v_add_co_u32 v9, s0, s20, v15
	s_delay_alu instid0(VALU_DEP_1)
	v_add_co_ci_u32_e64 v10, null, s21, 0, s0
	global_load_b128 v[1:4], v[0:1], off
	global_load_b128 v[5:8], v[5:6], off
	;; [unrolled: 1-line block ×3, first 2 shown]
	s_and_b32 vcc_lo, exec_lo, s1
	s_cbranch_vccz .LBB94_60
; %bb.50:                               ;   in Loop: Header=BB94_49 Depth=1
	s_waitcnt vmcnt(0)
	v_mul_f32_e32 v0, v5, v9
	s_delay_alu instid0(VALU_DEP_1)
	v_fma_f32 v0, s24, v0, v1
	s_cbranch_execnz .LBB94_52
.LBB94_51:                              ;   in Loop: Header=BB94_49 Depth=1
	s_waitcnt vmcnt(0)
	v_fma_f32 v0, v5, v9, v1
.LBB94_52:                              ;   in Loop: Header=BB94_49 Depth=1
	s_and_not1_b32 vcc_lo, exec_lo, s1
	s_cbranch_vccnz .LBB94_61
; %bb.53:                               ;   in Loop: Header=BB94_49 Depth=1
	s_waitcnt vmcnt(0)
	v_mul_f32_e32 v1, v6, v10
	s_delay_alu instid0(VALU_DEP_1)
	v_fma_f32 v1, s24, v1, v2
	s_cbranch_execnz .LBB94_55
.LBB94_54:                              ;   in Loop: Header=BB94_49 Depth=1
	s_waitcnt vmcnt(0)
	v_fma_f32 v1, v6, v10, v2
.LBB94_55:                              ;   in Loop: Header=BB94_49 Depth=1
	s_and_not1_b32 vcc_lo, exec_lo, s1
	s_cbranch_vccnz .LBB94_62
; %bb.56:                               ;   in Loop: Header=BB94_49 Depth=1
	s_waitcnt vmcnt(0)
	v_mul_f32_e32 v2, v7, v11
	s_delay_alu instid0(VALU_DEP_1)
	v_fma_f32 v2, s24, v2, v3
	s_cbranch_execnz .LBB94_58
.LBB94_57:                              ;   in Loop: Header=BB94_49 Depth=1
	s_waitcnt vmcnt(0)
	v_fma_f32 v2, v7, v11, v3
.LBB94_58:                              ;   in Loop: Header=BB94_49 Depth=1
	s_and_not1_b32 vcc_lo, exec_lo, s1
	s_cbranch_vccnz .LBB94_63
; %bb.59:                               ;   in Loop: Header=BB94_49 Depth=1
	s_waitcnt vmcnt(0)
	v_mul_f32_e32 v3, v8, v12
	s_delay_alu instid0(VALU_DEP_1)
	v_fma_f32 v3, s24, v3, v4
	s_cbranch_execnz .LBB94_48
	s_branch .LBB94_64
.LBB94_60:                              ;   in Loop: Header=BB94_49 Depth=1
                                        ; implicit-def: $vgpr0
	s_branch .LBB94_51
.LBB94_61:                              ;   in Loop: Header=BB94_49 Depth=1
	s_branch .LBB94_54
.LBB94_62:                              ;   in Loop: Header=BB94_49 Depth=1
	s_branch .LBB94_57
.LBB94_63:                              ;   in Loop: Header=BB94_49 Depth=1
.LBB94_64:                              ;   in Loop: Header=BB94_49 Depth=1
	s_waitcnt vmcnt(0)
	v_fmac_f32_e32 v4, v8, v12
	s_delay_alu instid0(VALU_DEP_1)
	v_mov_b32_e32 v3, v4
	s_branch .LBB94_48
.LBB94_65:
	s_nop 0
	s_sendmsg sendmsg(MSG_DEALLOC_VGPRS)
	s_endpgm
	.section	.rodata,"a",@progbits
	.p2align	6, 0x0
	.amdhsa_kernel _ZN2at6native12_GLOBAL__N_125multi_tensor_apply_kernelINS1_28TensorListScalarListMetadataIfLi4EEENS1_28PointwiseOpScalarListFunctorIfLi4ELi3ELi3EEEJSt10multipliesIfEEEEvT_T0_DpT1_
		.amdhsa_group_segment_fixed_size 0
		.amdhsa_private_segment_fixed_size 0
		.amdhsa_kernarg_size 3448
		.amdhsa_user_sgpr_count 15
		.amdhsa_user_sgpr_dispatch_ptr 0
		.amdhsa_user_sgpr_queue_ptr 0
		.amdhsa_user_sgpr_kernarg_segment_ptr 1
		.amdhsa_user_sgpr_dispatch_id 0
		.amdhsa_user_sgpr_private_segment_size 0
		.amdhsa_wavefront_size32 1
		.amdhsa_uses_dynamic_stack 0
		.amdhsa_enable_private_segment 0
		.amdhsa_system_sgpr_workgroup_id_x 1
		.amdhsa_system_sgpr_workgroup_id_y 0
		.amdhsa_system_sgpr_workgroup_id_z 0
		.amdhsa_system_sgpr_workgroup_info 0
		.amdhsa_system_vgpr_workitem_id 0
		.amdhsa_next_free_vgpr 54
		.amdhsa_next_free_sgpr 30
		.amdhsa_reserve_vcc 1
		.amdhsa_float_round_mode_32 0
		.amdhsa_float_round_mode_16_64 0
		.amdhsa_float_denorm_mode_32 3
		.amdhsa_float_denorm_mode_16_64 3
		.amdhsa_dx10_clamp 1
		.amdhsa_ieee_mode 1
		.amdhsa_fp16_overflow 0
		.amdhsa_workgroup_processor_mode 1
		.amdhsa_memory_ordered 1
		.amdhsa_forward_progress 0
		.amdhsa_shared_vgpr_count 0
		.amdhsa_exception_fp_ieee_invalid_op 0
		.amdhsa_exception_fp_denorm_src 0
		.amdhsa_exception_fp_ieee_div_zero 0
		.amdhsa_exception_fp_ieee_overflow 0
		.amdhsa_exception_fp_ieee_underflow 0
		.amdhsa_exception_fp_ieee_inexact 0
		.amdhsa_exception_int_div_zero 0
	.end_amdhsa_kernel
	.section	.text._ZN2at6native12_GLOBAL__N_125multi_tensor_apply_kernelINS1_28TensorListScalarListMetadataIfLi4EEENS1_28PointwiseOpScalarListFunctorIfLi4ELi3ELi3EEEJSt10multipliesIfEEEEvT_T0_DpT1_,"axG",@progbits,_ZN2at6native12_GLOBAL__N_125multi_tensor_apply_kernelINS1_28TensorListScalarListMetadataIfLi4EEENS1_28PointwiseOpScalarListFunctorIfLi4ELi3ELi3EEEJSt10multipliesIfEEEEvT_T0_DpT1_,comdat
.Lfunc_end94:
	.size	_ZN2at6native12_GLOBAL__N_125multi_tensor_apply_kernelINS1_28TensorListScalarListMetadataIfLi4EEENS1_28PointwiseOpScalarListFunctorIfLi4ELi3ELi3EEEJSt10multipliesIfEEEEvT_T0_DpT1_, .Lfunc_end94-_ZN2at6native12_GLOBAL__N_125multi_tensor_apply_kernelINS1_28TensorListScalarListMetadataIfLi4EEENS1_28PointwiseOpScalarListFunctorIfLi4ELi3ELi3EEEJSt10multipliesIfEEEEvT_T0_DpT1_
                                        ; -- End function
	.section	.AMDGPU.csdata,"",@progbits
; Kernel info:
; codeLenInByte = 2440
; NumSgprs: 32
; NumVgprs: 54
; ScratchSize: 0
; MemoryBound: 1
; FloatMode: 240
; IeeeMode: 1
; LDSByteSize: 0 bytes/workgroup (compile time only)
; SGPRBlocks: 3
; VGPRBlocks: 6
; NumSGPRsForWavesPerEU: 32
; NumVGPRsForWavesPerEU: 54
; Occupancy: 16
; WaveLimiterHint : 0
; COMPUTE_PGM_RSRC2:SCRATCH_EN: 0
; COMPUTE_PGM_RSRC2:USER_SGPR: 15
; COMPUTE_PGM_RSRC2:TRAP_HANDLER: 0
; COMPUTE_PGM_RSRC2:TGID_X_EN: 1
; COMPUTE_PGM_RSRC2:TGID_Y_EN: 0
; COMPUTE_PGM_RSRC2:TGID_Z_EN: 0
; COMPUTE_PGM_RSRC2:TIDIG_COMP_CNT: 0
	.section	.text._ZN2at6native12_GLOBAL__N_125multi_tensor_apply_kernelINS1_28TensorListScalarListMetadataIN3c107complexIdEELi4EEENS1_28PointwiseOpScalarListFunctorIS6_Li4ELi3ELi3EEEJSt10multipliesIS6_EEEEvT_T0_DpT1_,"axG",@progbits,_ZN2at6native12_GLOBAL__N_125multi_tensor_apply_kernelINS1_28TensorListScalarListMetadataIN3c107complexIdEELi4EEENS1_28PointwiseOpScalarListFunctorIS6_Li4ELi3ELi3EEEJSt10multipliesIS6_EEEEvT_T0_DpT1_,comdat
	.globl	_ZN2at6native12_GLOBAL__N_125multi_tensor_apply_kernelINS1_28TensorListScalarListMetadataIN3c107complexIdEELi4EEENS1_28PointwiseOpScalarListFunctorIS6_Li4ELi3ELi3EEEJSt10multipliesIS6_EEEEvT_T0_DpT1_ ; -- Begin function _ZN2at6native12_GLOBAL__N_125multi_tensor_apply_kernelINS1_28TensorListScalarListMetadataIN3c107complexIdEELi4EEENS1_28PointwiseOpScalarListFunctorIS6_Li4ELi3ELi3EEEJSt10multipliesIS6_EEEEvT_T0_DpT1_
	.p2align	8
	.type	_ZN2at6native12_GLOBAL__N_125multi_tensor_apply_kernelINS1_28TensorListScalarListMetadataIN3c107complexIdEELi4EEENS1_28PointwiseOpScalarListFunctorIS6_Li4ELi3ELi3EEEJSt10multipliesIS6_EEEEvT_T0_DpT1_,@function
_ZN2at6native12_GLOBAL__N_125multi_tensor_apply_kernelINS1_28TensorListScalarListMetadataIN3c107complexIdEELi4EEENS1_28PointwiseOpScalarListFunctorIS6_Li4ELi3ELi3EEEJSt10multipliesIS6_EEEEvT_T0_DpT1_: ; @_ZN2at6native12_GLOBAL__N_125multi_tensor_apply_kernelINS1_28TensorListScalarListMetadataIN3c107complexIdEELi4EEENS1_28PointwiseOpScalarListFunctorIS6_Li4ELi3ELi3EEEJSt10multipliesIS6_EEEEvT_T0_DpT1_
; %bb.0:
	v_mov_b32_e32 v1, s15
	s_add_u32 s2, s0, s15
	s_mul_i32 s3, s15, 3
	s_mul_hi_u32 s4, s15, 3
	s_addc_u32 s5, s1, 0
	global_load_u8 v1, v1, s[0:1] offset:2016
	s_add_u32 s2, s2, s3
	s_addc_u32 s3, s5, s4
	s_mov_b32 s17, 0
	s_load_b32 s6, s[2:3], 0x920
	s_waitcnt lgkmcnt(0)
	s_ashr_i32 s7, s6, 31
	s_waitcnt vmcnt(0)
	v_readfirstlane_b32 s4, v1
	s_delay_alu instid0(VALU_DEP_1)
	s_lshl_b32 s10, s4, 3
	s_clause 0x4
	s_load_b64 s[2:3], s[0:1], s10 offset:0x0
	s_load_b64 s[4:5], s[0:1], s10 offset:0x120
	;; [unrolled: 1-line block ×5, first 2 shown]
	s_add_u32 s8, s0, s10
	s_addc_u32 s9, s1, 0
	s_lshl_b64 s[12:13], s[6:7], 20
	s_waitcnt lgkmcnt(0)
	s_add_u32 s22, s2, s12
	s_addc_u32 s23, s3, s13
	s_add_u32 s24, s4, s12
	s_addc_u32 s25, s5, s13
	s_and_b32 s16, s24, 63
	s_add_u32 s26, s18, s12
	s_addc_u32 s27, s19, s13
	s_add_u32 s28, s20, s12
	s_addc_u32 s29, s21, s13
	s_or_b32 s11, s28, s26
	s_delay_alu instid0(SALU_CYCLE_1) | instskip(NEXT) | instid1(SALU_CYCLE_1)
	s_and_b32 s11, s11, 63
	s_cmp_eq_u32 s11, 0
	s_load_b128 s[8:11], s[8:9], s10 offset:0x5a0
	s_cselect_b32 s30, -1, 0
	s_and_b32 s31, s22, 63
	s_cmp_eq_u64 s[16:17], 0
	s_cselect_b32 s16, -1, 0
	s_lshl_b64 s[6:7], s[6:7], 16
	s_and_b32 s30, s30, s16
	s_sub_u32 s6, s14, s6
	s_subb_u32 s7, s15, s7
	s_and_b32 s14, s14, 3
	s_delay_alu instid0(SALU_CYCLE_1) | instskip(NEXT) | instid1(SALU_CYCLE_1)
	s_or_b32 s16, s31, s14
	s_cmp_eq_u64 s[16:17], 0
	s_cselect_b32 s14, -1, 0
	s_delay_alu instid0(SALU_CYCLE_1) | instskip(NEXT) | instid1(SALU_CYCLE_1)
	s_and_b32 s14, s30, s14
	s_and_b32 vcc_lo, exec_lo, s14
	s_mov_b32 s14, -1
	s_cbranch_vccnz .LBB95_37
; %bb.1:
	v_cmp_lt_i64_e64 s14, s[6:7], 1
	s_delay_alu instid0(VALU_DEP_1)
	s_and_b32 vcc_lo, exec_lo, s14
	s_cbranch_vccnz .LBB95_36
; %bb.2:
	s_waitcnt lgkmcnt(0)
	v_cmp_neq_f64_e64 s14, s[8:9], 1.0
	v_cmp_neq_f64_e64 s34, s[10:11], 0
	s_load_b32 s16, s[0:1], 0xe34
	v_dual_mov_b32 v1, 0 :: v_dual_lshlrev_b32 v6, 4, v0
	v_cmp_gt_u64_e64 s17, 0x10000, s[6:7]
	s_mov_b32 s15, 0
	s_delay_alu instid0(VALU_DEP_2) | instskip(NEXT) | instid1(VALU_DEP_3)
	v_or_b32_e32 v2, 8, v6
	v_mov_b32_e32 v3, v1
	v_dual_mov_b32 v50, v1 :: v_dual_mov_b32 v49, v0
	s_delay_alu instid0(VALU_DEP_3) | instskip(NEXT) | instid1(VALU_DEP_1)
	v_add_co_u32 v53, s30, s4, v2
	v_add_co_ci_u32_e64 v54, null, s5, 0, s30
	v_add_co_u32 v55, s30, s2, v2
	s_delay_alu instid0(VALU_DEP_1) | instskip(SKIP_1) | instid1(VALU_DEP_1)
	v_add_co_ci_u32_e64 v56, null, s3, 0, s30
	v_add_co_u32 v57, s30, s18, v2
	v_add_co_ci_u32_e64 v58, null, s19, 0, s30
	s_waitcnt lgkmcnt(0)
	s_and_b32 s30, s16, 0xffff
	s_and_b32 s16, s17, exec_lo
	v_mad_u64_u32 v[4:5], null, s30, 48, v[2:3]
	v_add_lshl_u32 v7, v0, s30, 4
	s_cselect_b32 s17, s7, 0
	s_cselect_b32 s16, s6, 0x10000
	s_lshl_b32 s31, s30, 1
	s_mul_i32 s33, s30, 3
	v_add_co_u32 v59, s35, s20, v7
	s_delay_alu instid0(VALU_DEP_3) | instskip(SKIP_3) | instid1(VALU_DEP_1)
	v_add_co_u32 v67, vcc_lo, s4, v4
	v_add_co_ci_u32_e32 v68, vcc_lo, s5, v5, vcc_lo
	s_or_b32 s34, s14, s34
	v_add_co_u32 v63, s14, s20, v2
	v_add_co_ci_u32_e64 v64, null, s21, 0, s14
	v_add_co_u32 v65, s14, s2, v7
	s_delay_alu instid0(VALU_DEP_1) | instskip(SKIP_1) | instid1(VALU_DEP_1)
	v_add_co_ci_u32_e64 v66, null, s3, 0, s14
	v_add_co_u32 v69, s14, s4, v7
	v_add_co_ci_u32_e64 v70, null, s5, 0, s14
	s_lshl_b32 s14, s30, 5
	v_add_co_u32 v71, vcc_lo, s2, v4
	v_add_co_u32 v2, s14, s14, v6
	v_add_co_ci_u32_e32 v72, vcc_lo, s3, v5, vcc_lo
	v_add_co_ci_u32_e64 v3, null, 0, 0, s14
	v_add_co_u32 v73, vcc_lo, s18, v4
	v_add_co_ci_u32_e32 v74, vcc_lo, s19, v5, vcc_lo
	v_add_co_u32 v75, vcc_lo, s20, v2
	s_delay_alu instid0(VALU_DEP_4)
	v_add_co_ci_u32_e32 v76, vcc_lo, s21, v3, vcc_lo
	v_add_co_u32 v77, vcc_lo, s20, v4
	v_or_b32_e32 v4, 8, v2
	v_add_co_ci_u32_e32 v78, vcc_lo, s21, v5, vcc_lo
	v_add_co_u32 v79, vcc_lo, s18, v2
	v_add_co_ci_u32_e32 v80, vcc_lo, s19, v3, vcc_lo
	s_delay_alu instid0(VALU_DEP_4)
	v_add_co_u32 v81, vcc_lo, s4, v4
	v_add_co_ci_u32_e32 v82, vcc_lo, s5, v3, vcc_lo
	v_add_co_ci_u32_e64 v60, null, s21, 0, s35
	v_add_co_u32 v61, s35, s18, v7
	v_add_co_u32 v83, vcc_lo, s2, v4
	v_add_co_ci_u32_e64 v62, null, s19, 0, s35
	v_add_co_ci_u32_e32 v84, vcc_lo, s3, v3, vcc_lo
	s_lshl_b32 s14, s30, 2
	s_lshl_b32 s20, s30, 6
	s_mov_b64 s[18:19], s[14:15]
	s_branch .LBB95_4
.LBB95_3:                               ;   in Loop: Header=BB95_4 Depth=1
	s_or_b32 exec_lo, exec_lo, s2
	v_add_co_u32 v49, vcc_lo, v49, s14
	v_add_co_ci_u32_e32 v50, vcc_lo, 0, v50, vcc_lo
	v_add_co_u32 v53, vcc_lo, v53, s20
	v_add_co_ci_u32_e32 v54, vcc_lo, 0, v54, vcc_lo
	;; [unrolled: 2-line block ×15, first 2 shown]
	v_cmp_ge_i64_e64 s2, s[18:19], s[6:7]
	v_cmp_lt_u64_e64 s3, 0xffff, s[18:19]
	v_add_co_u32 v81, vcc_lo, v81, s20
	v_add_co_ci_u32_e32 v82, vcc_lo, 0, v82, vcc_lo
	v_add_co_u32 v83, vcc_lo, v83, s20
	v_add_co_ci_u32_e32 v84, vcc_lo, 0, v84, vcc_lo
	s_or_b32 s2, s2, s3
	s_add_u32 s18, s18, s14
	s_addc_u32 s19, s19, 0
	s_and_b32 vcc_lo, exec_lo, s2
	s_cbranch_vccnz .LBB95_36
.LBB95_4:                               ; =>This Inner Loop Header: Depth=1
	v_mov_b32_e32 v11, 0
	v_mov_b32_e32 v12, 0
	v_cmp_gt_u64_e64 s2, s[16:17], v[49:50]
	s_delay_alu instid0(VALU_DEP_3) | instskip(NEXT) | instid1(VALU_DEP_3)
	v_mov_b32_e32 v3, v11
	v_dual_mov_b32 v1, v11 :: v_dual_mov_b32 v2, v12
	v_dual_mov_b32 v16, v12 :: v_dual_mov_b32 v15, v11
	v_dual_mov_b32 v14, v12 :: v_dual_mov_b32 v13, v11
	v_mov_b32_e32 v4, v12
	s_and_saveexec_b32 s3, s2
	s_cbranch_execz .LBB95_6
; %bb.5:                                ;   in Loop: Header=BB95_4 Depth=1
	v_add_co_u32 v1, vcc_lo, v55, s12
	v_add_co_ci_u32_e32 v2, vcc_lo, s13, v56, vcc_lo
	v_add_co_u32 v5, vcc_lo, v53, s12
	v_add_co_ci_u32_e32 v6, vcc_lo, s13, v54, vcc_lo
	global_load_b128 v[1:4], v[1:2], off offset:-8
	global_load_b128 v[13:16], v[5:6], off offset:-8
.LBB95_6:                               ;   in Loop: Header=BB95_4 Depth=1
	s_or_b32 exec_lo, exec_lo, s3
	v_dual_mov_b32 v9, v11 :: v_dual_mov_b32 v10, v12
	s_and_saveexec_b32 s3, s2
	s_cbranch_execz .LBB95_8
; %bb.7:                                ;   in Loop: Header=BB95_4 Depth=1
	v_add_co_u32 v5, vcc_lo, v57, s12
	v_add_co_ci_u32_e32 v6, vcc_lo, s13, v58, vcc_lo
	global_load_b128 v[9:12], v[5:6], off offset:-8
.LBB95_8:                               ;   in Loop: Header=BB95_4 Depth=1
	s_or_b32 exec_lo, exec_lo, s3
	v_add_co_u32 v5, vcc_lo, s30, v49
	v_add_co_ci_u32_e32 v6, vcc_lo, 0, v50, vcc_lo
	v_mov_b32_e32 v23, 0
	v_mov_b32_e32 v24, 0
	s_delay_alu instid0(VALU_DEP_2) | instskip(NEXT) | instid1(VALU_DEP_4)
	v_mov_b32_e32 v7, v23
	v_cmp_gt_u64_e64 s3, s[16:17], v[5:6]
	s_delay_alu instid0(VALU_DEP_3)
	v_dual_mov_b32 v5, v23 :: v_dual_mov_b32 v6, v24
	v_dual_mov_b32 v28, v24 :: v_dual_mov_b32 v27, v23
	;; [unrolled: 1-line block ×3, first 2 shown]
	v_mov_b32_e32 v8, v24
	s_and_saveexec_b32 s4, s3
	s_cbranch_execz .LBB95_10
; %bb.9:                                ;   in Loop: Header=BB95_4 Depth=1
	v_add_co_u32 v5, vcc_lo, v65, s12
	v_add_co_ci_u32_e32 v6, vcc_lo, s13, v66, vcc_lo
	v_add_co_u32 v17, vcc_lo, v69, s12
	v_add_co_ci_u32_e32 v18, vcc_lo, s13, v70, vcc_lo
	global_load_b128 v[5:8], v[5:6], off
	global_load_b128 v[25:28], v[17:18], off
.LBB95_10:                              ;   in Loop: Header=BB95_4 Depth=1
	s_or_b32 exec_lo, exec_lo, s4
	v_dual_mov_b32 v21, v23 :: v_dual_mov_b32 v22, v24
	s_and_saveexec_b32 s4, s3
	s_cbranch_execz .LBB95_12
; %bb.11:                               ;   in Loop: Header=BB95_4 Depth=1
	v_add_co_u32 v17, vcc_lo, v61, s12
	v_add_co_ci_u32_e32 v18, vcc_lo, s13, v62, vcc_lo
	global_load_b128 v[21:24], v[17:18], off
.LBB95_12:                              ;   in Loop: Header=BB95_4 Depth=1
	s_or_b32 exec_lo, exec_lo, s4
	v_add_co_u32 v17, vcc_lo, s31, v49
	v_add_co_ci_u32_e32 v18, vcc_lo, 0, v50, vcc_lo
	v_mov_b32_e32 v35, 0
	v_mov_b32_e32 v36, 0
	s_delay_alu instid0(VALU_DEP_2) | instskip(NEXT) | instid1(VALU_DEP_4)
	v_mov_b32_e32 v19, v35
	v_cmp_gt_u64_e64 s4, s[16:17], v[17:18]
	s_delay_alu instid0(VALU_DEP_3)
	v_dual_mov_b32 v17, v35 :: v_dual_mov_b32 v18, v36
	v_dual_mov_b32 v40, v36 :: v_dual_mov_b32 v39, v35
	;; [unrolled: 1-line block ×3, first 2 shown]
	v_mov_b32_e32 v20, v36
	s_and_saveexec_b32 s5, s4
	s_cbranch_execz .LBB95_14
; %bb.13:                               ;   in Loop: Header=BB95_4 Depth=1
	v_add_co_u32 v17, vcc_lo, v83, s12
	v_add_co_ci_u32_e32 v18, vcc_lo, s13, v84, vcc_lo
	v_add_co_u32 v29, vcc_lo, v81, s12
	v_add_co_ci_u32_e32 v30, vcc_lo, s13, v82, vcc_lo
	global_load_b128 v[17:20], v[17:18], off offset:-8
	global_load_b128 v[37:40], v[29:30], off offset:-8
.LBB95_14:                              ;   in Loop: Header=BB95_4 Depth=1
	s_or_b32 exec_lo, exec_lo, s5
	v_dual_mov_b32 v33, v35 :: v_dual_mov_b32 v34, v36
	s_and_saveexec_b32 s5, s4
	s_cbranch_execz .LBB95_16
; %bb.15:                               ;   in Loop: Header=BB95_4 Depth=1
	v_add_co_u32 v29, vcc_lo, v79, s12
	v_add_co_ci_u32_e32 v30, vcc_lo, s13, v80, vcc_lo
	global_load_b128 v[33:36], v[29:30], off
.LBB95_16:                              ;   in Loop: Header=BB95_4 Depth=1
	s_or_b32 exec_lo, exec_lo, s5
	v_add_co_u32 v29, vcc_lo, s33, v49
	v_add_co_ci_u32_e32 v30, vcc_lo, 0, v50, vcc_lo
	v_mov_b32_e32 v43, 0
	v_mov_b32_e32 v44, 0
	s_delay_alu instid0(VALU_DEP_2) | instskip(NEXT) | instid1(VALU_DEP_4)
	v_mov_b32_e32 v31, v43
	v_cmp_gt_u64_e64 s5, s[16:17], v[29:30]
	s_delay_alu instid0(VALU_DEP_3)
	v_dual_mov_b32 v29, v43 :: v_dual_mov_b32 v30, v44
	v_dual_mov_b32 v48, v44 :: v_dual_mov_b32 v47, v43
	;; [unrolled: 1-line block ×3, first 2 shown]
	v_mov_b32_e32 v32, v44
	s_and_saveexec_b32 s15, s5
	s_cbranch_execz .LBB95_18
; %bb.17:                               ;   in Loop: Header=BB95_4 Depth=1
	v_add_co_u32 v29, vcc_lo, v71, s12
	v_add_co_ci_u32_e32 v30, vcc_lo, s13, v72, vcc_lo
	v_add_co_u32 v41, vcc_lo, v67, s12
	v_add_co_ci_u32_e32 v42, vcc_lo, s13, v68, vcc_lo
	global_load_b128 v[29:32], v[29:30], off offset:-8
	global_load_b128 v[45:48], v[41:42], off offset:-8
.LBB95_18:                              ;   in Loop: Header=BB95_4 Depth=1
	s_or_b32 exec_lo, exec_lo, s15
	v_dual_mov_b32 v41, v43 :: v_dual_mov_b32 v42, v44
	s_and_saveexec_b32 s15, s5
	s_cbranch_execz .LBB95_20
; %bb.19:                               ;   in Loop: Header=BB95_4 Depth=1
	v_add_co_u32 v41, vcc_lo, v73, s12
	v_add_co_ci_u32_e32 v42, vcc_lo, s13, v74, vcc_lo
	global_load_b128 v[41:44], v[41:42], off offset:-8
.LBB95_20:                              ;   in Loop: Header=BB95_4 Depth=1
	s_or_b32 exec_lo, exec_lo, s15
	s_waitcnt vmcnt(0)
	v_mul_f64 v[51:52], v[15:16], v[11:12]
	v_mul_f64 v[15:16], v[15:16], v[9:10]
	s_and_b32 vcc_lo, exec_lo, s34
	s_delay_alu instid0(VALU_DEP_2) | instskip(NEXT) | instid1(VALU_DEP_2)
	v_fma_f64 v[9:10], v[13:14], v[9:10], -v[51:52]
	v_fma_f64 v[51:52], v[13:14], v[11:12], v[15:16]
	s_cbranch_vccz .LBB95_22
; %bb.21:                               ;   in Loop: Header=BB95_4 Depth=1
	s_delay_alu instid0(VALU_DEP_1) | instskip(NEXT) | instid1(VALU_DEP_3)
	v_mul_f64 v[11:12], s[10:11], v[51:52]
	v_mul_f64 v[13:14], s[10:11], v[9:10]
	s_delay_alu instid0(VALU_DEP_2) | instskip(NEXT) | instid1(VALU_DEP_2)
	v_fma_f64 v[9:10], s[8:9], v[9:10], -v[11:12]
	v_fma_f64 v[51:52], s[8:9], v[51:52], v[13:14]
.LBB95_22:                              ;   in Loop: Header=BB95_4 Depth=1
	v_mul_f64 v[11:12], v[27:28], v[23:24]
	v_mul_f64 v[13:14], v[27:28], v[21:22]
	s_and_not1_b32 vcc_lo, exec_lo, s34
	s_delay_alu instid0(VALU_DEP_2) | instskip(NEXT) | instid1(VALU_DEP_2)
	v_fma_f64 v[11:12], v[25:26], v[21:22], -v[11:12]
	v_fma_f64 v[21:22], v[25:26], v[23:24], v[13:14]
	s_cbranch_vccnz .LBB95_24
; %bb.23:                               ;   in Loop: Header=BB95_4 Depth=1
	s_delay_alu instid0(VALU_DEP_1) | instskip(NEXT) | instid1(VALU_DEP_3)
	v_mul_f64 v[13:14], s[10:11], v[21:22]
	v_mul_f64 v[15:16], s[10:11], v[11:12]
	s_delay_alu instid0(VALU_DEP_2) | instskip(NEXT) | instid1(VALU_DEP_2)
	v_fma_f64 v[11:12], s[8:9], v[11:12], -v[13:14]
	v_fma_f64 v[21:22], s[8:9], v[21:22], v[15:16]
.LBB95_24:                              ;   in Loop: Header=BB95_4 Depth=1
	v_mul_f64 v[13:14], v[39:40], v[35:36]
	v_mul_f64 v[15:16], v[39:40], v[33:34]
	s_and_not1_b32 vcc_lo, exec_lo, s34
	s_delay_alu instid0(VALU_DEP_2) | instskip(NEXT) | instid1(VALU_DEP_2)
	v_fma_f64 v[13:14], v[37:38], v[33:34], -v[13:14]
	v_fma_f64 v[23:24], v[37:38], v[35:36], v[15:16]
	s_cbranch_vccnz .LBB95_26
; %bb.25:                               ;   in Loop: Header=BB95_4 Depth=1
	s_delay_alu instid0(VALU_DEP_1) | instskip(NEXT) | instid1(VALU_DEP_3)
	v_mul_f64 v[15:16], s[10:11], v[23:24]
	v_mul_f64 v[25:26], s[10:11], v[13:14]
	s_delay_alu instid0(VALU_DEP_2) | instskip(NEXT) | instid1(VALU_DEP_2)
	v_fma_f64 v[13:14], s[8:9], v[13:14], -v[15:16]
	v_fma_f64 v[23:24], s[8:9], v[23:24], v[25:26]
.LBB95_26:                              ;   in Loop: Header=BB95_4 Depth=1
	v_mul_f64 v[15:16], v[47:48], v[43:44]
	v_mul_f64 v[25:26], v[47:48], v[41:42]
	s_and_not1_b32 vcc_lo, exec_lo, s34
	s_delay_alu instid0(VALU_DEP_2) | instskip(NEXT) | instid1(VALU_DEP_2)
	v_fma_f64 v[15:16], v[45:46], v[41:42], -v[15:16]
	v_fma_f64 v[25:26], v[45:46], v[43:44], v[25:26]
	s_cbranch_vccz .LBB95_31
; %bb.27:                               ;   in Loop: Header=BB95_4 Depth=1
	s_and_saveexec_b32 s15, s2
	s_delay_alu instid0(SALU_CYCLE_1)
	s_xor_b32 s2, exec_lo, s15
	s_cbranch_execnz .LBB95_32
.LBB95_28:                              ;   in Loop: Header=BB95_4 Depth=1
	s_or_b32 exec_lo, exec_lo, s2
	s_and_saveexec_b32 s2, s3
	s_cbranch_execnz .LBB95_33
.LBB95_29:                              ;   in Loop: Header=BB95_4 Depth=1
	s_or_b32 exec_lo, exec_lo, s2
	s_and_saveexec_b32 s2, s4
	s_cbranch_execnz .LBB95_34
.LBB95_30:                              ;   in Loop: Header=BB95_4 Depth=1
	s_or_b32 exec_lo, exec_lo, s2
	s_and_saveexec_b32 s2, s5
	s_cbranch_execz .LBB95_3
	s_branch .LBB95_35
.LBB95_31:                              ;   in Loop: Header=BB95_4 Depth=1
	s_delay_alu instid0(VALU_DEP_1) | instskip(NEXT) | instid1(VALU_DEP_3)
	v_mul_f64 v[27:28], s[10:11], v[25:26]
	v_mul_f64 v[33:34], s[10:11], v[15:16]
	s_delay_alu instid0(VALU_DEP_2) | instskip(NEXT) | instid1(VALU_DEP_2)
	v_fma_f64 v[15:16], s[8:9], v[15:16], -v[27:28]
	v_fma_f64 v[25:26], s[8:9], v[25:26], v[33:34]
	s_and_saveexec_b32 s15, s2
	s_delay_alu instid0(SALU_CYCLE_1)
	s_xor_b32 s2, exec_lo, s15
	s_cbranch_execz .LBB95_28
.LBB95_32:                              ;   in Loop: Header=BB95_4 Depth=1
	v_add_f64 v[3:4], v[3:4], v[51:52]
	v_add_f64 v[1:2], v[1:2], v[9:10]
	v_add_co_u32 v9, vcc_lo, v63, s12
	v_add_co_ci_u32_e32 v10, vcc_lo, s13, v64, vcc_lo
	global_store_b128 v[9:10], v[1:4], off offset:-8
	s_or_b32 exec_lo, exec_lo, s2
	s_and_saveexec_b32 s2, s3
	s_cbranch_execz .LBB95_29
.LBB95_33:                              ;   in Loop: Header=BB95_4 Depth=1
	v_add_f64 v[3:4], v[7:8], v[21:22]
	v_add_f64 v[1:2], v[5:6], v[11:12]
	v_add_co_u32 v5, vcc_lo, v59, s12
	v_add_co_ci_u32_e32 v6, vcc_lo, s13, v60, vcc_lo
	global_store_b128 v[5:6], v[1:4], off
	s_or_b32 exec_lo, exec_lo, s2
	s_and_saveexec_b32 s2, s4
	s_cbranch_execz .LBB95_30
.LBB95_34:                              ;   in Loop: Header=BB95_4 Depth=1
	v_add_f64 v[3:4], v[19:20], v[23:24]
	v_add_f64 v[1:2], v[17:18], v[13:14]
	v_add_co_u32 v5, vcc_lo, v75, s12
	v_add_co_ci_u32_e32 v6, vcc_lo, s13, v76, vcc_lo
	global_store_b128 v[5:6], v[1:4], off
	s_or_b32 exec_lo, exec_lo, s2
	s_and_saveexec_b32 s2, s5
	s_cbranch_execz .LBB95_3
.LBB95_35:                              ;   in Loop: Header=BB95_4 Depth=1
	s_delay_alu instid0(VALU_DEP_1) | instskip(NEXT) | instid1(VALU_DEP_3)
	v_add_f64 v[3:4], v[31:32], v[25:26]
	v_add_f64 v[1:2], v[29:30], v[15:16]
	v_add_co_u32 v5, vcc_lo, v77, s12
	v_add_co_ci_u32_e32 v6, vcc_lo, s13, v78, vcc_lo
	global_store_b128 v[5:6], v[1:4], off offset:-8
	s_branch .LBB95_3
.LBB95_36:
	s_mov_b32 s14, 0
.LBB95_37:
	s_delay_alu instid0(SALU_CYCLE_1)
	s_and_not1_b32 vcc_lo, exec_lo, s14
	s_cbranch_vccnz .LBB95_49
; %bb.38:
	v_dual_mov_b32 v41, 0 :: v_dual_lshlrev_b32 v40, 2, v0
	s_mov_b32 s2, 0
	s_mov_b32 s3, exec_lo
	s_delay_alu instid0(VALU_DEP_1)
	v_cmpx_gt_i64_e64 s[6:7], v[40:41]
	s_cbranch_execz .LBB95_49
; %bb.39:
	s_waitcnt lgkmcnt(0)
	v_cmp_neq_f64_e64 s3, s[8:9], 1.0
	v_cmp_neq_f64_e64 s4, s[10:11], 0
	s_load_b32 s0, s[0:1], 0xe34
	v_lshlrev_b32_e32 v46, 6, v0
	s_waitcnt lgkmcnt(0)
	s_and_b32 s0, s0, 0xffff
	s_delay_alu instid0(SALU_CYCLE_1) | instskip(NEXT) | instid1(VALU_DEP_3)
	v_add_lshl_u32 v40, v0, s0, 2
	s_or_b32 s1, s3, s4
	s_lshl_b32 s3, s0, 2
	s_lshl_b32 s4, s0, 6
	s_branch .LBB95_41
.LBB95_40:                              ;   in Loop: Header=BB95_41 Depth=1
	v_add_f64 v[10:11], v[10:11], v[44:45]
	v_add_f64 v[8:9], v[8:9], v[42:43]
	;; [unrolled: 1-line block ×8, first 2 shown]
	v_cmp_le_i64_e32 vcc_lo, s[6:7], v[40:41]
	v_cmp_lt_u64_e64 s0, 0xffff, v[40:41]
	v_add_co_u32 v16, s5, s28, v46
	s_delay_alu instid0(VALU_DEP_1)
	v_add_co_ci_u32_e64 v17, null, s29, 0, s5
	s_clause 0x3
	global_store_b128 v[16:17], v[8:11], off
	global_store_b128 v[16:17], v[4:7], off offset:16
	global_store_b128 v[16:17], v[12:15], off offset:32
	;; [unrolled: 1-line block ×3, first 2 shown]
	s_or_b32 s0, vcc_lo, s0
	s_add_u32 s22, s22, s4
	s_addc_u32 s23, s23, 0
	s_add_u32 s28, s28, s4
	s_addc_u32 s29, s29, 0
	;; [unrolled: 2-line block ×3, first 2 shown]
	v_add_co_u32 v40, vcc_lo, v40, s3
	s_add_u32 s26, s26, s4
	s_addc_u32 s27, s27, 0
	v_add_co_ci_u32_e32 v41, vcc_lo, 0, v41, vcc_lo
	s_and_b32 s0, exec_lo, s0
	s_delay_alu instid0(SALU_CYCLE_1) | instskip(NEXT) | instid1(SALU_CYCLE_1)
	s_or_b32 s2, s0, s2
	s_and_not1_b32 exec_lo, exec_lo, s2
	s_cbranch_execz .LBB95_49
.LBB95_41:                              ; =>This Inner Loop Header: Depth=1
	v_add_co_u32 v20, s0, s24, v46
	s_delay_alu instid0(VALU_DEP_1) | instskip(SKIP_1) | instid1(VALU_DEP_1)
	v_add_co_ci_u32_e64 v21, null, s25, 0, s0
	v_add_co_u32 v28, s0, s26, v46
	v_add_co_ci_u32_e64 v29, null, s27, 0, s0
	global_load_b128 v[42:45], v[20:21], off
	global_load_b128 v[47:50], v[28:29], off
	v_add_co_u32 v8, s0, s22, v46
	s_delay_alu instid0(VALU_DEP_1)
	v_add_co_ci_u32_e64 v9, null, s23, 0, s0
	global_load_b128 v[32:35], v[20:21], off offset:16
	global_load_b128 v[36:39], v[28:29], off offset:16
	s_clause 0x3
	global_load_b128 v[0:3], v[8:9], off offset:48
	global_load_b128 v[12:15], v[8:9], off offset:32
	;; [unrolled: 1-line block ×3, first 2 shown]
	global_load_b128 v[8:11], v[8:9], off
	s_clause 0x1
	global_load_b128 v[16:19], v[20:21], off offset:48
	global_load_b128 v[24:27], v[20:21], off offset:32
	s_clause 0x1
	global_load_b128 v[20:23], v[28:29], off offset:48
	global_load_b128 v[28:31], v[28:29], off offset:32
	s_and_not1_b32 vcc_lo, exec_lo, s1
	s_waitcnt vmcnt(10)
	v_mul_f64 v[51:52], v[44:45], v[49:50]
	v_mul_f64 v[49:50], v[42:43], v[49:50]
	s_delay_alu instid0(VALU_DEP_2) | instskip(NEXT) | instid1(VALU_DEP_2)
	v_fma_f64 v[42:43], v[42:43], v[47:48], -v[51:52]
	v_fma_f64 v[44:45], v[44:45], v[47:48], v[49:50]
	s_cbranch_vccnz .LBB95_43
; %bb.42:                               ;   in Loop: Header=BB95_41 Depth=1
	s_delay_alu instid0(VALU_DEP_1) | instskip(NEXT) | instid1(VALU_DEP_3)
	v_mul_f64 v[47:48], s[10:11], v[44:45]
	v_mul_f64 v[49:50], s[10:11], v[42:43]
	s_delay_alu instid0(VALU_DEP_2) | instskip(NEXT) | instid1(VALU_DEP_2)
	v_fma_f64 v[42:43], s[8:9], v[42:43], -v[47:48]
	v_fma_f64 v[44:45], s[8:9], v[44:45], v[49:50]
.LBB95_43:                              ;   in Loop: Header=BB95_41 Depth=1
	s_waitcnt vmcnt(8)
	v_mul_f64 v[47:48], v[34:35], v[38:39]
	v_mul_f64 v[38:39], v[32:33], v[38:39]
	s_and_not1_b32 vcc_lo, exec_lo, s1
	s_delay_alu instid0(VALU_DEP_2) | instskip(NEXT) | instid1(VALU_DEP_2)
	v_fma_f64 v[32:33], v[32:33], v[36:37], -v[47:48]
	v_fma_f64 v[34:35], v[34:35], v[36:37], v[38:39]
	s_cbranch_vccnz .LBB95_45
; %bb.44:                               ;   in Loop: Header=BB95_41 Depth=1
	s_delay_alu instid0(VALU_DEP_1) | instskip(NEXT) | instid1(VALU_DEP_3)
	v_mul_f64 v[36:37], s[10:11], v[34:35]
	v_mul_f64 v[38:39], s[10:11], v[32:33]
	s_delay_alu instid0(VALU_DEP_2) | instskip(NEXT) | instid1(VALU_DEP_2)
	v_fma_f64 v[32:33], s[8:9], v[32:33], -v[36:37]
	v_fma_f64 v[34:35], s[8:9], v[34:35], v[38:39]
.LBB95_45:                              ;   in Loop: Header=BB95_41 Depth=1
	s_waitcnt vmcnt(0)
	v_mul_f64 v[36:37], v[26:27], v[30:31]
	v_mul_f64 v[30:31], v[24:25], v[30:31]
	s_and_not1_b32 vcc_lo, exec_lo, s1
	s_delay_alu instid0(VALU_DEP_2) | instskip(NEXT) | instid1(VALU_DEP_2)
	v_fma_f64 v[24:25], v[24:25], v[28:29], -v[36:37]
	v_fma_f64 v[26:27], v[26:27], v[28:29], v[30:31]
	s_cbranch_vccnz .LBB95_47
; %bb.46:                               ;   in Loop: Header=BB95_41 Depth=1
	s_delay_alu instid0(VALU_DEP_1) | instskip(NEXT) | instid1(VALU_DEP_3)
	v_mul_f64 v[28:29], s[10:11], v[26:27]
	v_mul_f64 v[30:31], s[10:11], v[24:25]
	s_delay_alu instid0(VALU_DEP_2) | instskip(NEXT) | instid1(VALU_DEP_2)
	v_fma_f64 v[24:25], s[8:9], v[24:25], -v[28:29]
	v_fma_f64 v[26:27], s[8:9], v[26:27], v[30:31]
.LBB95_47:                              ;   in Loop: Header=BB95_41 Depth=1
	v_mul_f64 v[28:29], v[18:19], v[22:23]
	v_mul_f64 v[22:23], v[16:17], v[22:23]
	s_and_not1_b32 vcc_lo, exec_lo, s1
	s_delay_alu instid0(VALU_DEP_2) | instskip(NEXT) | instid1(VALU_DEP_2)
	v_fma_f64 v[16:17], v[16:17], v[20:21], -v[28:29]
	v_fma_f64 v[18:19], v[18:19], v[20:21], v[22:23]
	s_cbranch_vccnz .LBB95_40
; %bb.48:                               ;   in Loop: Header=BB95_41 Depth=1
	s_delay_alu instid0(VALU_DEP_1) | instskip(NEXT) | instid1(VALU_DEP_3)
	v_mul_f64 v[20:21], s[10:11], v[18:19]
	v_mul_f64 v[22:23], s[10:11], v[16:17]
	s_delay_alu instid0(VALU_DEP_2) | instskip(NEXT) | instid1(VALU_DEP_2)
	v_fma_f64 v[16:17], s[8:9], v[16:17], -v[20:21]
	v_fma_f64 v[18:19], s[8:9], v[18:19], v[22:23]
	s_branch .LBB95_40
.LBB95_49:
	s_nop 0
	s_sendmsg sendmsg(MSG_DEALLOC_VGPRS)
	s_endpgm
	.section	.rodata,"a",@progbits
	.p2align	6, 0x0
	.amdhsa_kernel _ZN2at6native12_GLOBAL__N_125multi_tensor_apply_kernelINS1_28TensorListScalarListMetadataIN3c107complexIdEELi4EEENS1_28PointwiseOpScalarListFunctorIS6_Li4ELi3ELi3EEEJSt10multipliesIS6_EEEEvT_T0_DpT1_
		.amdhsa_group_segment_fixed_size 0
		.amdhsa_private_segment_fixed_size 0
		.amdhsa_kernarg_size 3880
		.amdhsa_user_sgpr_count 15
		.amdhsa_user_sgpr_dispatch_ptr 0
		.amdhsa_user_sgpr_queue_ptr 0
		.amdhsa_user_sgpr_kernarg_segment_ptr 1
		.amdhsa_user_sgpr_dispatch_id 0
		.amdhsa_user_sgpr_private_segment_size 0
		.amdhsa_wavefront_size32 1
		.amdhsa_uses_dynamic_stack 0
		.amdhsa_enable_private_segment 0
		.amdhsa_system_sgpr_workgroup_id_x 1
		.amdhsa_system_sgpr_workgroup_id_y 0
		.amdhsa_system_sgpr_workgroup_id_z 0
		.amdhsa_system_sgpr_workgroup_info 0
		.amdhsa_system_vgpr_workitem_id 0
		.amdhsa_next_free_vgpr 85
		.amdhsa_next_free_sgpr 36
		.amdhsa_reserve_vcc 1
		.amdhsa_float_round_mode_32 0
		.amdhsa_float_round_mode_16_64 0
		.amdhsa_float_denorm_mode_32 3
		.amdhsa_float_denorm_mode_16_64 3
		.amdhsa_dx10_clamp 1
		.amdhsa_ieee_mode 1
		.amdhsa_fp16_overflow 0
		.amdhsa_workgroup_processor_mode 1
		.amdhsa_memory_ordered 1
		.amdhsa_forward_progress 0
		.amdhsa_shared_vgpr_count 0
		.amdhsa_exception_fp_ieee_invalid_op 0
		.amdhsa_exception_fp_denorm_src 0
		.amdhsa_exception_fp_ieee_div_zero 0
		.amdhsa_exception_fp_ieee_overflow 0
		.amdhsa_exception_fp_ieee_underflow 0
		.amdhsa_exception_fp_ieee_inexact 0
		.amdhsa_exception_int_div_zero 0
	.end_amdhsa_kernel
	.section	.text._ZN2at6native12_GLOBAL__N_125multi_tensor_apply_kernelINS1_28TensorListScalarListMetadataIN3c107complexIdEELi4EEENS1_28PointwiseOpScalarListFunctorIS6_Li4ELi3ELi3EEEJSt10multipliesIS6_EEEEvT_T0_DpT1_,"axG",@progbits,_ZN2at6native12_GLOBAL__N_125multi_tensor_apply_kernelINS1_28TensorListScalarListMetadataIN3c107complexIdEELi4EEENS1_28PointwiseOpScalarListFunctorIS6_Li4ELi3ELi3EEEJSt10multipliesIS6_EEEEvT_T0_DpT1_,comdat
.Lfunc_end95:
	.size	_ZN2at6native12_GLOBAL__N_125multi_tensor_apply_kernelINS1_28TensorListScalarListMetadataIN3c107complexIdEELi4EEENS1_28PointwiseOpScalarListFunctorIS6_Li4ELi3ELi3EEEJSt10multipliesIS6_EEEEvT_T0_DpT1_, .Lfunc_end95-_ZN2at6native12_GLOBAL__N_125multi_tensor_apply_kernelINS1_28TensorListScalarListMetadataIN3c107complexIdEELi4EEENS1_28PointwiseOpScalarListFunctorIS6_Li4ELi3ELi3EEEJSt10multipliesIS6_EEEEvT_T0_DpT1_
                                        ; -- End function
	.section	.AMDGPU.csdata,"",@progbits
; Kernel info:
; codeLenInByte = 3024
; NumSgprs: 38
; NumVgprs: 85
; ScratchSize: 0
; MemoryBound: 1
; FloatMode: 240
; IeeeMode: 1
; LDSByteSize: 0 bytes/workgroup (compile time only)
; SGPRBlocks: 4
; VGPRBlocks: 10
; NumSGPRsForWavesPerEU: 38
; NumVGPRsForWavesPerEU: 85
; Occupancy: 16
; WaveLimiterHint : 0
; COMPUTE_PGM_RSRC2:SCRATCH_EN: 0
; COMPUTE_PGM_RSRC2:USER_SGPR: 15
; COMPUTE_PGM_RSRC2:TRAP_HANDLER: 0
; COMPUTE_PGM_RSRC2:TGID_X_EN: 1
; COMPUTE_PGM_RSRC2:TGID_Y_EN: 0
; COMPUTE_PGM_RSRC2:TGID_Z_EN: 0
; COMPUTE_PGM_RSRC2:TIDIG_COMP_CNT: 0
	.section	.text._ZN2at6native12_GLOBAL__N_125multi_tensor_apply_kernelINS1_28TensorListScalarListMetadataIN3c107complexIfEELi4EEENS1_28PointwiseOpScalarListFunctorIS6_Li4ELi3ELi3EEEJSt10multipliesIS6_EEEEvT_T0_DpT1_,"axG",@progbits,_ZN2at6native12_GLOBAL__N_125multi_tensor_apply_kernelINS1_28TensorListScalarListMetadataIN3c107complexIfEELi4EEENS1_28PointwiseOpScalarListFunctorIS6_Li4ELi3ELi3EEEJSt10multipliesIS6_EEEEvT_T0_DpT1_,comdat
	.globl	_ZN2at6native12_GLOBAL__N_125multi_tensor_apply_kernelINS1_28TensorListScalarListMetadataIN3c107complexIfEELi4EEENS1_28PointwiseOpScalarListFunctorIS6_Li4ELi3ELi3EEEJSt10multipliesIS6_EEEEvT_T0_DpT1_ ; -- Begin function _ZN2at6native12_GLOBAL__N_125multi_tensor_apply_kernelINS1_28TensorListScalarListMetadataIN3c107complexIfEELi4EEENS1_28PointwiseOpScalarListFunctorIS6_Li4ELi3ELi3EEEJSt10multipliesIS6_EEEEvT_T0_DpT1_
	.p2align	8
	.type	_ZN2at6native12_GLOBAL__N_125multi_tensor_apply_kernelINS1_28TensorListScalarListMetadataIN3c107complexIfEELi4EEENS1_28PointwiseOpScalarListFunctorIS6_Li4ELi3ELi3EEEJSt10multipliesIS6_EEEEvT_T0_DpT1_,@function
_ZN2at6native12_GLOBAL__N_125multi_tensor_apply_kernelINS1_28TensorListScalarListMetadataIN3c107complexIfEELi4EEENS1_28PointwiseOpScalarListFunctorIS6_Li4ELi3ELi3EEEJSt10multipliesIS6_EEEEvT_T0_DpT1_: ; @_ZN2at6native12_GLOBAL__N_125multi_tensor_apply_kernelINS1_28TensorListScalarListMetadataIN3c107complexIfEELi4EEENS1_28PointwiseOpScalarListFunctorIS6_Li4ELi3ELi3EEEJSt10multipliesIS6_EEEEvT_T0_DpT1_
; %bb.0:
	v_mov_b32_e32 v1, s15
	s_add_u32 s2, s0, s15
	s_mul_hi_u32 s3, s15, 3
	s_mul_i32 s15, s15, 3
	s_addc_u32 s4, s1, 0
	global_load_u8 v1, v1, s[0:1] offset:1728
	s_add_u32 s2, s2, s15
	s_addc_u32 s3, s4, s3
	s_mov_b32 s17, 0
	s_load_b32 s2, s[2:3], 0x800
	s_mov_b32 s31, s17
	s_waitcnt lgkmcnt(0)
	s_ashr_i32 s3, s2, 31
	s_delay_alu instid0(SALU_CYCLE_1) | instskip(SKIP_2) | instid1(VALU_DEP_1)
	s_lshl_b64 s[12:13], s[2:3], 19
	s_waitcnt vmcnt(0)
	v_readfirstlane_b32 s5, v1
	s_lshl_b32 s10, s5, 3
	s_clause 0x5
	s_load_b64 s[4:5], s[0:1], s10 offset:0x0
	s_load_b64 s[6:7], s[0:1], s10 offset:0x120
	;; [unrolled: 1-line block ×6, first 2 shown]
	s_waitcnt lgkmcnt(0)
	s_add_u32 s22, s4, s12
	s_addc_u32 s23, s5, s13
	s_add_u32 s24, s6, s12
	s_addc_u32 s25, s7, s13
	s_and_b32 s16, s24, 31
	s_add_u32 s26, s18, s12
	s_addc_u32 s27, s19, s13
	s_add_u32 s28, s20, s12
	s_addc_u32 s29, s21, s13
	s_or_b32 s10, s28, s26
	s_delay_alu instid0(SALU_CYCLE_1) | instskip(NEXT) | instid1(SALU_CYCLE_1)
	s_and_b32 s10, s10, 31
	s_cmp_eq_u32 s10, 0
	s_cselect_b32 s10, -1, 0
	s_and_b32 s30, s22, 31
	s_cmp_eq_u64 s[16:17], 0
	s_cselect_b32 s11, -1, 0
	s_lshl_b64 s[2:3], s[2:3], 16
	s_and_b32 s33, s10, s11
	s_sub_u32 s10, s14, s2
	s_subb_u32 s11, s15, s3
	s_and_b32 s16, s14, 3
	s_delay_alu instid0(SALU_CYCLE_1) | instskip(NEXT) | instid1(SALU_CYCLE_1)
	s_or_b64 s[2:3], s[30:31], s[16:17]
	s_cmp_eq_u64 s[2:3], 0
	s_cselect_b32 s2, -1, 0
	s_delay_alu instid0(SALU_CYCLE_1) | instskip(NEXT) | instid1(SALU_CYCLE_1)
	s_and_b32 s2, s33, s2
	s_and_b32 vcc_lo, exec_lo, s2
	s_mov_b32 s2, -1
	s_cbranch_vccnz .LBB96_29
; %bb.1:
	v_cmp_lt_i64_e64 s2, s[10:11], 1
	s_delay_alu instid0(VALU_DEP_1)
	s_and_b32 vcc_lo, exec_lo, s2
	s_cbranch_vccnz .LBB96_28
; %bb.2:
	s_load_b32 s2, s[0:1], 0xd14
	v_dual_mov_b32 v1, 0 :: v_dual_lshlrev_b32 v2, 3, v0
	v_cmp_gt_u64_e64 s3, 0x10000, s[10:11]
	v_cmp_eq_f32_e64 s14, s8, 1.0
	s_mov_b32 s15, 0
	s_delay_alu instid0(VALU_DEP_3) | instskip(SKIP_1) | instid1(VALU_DEP_1)
	v_mov_b32_e32 v3, v1
	v_add_co_u32 v27, s16, s4, v2
	v_add_co_ci_u32_e64 v28, null, s5, 0, s16
	v_add_co_u32 v29, s16, s6, v2
	s_delay_alu instid0(VALU_DEP_1)
	v_add_co_ci_u32_e64 v30, null, s7, 0, s16
	s_waitcnt lgkmcnt(0)
	s_and_b32 s30, s2, 0xffff
	s_and_b32 s2, s3, exec_lo
	s_cselect_b32 s17, s11, 0
	s_cselect_b32 s16, s10, 0x10000
	s_and_b32 s2, s9, 0x7fffffff
	s_lshl_b32 s31, s30, 1
	s_cmp_eq_u32 s2, 0
	v_add_co_u32 v6, s2, v2, s20
	v_mad_u64_u32 v[4:5], null, s30, 24, v[2:3]
	v_add_co_ci_u32_e64 v7, null, 0, s21, s2
	s_delay_alu instid0(VALU_DEP_3) | instskip(SKIP_1) | instid1(VALU_DEP_3)
	v_add_co_u32 v33, vcc_lo, v6, 4
	v_add_co_u32 v31, s3, s18, v2
	v_add_co_ci_u32_e32 v34, vcc_lo, 0, v7, vcc_lo
	v_add_co_u32 v35, vcc_lo, s4, v4
	v_add_co_ci_u32_e32 v36, vcc_lo, s5, v5, vcc_lo
	v_add_co_u32 v37, vcc_lo, s6, v4
	;; [unrolled: 2-line block ×4, first 2 shown]
	s_cselect_b32 s2, -1, 0
	v_add_co_ci_u32_e64 v32, null, s19, 0, s3
	s_lshl_b32 s3, s30, 4
	v_add_co_ci_u32_e32 v4, vcc_lo, s21, v5, vcc_lo
	v_add_co_u32 v2, s3, s3, v2
	s_delay_alu instid0(VALU_DEP_1) | instskip(SKIP_1) | instid1(VALU_DEP_4)
	v_add_co_ci_u32_e64 v5, null, 0, 0, s3
	v_add_co_u32 v41, vcc_lo, v3, 4
	v_add_co_ci_u32_e32 v42, vcc_lo, 0, v4, vcc_lo
	s_delay_alu instid0(VALU_DEP_4) | instskip(NEXT) | instid1(VALU_DEP_4)
	v_add_co_u32 v43, vcc_lo, s4, v2
	v_add_co_ci_u32_e32 v44, vcc_lo, s5, v5, vcc_lo
	v_add_co_u32 v45, vcc_lo, s6, v2
	v_add_lshl_u32 v3, v0, s30, 3
	v_add_co_ci_u32_e32 v46, vcc_lo, s7, v5, vcc_lo
	v_add_co_u32 v47, vcc_lo, s18, v2
	v_add_co_ci_u32_e32 v48, vcc_lo, s19, v5, vcc_lo
	s_delay_alu instid0(VALU_DEP_4)
	v_add_co_u32 v49, s3, s20, v3
	v_add_co_u32 v2, vcc_lo, v2, s20
	v_add_co_ci_u32_e64 v50, null, s21, 0, s3
	v_add_co_u32 v53, s3, s4, v3
	v_add_co_ci_u32_e32 v4, vcc_lo, s21, v5, vcc_lo
	v_add_co_ci_u32_e64 v54, null, s5, 0, s3
	v_add_co_u32 v55, s3, s6, v3
	v_add_co_u32 v51, vcc_lo, v2, 4
	v_add_co_ci_u32_e64 v56, null, s7, 0, s3
	v_add_co_u32 v57, s3, s18, v3
	v_mov_b32_e32 v2, v1
	v_add_co_ci_u32_e32 v52, vcc_lo, 0, v4, vcc_lo
	v_add_co_ci_u32_e64 v58, null, s19, 0, s3
	v_mov_b32_e32 v1, v0
	s_and_b32 s2, s14, s2
	s_lshl_b32 s14, s30, 2
	s_mul_i32 s33, s30, 3
	s_lshl_b32 s7, s30, 5
	s_mov_b64 s[18:19], s[14:15]
	s_branch .LBB96_4
.LBB96_3:                               ;   in Loop: Header=BB96_4 Depth=1
	s_or_b32 exec_lo, exec_lo, s3
	v_add_co_u32 v27, vcc_lo, v27, s7
	v_add_co_ci_u32_e32 v28, vcc_lo, 0, v28, vcc_lo
	v_add_co_u32 v29, vcc_lo, v29, s7
	v_add_co_ci_u32_e32 v30, vcc_lo, 0, v30, vcc_lo
	;; [unrolled: 2-line block ×15, first 2 shown]
	v_cmp_lt_i64_e64 s3, s[18:19], s[10:11]
	v_cmp_gt_u64_e64 s4, 0x10000, s[18:19]
	v_add_co_u32 v55, vcc_lo, v55, s7
	v_add_co_ci_u32_e32 v56, vcc_lo, 0, v56, vcc_lo
	v_add_co_u32 v57, vcc_lo, v57, s7
	v_add_co_ci_u32_e32 v58, vcc_lo, 0, v58, vcc_lo
	s_and_b32 s3, s3, s4
	s_add_u32 s18, s18, s14
	s_addc_u32 s19, s19, 0
	s_and_b32 vcc_lo, exec_lo, s3
	s_cbranch_vccz .LBB96_28
.LBB96_4:                               ; =>This Inner Loop Header: Depth=1
	v_cmp_gt_u64_e32 vcc_lo, s[16:17], v[1:2]
	s_waitcnt vmcnt(0)
	v_dual_mov_b32 v6, 0 :: v_dual_mov_b32 v5, 0
	v_dual_mov_b32 v4, 0 :: v_dual_mov_b32 v3, 0
	s_and_saveexec_b32 s4, vcc_lo
	s_cbranch_execz .LBB96_6
; %bb.5:                                ;   in Loop: Header=BB96_4 Depth=1
	v_add_co_u32 v3, s3, v27, s12
	s_delay_alu instid0(VALU_DEP_1) | instskip(SKIP_1) | instid1(VALU_DEP_1)
	v_add_co_ci_u32_e64 v4, s3, s13, v28, s3
	v_add_co_u32 v5, s3, v29, s12
	v_add_co_ci_u32_e64 v6, s3, s13, v30, s3
	global_load_b64 v[3:4], v[3:4], off
	global_load_b64 v[5:6], v[5:6], off
.LBB96_6:                               ;   in Loop: Header=BB96_4 Depth=1
	s_or_b32 exec_lo, exec_lo, s4
	v_dual_mov_b32 v8, 0 :: v_dual_mov_b32 v11, 0
	v_mov_b32_e32 v12, 0
	s_and_saveexec_b32 s4, vcc_lo
	s_cbranch_execz .LBB96_8
; %bb.7:                                ;   in Loop: Header=BB96_4 Depth=1
	v_add_co_u32 v9, s3, v31, s12
	s_delay_alu instid0(VALU_DEP_1)
	v_add_co_ci_u32_e64 v10, s3, s13, v32, s3
	global_load_b64 v[11:12], v[9:10], off
.LBB96_8:                               ;   in Loop: Header=BB96_4 Depth=1
	s_or_b32 exec_lo, exec_lo, s4
	v_add_co_u32 v9, s3, s30, v1
	s_delay_alu instid0(VALU_DEP_1) | instskip(SKIP_1) | instid1(VALU_DEP_2)
	v_add_co_ci_u32_e64 v10, s3, 0, v2, s3
	v_mov_b32_e32 v7, 0
	v_cmp_gt_u64_e64 s3, s[16:17], v[9:10]
	v_dual_mov_b32 v10, 0 :: v_dual_mov_b32 v9, 0
	s_delay_alu instid0(VALU_DEP_2)
	s_and_saveexec_b32 s5, s3
	s_cbranch_execz .LBB96_10
; %bb.9:                                ;   in Loop: Header=BB96_4 Depth=1
	v_add_co_u32 v7, s4, v53, s12
	s_delay_alu instid0(VALU_DEP_1) | instskip(SKIP_1) | instid1(VALU_DEP_1)
	v_add_co_ci_u32_e64 v8, s4, s13, v54, s4
	v_add_co_u32 v13, s4, v55, s12
	v_add_co_ci_u32_e64 v14, s4, s13, v56, s4
	global_load_b64 v[9:10], v[7:8], off
	global_load_b64 v[7:8], v[13:14], off
.LBB96_10:                              ;   in Loop: Header=BB96_4 Depth=1
	s_or_b32 exec_lo, exec_lo, s5
	v_dual_mov_b32 v14, 0 :: v_dual_mov_b32 v17, 0
	v_mov_b32_e32 v18, 0
	s_and_saveexec_b32 s5, s3
	s_cbranch_execz .LBB96_12
; %bb.11:                               ;   in Loop: Header=BB96_4 Depth=1
	v_add_co_u32 v15, s4, v57, s12
	s_delay_alu instid0(VALU_DEP_1)
	v_add_co_ci_u32_e64 v16, s4, s13, v58, s4
	global_load_b64 v[17:18], v[15:16], off
.LBB96_12:                              ;   in Loop: Header=BB96_4 Depth=1
	s_or_b32 exec_lo, exec_lo, s5
	v_add_co_u32 v15, s4, s31, v1
	s_delay_alu instid0(VALU_DEP_1) | instskip(SKIP_1) | instid1(VALU_DEP_2)
	v_add_co_ci_u32_e64 v16, s4, 0, v2, s4
	v_mov_b32_e32 v13, 0
	v_cmp_gt_u64_e64 s4, s[16:17], v[15:16]
	v_dual_mov_b32 v16, 0 :: v_dual_mov_b32 v15, 0
	s_delay_alu instid0(VALU_DEP_2)
	s_and_saveexec_b32 s6, s4
	s_cbranch_execz .LBB96_14
; %bb.13:                               ;   in Loop: Header=BB96_4 Depth=1
	v_add_co_u32 v13, s5, v43, s12
	s_delay_alu instid0(VALU_DEP_1) | instskip(SKIP_1) | instid1(VALU_DEP_1)
	v_add_co_ci_u32_e64 v14, s5, s13, v44, s5
	v_add_co_u32 v19, s5, v45, s12
	v_add_co_ci_u32_e64 v20, s5, s13, v46, s5
	global_load_b64 v[15:16], v[13:14], off
	global_load_b64 v[13:14], v[19:20], off
.LBB96_14:                              ;   in Loop: Header=BB96_4 Depth=1
	s_or_b32 exec_lo, exec_lo, s6
	v_dual_mov_b32 v20, 0 :: v_dual_mov_b32 v23, 0
	v_mov_b32_e32 v24, 0
	s_and_saveexec_b32 s6, s4
	s_cbranch_execz .LBB96_16
; %bb.15:                               ;   in Loop: Header=BB96_4 Depth=1
	v_add_co_u32 v21, s5, v47, s12
	s_delay_alu instid0(VALU_DEP_1)
	v_add_co_ci_u32_e64 v22, s5, s13, v48, s5
	global_load_b64 v[23:24], v[21:22], off
.LBB96_16:                              ;   in Loop: Header=BB96_4 Depth=1
	s_or_b32 exec_lo, exec_lo, s6
	v_add_co_u32 v21, s5, s33, v1
	s_delay_alu instid0(VALU_DEP_1) | instskip(SKIP_1) | instid1(VALU_DEP_2)
	v_add_co_ci_u32_e64 v22, s5, 0, v2, s5
	v_mov_b32_e32 v19, 0
	v_cmp_gt_u64_e64 s5, s[16:17], v[21:22]
	v_dual_mov_b32 v22, 0 :: v_dual_mov_b32 v21, 0
	s_delay_alu instid0(VALU_DEP_2)
	s_and_saveexec_b32 s15, s5
	s_cbranch_execz .LBB96_18
; %bb.17:                               ;   in Loop: Header=BB96_4 Depth=1
	v_add_co_u32 v19, s6, v35, s12
	s_delay_alu instid0(VALU_DEP_1) | instskip(SKIP_1) | instid1(VALU_DEP_1)
	v_add_co_ci_u32_e64 v20, s6, s13, v36, s6
	v_add_co_u32 v25, s6, v37, s12
	v_add_co_ci_u32_e64 v26, s6, s13, v38, s6
	global_load_b64 v[21:22], v[19:20], off
	global_load_b64 v[19:20], v[25:26], off
.LBB96_18:                              ;   in Loop: Header=BB96_4 Depth=1
	s_or_b32 exec_lo, exec_lo, s15
	v_dual_mov_b32 v26, 0 :: v_dual_mov_b32 v25, 0
	s_and_saveexec_b32 s15, s5
	s_cbranch_execnz .LBB96_23
; %bb.19:                               ;   in Loop: Header=BB96_4 Depth=1
	s_or_b32 exec_lo, exec_lo, s15
	s_and_saveexec_b32 s6, vcc_lo
	s_cbranch_execnz .LBB96_24
.LBB96_20:                              ;   in Loop: Header=BB96_4 Depth=1
	s_or_b32 exec_lo, exec_lo, s6
	s_and_saveexec_b32 s6, s3
	s_cbranch_execnz .LBB96_25
.LBB96_21:                              ;   in Loop: Header=BB96_4 Depth=1
	s_or_b32 exec_lo, exec_lo, s6
	s_and_saveexec_b32 s3, s4
	s_cbranch_execnz .LBB96_26
.LBB96_22:                              ;   in Loop: Header=BB96_4 Depth=1
	s_or_b32 exec_lo, exec_lo, s3
	s_and_saveexec_b32 s3, s5
	s_cbranch_execz .LBB96_3
	s_branch .LBB96_27
.LBB96_23:                              ;   in Loop: Header=BB96_4 Depth=1
	v_add_co_u32 v25, s6, v39, s12
	s_delay_alu instid0(VALU_DEP_1)
	v_add_co_ci_u32_e64 v26, s6, s13, v40, s6
	global_load_b64 v[25:26], v[25:26], off
	s_or_b32 exec_lo, exec_lo, s15
	s_and_saveexec_b32 s6, vcc_lo
	s_cbranch_execz .LBB96_20
.LBB96_24:                              ;   in Loop: Header=BB96_4 Depth=1
	s_waitcnt vmcnt(0)
	v_mul_f32_e32 v59, v6, v12
	v_mul_f32_e32 v6, v6, v11
	s_delay_alu instid0(VALU_DEP_1) | instskip(NEXT) | instid1(VALU_DEP_1)
	v_fmac_f32_e32 v6, v5, v12
	v_mul_f32_e32 v12, s9, v6
	s_delay_alu instid0(VALU_DEP_4) | instskip(NEXT) | instid1(VALU_DEP_1)
	v_fma_f32 v11, v5, v11, -v59
	v_mul_f32_e32 v5, s9, v11
	s_delay_alu instid0(VALU_DEP_3) | instskip(NEXT) | instid1(VALU_DEP_2)
	v_fma_f32 v12, v11, s8, -v12
	v_fmac_f32_e32 v5, s8, v6
	s_delay_alu instid0(VALU_DEP_1) | instskip(NEXT) | instid1(VALU_DEP_3)
	v_cndmask_b32_e64 v5, v5, v6, s2
	v_cndmask_b32_e64 v6, v12, v11, s2
	s_delay_alu instid0(VALU_DEP_1)
	v_dual_add_f32 v4, v4, v5 :: v_dual_add_f32 v3, v3, v6
	v_add_co_u32 v5, vcc_lo, v33, s12
	v_add_co_ci_u32_e32 v6, vcc_lo, s13, v34, vcc_lo
	global_store_b64 v[5:6], v[3:4], off offset:-4
	s_or_b32 exec_lo, exec_lo, s6
	s_and_saveexec_b32 s6, s3
	s_cbranch_execz .LBB96_21
.LBB96_25:                              ;   in Loop: Header=BB96_4 Depth=1
	s_waitcnt vmcnt(0)
	v_mul_f32_e32 v4, v8, v18
	s_delay_alu instid0(VALU_DEP_1) | instskip(NEXT) | instid1(VALU_DEP_1)
	v_fma_f32 v4, v7, v17, -v4
	v_dual_mul_f32 v3, v8, v17 :: v_dual_mul_f32 v6, s9, v4
	s_delay_alu instid0(VALU_DEP_1) | instskip(NEXT) | instid1(VALU_DEP_1)
	v_fmac_f32_e32 v3, v7, v18
	v_mul_f32_e32 v5, s9, v3
	s_delay_alu instid0(VALU_DEP_1) | instskip(NEXT) | instid1(VALU_DEP_1)
	v_fma_f32 v5, v4, s8, -v5
	v_cndmask_b32_e64 v4, v5, v4, s2
	v_fmac_f32_e32 v6, s8, v3
	s_delay_alu instid0(VALU_DEP_1) | instskip(NEXT) | instid1(VALU_DEP_1)
	v_cndmask_b32_e64 v5, v6, v3, s2
	v_dual_add_f32 v3, v9, v4 :: v_dual_add_f32 v4, v10, v5
	v_add_co_u32 v5, vcc_lo, v49, s12
	v_add_co_ci_u32_e32 v6, vcc_lo, s13, v50, vcc_lo
	global_store_b64 v[5:6], v[3:4], off
	s_or_b32 exec_lo, exec_lo, s6
	s_and_saveexec_b32 s3, s4
	s_cbranch_execz .LBB96_22
.LBB96_26:                              ;   in Loop: Header=BB96_4 Depth=1
	s_waitcnt vmcnt(0)
	v_mul_f32_e32 v4, v14, v24
	s_delay_alu instid0(VALU_DEP_1) | instskip(NEXT) | instid1(VALU_DEP_1)
	v_fma_f32 v4, v13, v23, -v4
	v_dual_mul_f32 v3, v14, v23 :: v_dual_mul_f32 v6, s9, v4
	s_delay_alu instid0(VALU_DEP_1) | instskip(NEXT) | instid1(VALU_DEP_1)
	v_fmac_f32_e32 v3, v13, v24
	v_mul_f32_e32 v5, s9, v3
	s_delay_alu instid0(VALU_DEP_1) | instskip(NEXT) | instid1(VALU_DEP_1)
	v_fma_f32 v5, v4, s8, -v5
	v_cndmask_b32_e64 v4, v5, v4, s2
	v_fmac_f32_e32 v6, s8, v3
	s_delay_alu instid0(VALU_DEP_1) | instskip(NEXT) | instid1(VALU_DEP_1)
	v_cndmask_b32_e64 v5, v6, v3, s2
	v_dual_add_f32 v3, v15, v4 :: v_dual_add_f32 v4, v16, v5
	v_add_co_u32 v5, vcc_lo, v51, s12
	v_add_co_ci_u32_e32 v6, vcc_lo, s13, v52, vcc_lo
	global_store_b64 v[5:6], v[3:4], off offset:-4
	s_or_b32 exec_lo, exec_lo, s3
	s_and_saveexec_b32 s3, s5
	s_cbranch_execz .LBB96_3
.LBB96_27:                              ;   in Loop: Header=BB96_4 Depth=1
	s_waitcnt vmcnt(0)
	v_mul_f32_e32 v4, v20, v26
	s_delay_alu instid0(VALU_DEP_1) | instskip(NEXT) | instid1(VALU_DEP_1)
	v_fma_f32 v4, v19, v25, -v4
	v_dual_mul_f32 v3, v20, v25 :: v_dual_mul_f32 v6, s9, v4
	s_delay_alu instid0(VALU_DEP_1) | instskip(NEXT) | instid1(VALU_DEP_1)
	v_fmac_f32_e32 v3, v19, v26
	v_mul_f32_e32 v5, s9, v3
	s_delay_alu instid0(VALU_DEP_1) | instskip(NEXT) | instid1(VALU_DEP_1)
	v_fma_f32 v5, v4, s8, -v5
	v_cndmask_b32_e64 v4, v5, v4, s2
	v_fmac_f32_e32 v6, s8, v3
	s_delay_alu instid0(VALU_DEP_1) | instskip(NEXT) | instid1(VALU_DEP_1)
	v_cndmask_b32_e64 v5, v6, v3, s2
	v_dual_add_f32 v3, v21, v4 :: v_dual_add_f32 v4, v22, v5
	v_add_co_u32 v5, vcc_lo, v41, s12
	v_add_co_ci_u32_e32 v6, vcc_lo, s13, v42, vcc_lo
	global_store_b64 v[5:6], v[3:4], off offset:-4
	s_branch .LBB96_3
.LBB96_28:
	s_mov_b32 s2, 0
.LBB96_29:
	s_delay_alu instid0(SALU_CYCLE_1)
	s_and_not1_b32 vcc_lo, exec_lo, s2
	s_cbranch_vccnz .LBB96_33
; %bb.30:
	v_dual_mov_b32 v2, 0 :: v_dual_lshlrev_b32 v1, 2, v0
	s_mov_b32 s3, 0
	s_mov_b32 s2, exec_lo
	s_delay_alu instid0(VALU_DEP_1)
	v_cmpx_gt_i64_e64 s[10:11], v[1:2]
	s_cbranch_execz .LBB96_33
; %bb.31:
	s_load_b32 s0, s[0:1], 0xd14
	s_and_b32 s1, s9, 0x7fffffff
	s_delay_alu instid0(SALU_CYCLE_1)
	s_cmp_eq_u32 s1, 0
	v_cmp_eq_f32_e64 s1, s8, 1.0
	s_cselect_b32 s2, -1, 0
	s_delay_alu instid0(VALU_DEP_1) | instid1(SALU_CYCLE_1)
	s_and_b32 vcc_lo, s1, s2
	s_waitcnt lgkmcnt(0)
	s_and_b32 s0, s0, 0xffff
	s_delay_alu instid0(SALU_CYCLE_1)
	v_add_lshl_u32 v1, v0, s0, 2
	v_lshlrev_b32_e32 v0, 5, v0
	s_lshl_b32 s4, s0, 2
	s_lshl_b32 s5, s0, 5
.LBB96_32:                              ; =>This Inner Loop Header: Depth=1
	s_waitcnt vmcnt(0)
	s_delay_alu instid0(VALU_DEP_1) | instskip(NEXT) | instid1(VALU_DEP_1)
	v_add_co_u32 v11, s0, s24, v0
	v_add_co_ci_u32_e64 v12, null, s25, 0, s0
	v_add_co_u32 v15, s0, s26, v0
	s_delay_alu instid0(VALU_DEP_1)
	v_add_co_ci_u32_e64 v16, null, s27, 0, s0
	global_load_b128 v[3:6], v[11:12], off
	global_load_b128 v[7:10], v[15:16], off
	global_load_b128 v[11:14], v[11:12], off offset:16
	global_load_b128 v[15:18], v[15:16], off offset:16
	v_add_co_u32 v23, s0, s22, v0
	s_delay_alu instid0(VALU_DEP_1)
	v_add_co_ci_u32_e64 v24, null, s23, 0, s0
	s_clause 0x1
	global_load_b128 v[19:22], v[23:24], off
	global_load_b128 v[23:26], v[23:24], off offset:16
	v_cmp_le_i64_e64 s0, s[10:11], v[1:2]
	v_cmp_lt_u64_e64 s1, 0xffff, v[1:2]
	v_add_co_u32 v27, s2, s28, v0
	s_delay_alu instid0(VALU_DEP_1) | instskip(SKIP_1) | instid1(VALU_DEP_4)
	v_add_co_ci_u32_e64 v28, null, s29, 0, s2
	v_add_co_u32 v1, s2, v1, s4
	s_or_b32 s0, s0, s1
	s_add_u32 s22, s22, s5
	s_addc_u32 s23, s23, 0
	s_add_u32 s28, s28, s5
	s_addc_u32 s29, s29, 0
	;; [unrolled: 2-line block ×3, first 2 shown]
	s_add_u32 s26, s26, s5
	v_add_co_ci_u32_e64 v2, s2, 0, v2, s2
	s_addc_u32 s27, s27, 0
	s_and_b32 s0, exec_lo, s0
	s_delay_alu instid0(SALU_CYCLE_1)
	s_or_b32 s3, s0, s3
	s_waitcnt vmcnt(4)
	v_dual_mul_f32 v29, v4, v8 :: v_dual_mul_f32 v30, v6, v10
	v_mul_f32_e32 v8, v3, v8
	s_waitcnt vmcnt(2)
	v_dual_mul_f32 v10, v5, v10 :: v_dual_mul_f32 v31, v12, v16
	s_delay_alu instid0(VALU_DEP_3) | instskip(NEXT) | instid1(VALU_DEP_3)
	v_fma_f32 v3, v3, v7, -v29
	v_fmac_f32_e32 v8, v4, v7
	s_delay_alu instid0(VALU_DEP_3)
	v_fmac_f32_e32 v10, v6, v9
	v_mul_f32_e32 v16, v11, v16
	v_mul_f32_e32 v32, v14, v18
	v_fma_f32 v4, v5, v9, -v30
	v_mul_f32_e32 v7, s9, v8
	v_fma_f32 v5, v11, v15, -v31
	v_mul_f32_e32 v9, s9, v3
	v_dual_mul_f32 v11, s9, v10 :: v_dual_fmac_f32 v16, v12, v15
	v_mul_f32_e32 v18, v13, v18
	v_fma_f32 v6, v13, v17, -v32
	v_fma_f32 v7, v3, s8, -v7
	s_delay_alu instid0(VALU_DEP_4) | instskip(NEXT) | instid1(VALU_DEP_4)
	v_fma_f32 v11, v4, s8, -v11
	v_dual_mul_f32 v13, s9, v16 :: v_dual_fmac_f32 v18, v14, v17
	s_delay_alu instid0(VALU_DEP_4) | instskip(NEXT) | instid1(VALU_DEP_4)
	v_mul_f32_e32 v17, s9, v6
	v_dual_cndmask_b32 v3, v7, v3 :: v_dual_mul_f32 v12, s9, v4
	s_delay_alu instid0(VALU_DEP_3) | instskip(NEXT) | instid1(VALU_DEP_4)
	v_fma_f32 v13, v5, s8, -v13
	v_mul_f32_e32 v15, s9, v18
	s_delay_alu instid0(VALU_DEP_4) | instskip(SKIP_4) | instid1(VALU_DEP_3)
	v_fmac_f32_e32 v17, s8, v18
	v_dual_fmac_f32 v9, s8, v8 :: v_dual_mul_f32 v14, s9, v5
	s_waitcnt vmcnt(1)
	v_add_f32_e32 v3, v19, v3
	v_fma_f32 v15, v6, s8, -v15
	v_cndmask_b32_e32 v7, v9, v8, vcc_lo
	v_fmac_f32_e32 v14, s8, v16
	v_fmac_f32_e32 v12, s8, v10
	v_cndmask_b32_e32 v8, v11, v4, vcc_lo
	s_delay_alu instid0(VALU_DEP_3) | instskip(NEXT) | instid1(VALU_DEP_3)
	v_cndmask_b32_e32 v11, v14, v16, vcc_lo
	v_dual_cndmask_b32 v9, v12, v10 :: v_dual_cndmask_b32 v10, v13, v5
	v_cndmask_b32_e32 v13, v17, v18, vcc_lo
	s_delay_alu instid0(VALU_DEP_4) | instskip(SKIP_1) | instid1(VALU_DEP_3)
	v_dual_cndmask_b32 v12, v15, v6 :: v_dual_add_f32 v5, v21, v8
	s_waitcnt vmcnt(0)
	v_dual_add_f32 v4, v20, v7 :: v_dual_add_f32 v7, v23, v10
	s_delay_alu instid0(VALU_DEP_2)
	v_dual_add_f32 v6, v22, v9 :: v_dual_add_f32 v9, v25, v12
	v_add_f32_e32 v8, v24, v11
	v_add_f32_e32 v10, v26, v13
	s_clause 0x1
	global_store_b128 v[27:28], v[3:6], off
	global_store_b128 v[27:28], v[7:10], off offset:16
	s_and_not1_b32 exec_lo, exec_lo, s3
	s_cbranch_execnz .LBB96_32
.LBB96_33:
	s_nop 0
	s_sendmsg sendmsg(MSG_DEALLOC_VGPRS)
	s_endpgm
	.section	.rodata,"a",@progbits
	.p2align	6, 0x0
	.amdhsa_kernel _ZN2at6native12_GLOBAL__N_125multi_tensor_apply_kernelINS1_28TensorListScalarListMetadataIN3c107complexIfEELi4EEENS1_28PointwiseOpScalarListFunctorIS6_Li4ELi3ELi3EEEJSt10multipliesIS6_EEEEvT_T0_DpT1_
		.amdhsa_group_segment_fixed_size 0
		.amdhsa_private_segment_fixed_size 0
		.amdhsa_kernarg_size 3592
		.amdhsa_user_sgpr_count 15
		.amdhsa_user_sgpr_dispatch_ptr 0
		.amdhsa_user_sgpr_queue_ptr 0
		.amdhsa_user_sgpr_kernarg_segment_ptr 1
		.amdhsa_user_sgpr_dispatch_id 0
		.amdhsa_user_sgpr_private_segment_size 0
		.amdhsa_wavefront_size32 1
		.amdhsa_uses_dynamic_stack 0
		.amdhsa_enable_private_segment 0
		.amdhsa_system_sgpr_workgroup_id_x 1
		.amdhsa_system_sgpr_workgroup_id_y 0
		.amdhsa_system_sgpr_workgroup_id_z 0
		.amdhsa_system_sgpr_workgroup_info 0
		.amdhsa_system_vgpr_workitem_id 0
		.amdhsa_next_free_vgpr 60
		.amdhsa_next_free_sgpr 34
		.amdhsa_reserve_vcc 1
		.amdhsa_float_round_mode_32 0
		.amdhsa_float_round_mode_16_64 0
		.amdhsa_float_denorm_mode_32 3
		.amdhsa_float_denorm_mode_16_64 3
		.amdhsa_dx10_clamp 1
		.amdhsa_ieee_mode 1
		.amdhsa_fp16_overflow 0
		.amdhsa_workgroup_processor_mode 1
		.amdhsa_memory_ordered 1
		.amdhsa_forward_progress 0
		.amdhsa_shared_vgpr_count 0
		.amdhsa_exception_fp_ieee_invalid_op 0
		.amdhsa_exception_fp_denorm_src 0
		.amdhsa_exception_fp_ieee_div_zero 0
		.amdhsa_exception_fp_ieee_overflow 0
		.amdhsa_exception_fp_ieee_underflow 0
		.amdhsa_exception_fp_ieee_inexact 0
		.amdhsa_exception_int_div_zero 0
	.end_amdhsa_kernel
	.section	.text._ZN2at6native12_GLOBAL__N_125multi_tensor_apply_kernelINS1_28TensorListScalarListMetadataIN3c107complexIfEELi4EEENS1_28PointwiseOpScalarListFunctorIS6_Li4ELi3ELi3EEEJSt10multipliesIS6_EEEEvT_T0_DpT1_,"axG",@progbits,_ZN2at6native12_GLOBAL__N_125multi_tensor_apply_kernelINS1_28TensorListScalarListMetadataIN3c107complexIfEELi4EEENS1_28PointwiseOpScalarListFunctorIS6_Li4ELi3ELi3EEEJSt10multipliesIS6_EEEEvT_T0_DpT1_,comdat
.Lfunc_end96:
	.size	_ZN2at6native12_GLOBAL__N_125multi_tensor_apply_kernelINS1_28TensorListScalarListMetadataIN3c107complexIfEELi4EEENS1_28PointwiseOpScalarListFunctorIS6_Li4ELi3ELi3EEEJSt10multipliesIS6_EEEEvT_T0_DpT1_, .Lfunc_end96-_ZN2at6native12_GLOBAL__N_125multi_tensor_apply_kernelINS1_28TensorListScalarListMetadataIN3c107complexIfEELi4EEENS1_28PointwiseOpScalarListFunctorIS6_Li4ELi3ELi3EEEJSt10multipliesIS6_EEEEvT_T0_DpT1_
                                        ; -- End function
	.section	.AMDGPU.csdata,"",@progbits
; Kernel info:
; codeLenInByte = 2772
; NumSgprs: 36
; NumVgprs: 60
; ScratchSize: 0
; MemoryBound: 0
; FloatMode: 240
; IeeeMode: 1
; LDSByteSize: 0 bytes/workgroup (compile time only)
; SGPRBlocks: 4
; VGPRBlocks: 7
; NumSGPRsForWavesPerEU: 36
; NumVGPRsForWavesPerEU: 60
; Occupancy: 16
; WaveLimiterHint : 1
; COMPUTE_PGM_RSRC2:SCRATCH_EN: 0
; COMPUTE_PGM_RSRC2:USER_SGPR: 15
; COMPUTE_PGM_RSRC2:TRAP_HANDLER: 0
; COMPUTE_PGM_RSRC2:TGID_X_EN: 1
; COMPUTE_PGM_RSRC2:TGID_Y_EN: 0
; COMPUTE_PGM_RSRC2:TGID_Z_EN: 0
; COMPUTE_PGM_RSRC2:TIDIG_COMP_CNT: 0
	.section	.text._ZN2at6native12_GLOBAL__N_125multi_tensor_apply_kernelINS1_28TensorListScalarListMetadataIfLi4EEENS1_28PointwiseOpScalarListFunctorIN3c104HalfELi4ELi3ELi3EEEJSt10multipliesIfEEEEvT_T0_DpT1_,"axG",@progbits,_ZN2at6native12_GLOBAL__N_125multi_tensor_apply_kernelINS1_28TensorListScalarListMetadataIfLi4EEENS1_28PointwiseOpScalarListFunctorIN3c104HalfELi4ELi3ELi3EEEJSt10multipliesIfEEEEvT_T0_DpT1_,comdat
	.globl	_ZN2at6native12_GLOBAL__N_125multi_tensor_apply_kernelINS1_28TensorListScalarListMetadataIfLi4EEENS1_28PointwiseOpScalarListFunctorIN3c104HalfELi4ELi3ELi3EEEJSt10multipliesIfEEEEvT_T0_DpT1_ ; -- Begin function _ZN2at6native12_GLOBAL__N_125multi_tensor_apply_kernelINS1_28TensorListScalarListMetadataIfLi4EEENS1_28PointwiseOpScalarListFunctorIN3c104HalfELi4ELi3ELi3EEEJSt10multipliesIfEEEEvT_T0_DpT1_
	.p2align	8
	.type	_ZN2at6native12_GLOBAL__N_125multi_tensor_apply_kernelINS1_28TensorListScalarListMetadataIfLi4EEENS1_28PointwiseOpScalarListFunctorIN3c104HalfELi4ELi3ELi3EEEJSt10multipliesIfEEEEvT_T0_DpT1_,@function
_ZN2at6native12_GLOBAL__N_125multi_tensor_apply_kernelINS1_28TensorListScalarListMetadataIfLi4EEENS1_28PointwiseOpScalarListFunctorIN3c104HalfELi4ELi3ELi3EEEJSt10multipliesIfEEEEvT_T0_DpT1_: ; @_ZN2at6native12_GLOBAL__N_125multi_tensor_apply_kernelINS1_28TensorListScalarListMetadataIfLi4EEENS1_28PointwiseOpScalarListFunctorIN3c104HalfELi4ELi3ELi3EEEJSt10multipliesIfEEEEvT_T0_DpT1_
; %bb.0:
	v_mov_b32_e32 v1, s15
	s_add_u32 s2, s0, s15
	s_mul_i32 s3, s15, 3
	s_mul_hi_u32 s4, s15, 3
	s_addc_u32 s5, s1, 0
	global_load_u8 v1, v1, s[0:1] offset:1584
	s_add_u32 s2, s2, s3
	s_addc_u32 s3, s5, s4
	s_mov_b32 s11, 0
	s_load_b32 s6, s[2:3], 0x770
	s_waitcnt lgkmcnt(0)
	s_ashr_i32 s7, s6, 31
	s_waitcnt vmcnt(0)
	v_readfirstlane_b32 s2, v1
	v_lshlrev_b32_e32 v1, 2, v1
	s_delay_alu instid0(VALU_DEP_2)
	s_lshl_b32 s8, s2, 3
	s_clause 0x1
	s_load_b64 s[2:3], s[0:1], s8 offset:0x0
	s_load_b64 s[4:5], s[0:1], s8 offset:0x120
	s_add_u32 s10, s0, s8
	s_addc_u32 s16, s1, 0
	v_sub_co_u32 v1, s10, s10, v1
	s_delay_alu instid0(VALU_DEP_1)
	v_sub_co_ci_u32_e64 v2, null, s16, 0, s10
	s_clause 0x2
	s_load_b64 s[26:27], s[0:1], s8 offset:0x480
	s_load_b64 s[14:15], s[0:1], s8 offset:0x240
	;; [unrolled: 1-line block ×3, first 2 shown]
	v_readfirstlane_b32 s24, v1
	v_readfirstlane_b32 s25, v2
	s_load_b32 s24, s[24:25], 0x5a0
	s_lshl_b64 s[8:9], s[6:7], 17
	s_waitcnt lgkmcnt(0)
	s_add_u32 s16, s2, s8
	s_addc_u32 s17, s3, s9
	s_and_b32 s28, s16, 7
	s_add_u32 s18, s4, s8
	s_addc_u32 s19, s5, s9
	s_and_b32 s10, s18, 7
	s_delay_alu instid0(SALU_CYCLE_1)
	s_cmp_eq_u64 s[10:11], 0
	s_cselect_b32 s10, -1, 0
	s_add_u32 s20, s14, s8
	s_addc_u32 s21, s15, s9
	s_add_u32 s22, s12, s8
	s_addc_u32 s23, s13, s9
	s_or_b32 s29, s22, s20
	s_delay_alu instid0(SALU_CYCLE_1) | instskip(NEXT) | instid1(SALU_CYCLE_1)
	s_and_b32 s29, s29, 7
	s_cmp_eq_u32 s29, 0
	s_cselect_b32 s25, -1, 0
	s_lshl_b64 s[6:7], s[6:7], 16
	s_and_b32 s25, s25, s10
	s_sub_u32 s6, s26, s6
	s_subb_u32 s7, s27, s7
	s_and_b32 s10, s26, 3
	s_delay_alu instid0(SALU_CYCLE_1) | instskip(NEXT) | instid1(SALU_CYCLE_1)
	s_or_b32 s10, s28, s10
	s_cmp_eq_u64 s[10:11], 0
	s_cselect_b32 s10, -1, 0
	s_delay_alu instid0(SALU_CYCLE_1) | instskip(NEXT) | instid1(SALU_CYCLE_1)
	s_and_b32 s10, s25, s10
	s_and_b32 vcc_lo, exec_lo, s10
	s_mov_b32 s10, -1
	s_cbranch_vccnz .LBB97_45
; %bb.1:
	v_cmp_lt_i64_e64 s10, s[6:7], 1
	s_delay_alu instid0(VALU_DEP_1)
	s_and_b32 vcc_lo, exec_lo, s10
	s_cbranch_vccnz .LBB97_44
; %bb.2:
	s_load_b32 s10, s[0:1], 0xc84
	v_dual_mov_b32 v18, 0 :: v_dual_lshlrev_b32 v17, 1, v0
	v_cmp_gt_u64_e64 s11, 0x10000, s[6:7]
	v_cmp_neq_f32_e64 s25, s24, 1.0
	s_delay_alu instid0(VALU_DEP_3) | instskip(NEXT) | instid1(VALU_DEP_1)
	v_add_co_u32 v1, s26, s2, v17
	v_add_co_ci_u32_e64 v2, null, s3, 0, s26
	v_add_co_u32 v3, s26, s4, v17
	v_add_co_u32 v5, s30, s14, v17
	v_add_co_ci_u32_e64 v4, null, s5, 0, s26
	v_add_co_ci_u32_e64 v6, null, s15, 0, s30
	v_add_co_u32 v7, s30, s12, v17
	s_waitcnt lgkmcnt(0)
	s_and_b32 s27, s10, 0xffff
	s_and_b32 s10, s11, exec_lo
	v_mad_u64_u32 v[15:16], null, s27, 6, v[17:18]
	s_cselect_b32 s11, s7, 0
	s_cselect_b32 s10, s6, 0x10000
	s_mul_i32 s29, s27, 3
	s_lshl_b32 s26, s27, 2
	v_add_co_ci_u32_e64 v8, null, s13, 0, s30
	s_delay_alu instid0(VALU_DEP_2) | instskip(NEXT) | instid1(VALU_DEP_3)
	v_add_co_u32 v9, vcc_lo, s2, v15
	v_add_co_ci_u32_e32 v10, vcc_lo, s3, v16, vcc_lo
	v_add_co_u32 v11, vcc_lo, s4, v15
	v_add_co_u32 v26, s30, s26, v17
	v_add_co_u32 v17, s29, s29, v0
	v_add_co_ci_u32_e32 v12, vcc_lo, s5, v16, vcc_lo
	v_add_co_ci_u32_e64 v18, null, 0, 0, s29
	v_add_co_u32 v25, s29, v0, s27
	v_add_co_u32 v13, vcc_lo, s14, v15
	v_add_co_ci_u32_e32 v14, vcc_lo, s15, v16, vcc_lo
	v_add_co_u32 v15, vcc_lo, s12, v15
	v_add_co_ci_u32_e64 v27, null, 0, 0, s30
	v_lshlrev_b32_e32 v37, 1, v25
	v_add_co_ci_u32_e32 v16, vcc_lo, s13, v16, vcc_lo
	v_add_co_u32 v19, vcc_lo, s2, v26
	s_delay_alu instid0(VALU_DEP_4)
	v_add_co_ci_u32_e32 v20, vcc_lo, s3, v27, vcc_lo
	v_add_co_u32 v21, vcc_lo, s4, v26
	v_add_co_u32 v31, s2, s2, v37
	v_add_co_ci_u32_e32 v22, vcc_lo, s5, v27, vcc_lo
	v_add_co_ci_u32_e64 v32, null, s3, 0, s2
	v_add_co_u32 v33, s2, s4, v37
	v_add_co_u32 v23, vcc_lo, s14, v26
	s_lshl_b32 s28, s27, 1
	v_add_co_ci_u32_e64 v34, null, s5, 0, s2
	v_add_co_u32 v35, s2, s14, v37
	v_add_co_ci_u32_e32 v24, vcc_lo, s15, v27, vcc_lo
	v_add_co_u32 v26, vcc_lo, s12, v26
	v_add_co_u32 v29, s28, s28, v0
	v_add_co_ci_u32_e64 v36, null, s15, 0, s2
	v_add_co_u32 v37, s2, s12, v37
	v_add_co_ci_u32_e32 v27, vcc_lo, s13, v27, vcc_lo
	v_add_co_ci_u32_e64 v28, null, 0, 0, s29
	v_add_co_ci_u32_e64 v30, null, 0, 0, s28
	v_add_co_ci_u32_e64 v38, null, s13, 0, s2
	s_lshl_b32 s14, s27, 3
	s_mov_b64 s[12:13], 0
	s_branch .LBB97_4
.LBB97_3:                               ;   in Loop: Header=BB97_4 Depth=1
	s_or_b32 exec_lo, exec_lo, s2
	v_add_co_u32 v1, vcc_lo, v1, s14
	v_add_co_ci_u32_e32 v2, vcc_lo, 0, v2, vcc_lo
	v_add_co_u32 v3, vcc_lo, v3, s14
	v_add_co_ci_u32_e32 v4, vcc_lo, 0, v4, vcc_lo
	;; [unrolled: 2-line block ×13, first 2 shown]
	s_add_u32 s12, s12, s26
	v_add_co_u32 v33, vcc_lo, v33, s14
	s_addc_u32 s13, s13, 0
	v_add_co_ci_u32_e32 v34, vcc_lo, 0, v34, vcc_lo
	v_cmp_ge_i64_e64 s2, s[12:13], s[6:7]
	v_cmp_lt_u64_e64 s3, 0xffff, s[12:13]
	v_add_co_u32 v35, vcc_lo, v35, s14
	v_add_co_ci_u32_e32 v36, vcc_lo, 0, v36, vcc_lo
	v_add_co_u32 v37, vcc_lo, v37, s14
	v_add_co_ci_u32_e32 v38, vcc_lo, 0, v38, vcc_lo
	s_or_b32 s2, s2, s3
	s_delay_alu instid0(SALU_CYCLE_1)
	s_and_b32 vcc_lo, exec_lo, s2
	s_cbranch_vccnz .LBB97_44
.LBB97_4:                               ; =>This Inner Loop Header: Depth=1
	v_add_co_u32 v39, s2, v0, s12
	s_delay_alu instid0(VALU_DEP_1) | instskip(SKIP_1) | instid1(VALU_DEP_2)
	v_add_co_ci_u32_e64 v40, null, 0, s13, s2
	v_dual_mov_b32 v41, 0 :: v_dual_mov_b32 v42, 0
	v_cmp_gt_u64_e64 s2, s[10:11], v[39:40]
	s_delay_alu instid0(VALU_DEP_1)
	s_and_saveexec_b32 s3, s2
	s_cbranch_execz .LBB97_6
; %bb.5:                                ;   in Loop: Header=BB97_4 Depth=1
	v_add_co_u32 v39, vcc_lo, v1, s8
	v_add_co_ci_u32_e32 v40, vcc_lo, s9, v2, vcc_lo
	v_add_co_u32 v42, vcc_lo, v3, s8
	v_add_co_ci_u32_e32 v43, vcc_lo, s9, v4, vcc_lo
	global_load_u16 v41, v[39:40], off
	global_load_u16 v42, v[42:43], off
.LBB97_6:                               ;   in Loop: Header=BB97_4 Depth=1
	s_or_b32 exec_lo, exec_lo, s3
	v_mov_b32_e32 v39, 0
	v_mov_b32_e32 v45, 0
	s_and_saveexec_b32 s3, s2
	s_cbranch_execz .LBB97_8
; %bb.7:                                ;   in Loop: Header=BB97_4 Depth=1
	v_add_co_u32 v43, vcc_lo, v5, s8
	v_add_co_ci_u32_e32 v44, vcc_lo, s9, v6, vcc_lo
	global_load_u16 v45, v[43:44], off
.LBB97_8:                               ;   in Loop: Header=BB97_4 Depth=1
	s_or_b32 exec_lo, exec_lo, s3
	v_add_co_u32 v43, vcc_lo, v25, s12
	v_add_co_ci_u32_e32 v44, vcc_lo, s13, v28, vcc_lo
	s_delay_alu instid0(VALU_DEP_1) | instskip(SKIP_1) | instid1(VALU_DEP_2)
	v_cmp_gt_u64_e64 s3, s[10:11], v[43:44]
	v_mov_b32_e32 v44, 0
	s_and_saveexec_b32 s4, s3
	s_cbranch_execz .LBB97_10
; %bb.9:                                ;   in Loop: Header=BB97_4 Depth=1
	v_add_co_u32 v39, vcc_lo, v31, s8
	v_add_co_ci_u32_e32 v40, vcc_lo, s9, v32, vcc_lo
	v_add_co_u32 v43, vcc_lo, v33, s8
	v_add_co_ci_u32_e32 v44, vcc_lo, s9, v34, vcc_lo
	global_load_u16 v39, v[39:40], off
	global_load_u16 v44, v[43:44], off
.LBB97_10:                              ;   in Loop: Header=BB97_4 Depth=1
	s_or_b32 exec_lo, exec_lo, s4
	v_dual_mov_b32 v40, 0 :: v_dual_mov_b32 v47, 0
	s_and_saveexec_b32 s4, s3
	s_cbranch_execz .LBB97_12
; %bb.11:                               ;   in Loop: Header=BB97_4 Depth=1
	v_add_co_u32 v46, vcc_lo, v35, s8
	v_add_co_ci_u32_e32 v47, vcc_lo, s9, v36, vcc_lo
	global_load_u16 v47, v[46:47], off
.LBB97_12:                              ;   in Loop: Header=BB97_4 Depth=1
	s_or_b32 exec_lo, exec_lo, s4
	v_add_co_u32 v48, vcc_lo, v29, s12
	v_add_co_ci_u32_e32 v49, vcc_lo, s13, v30, vcc_lo
	v_mov_b32_e32 v46, 0
	s_delay_alu instid0(VALU_DEP_2) | instskip(NEXT) | instid1(VALU_DEP_1)
	v_cmp_gt_u64_e64 s4, s[10:11], v[48:49]
	s_and_saveexec_b32 s5, s4
	s_cbranch_execz .LBB97_14
; %bb.13:                               ;   in Loop: Header=BB97_4 Depth=1
	v_add_co_u32 v48, vcc_lo, v19, s8
	v_add_co_ci_u32_e32 v49, vcc_lo, s9, v20, vcc_lo
	v_add_co_u32 v50, vcc_lo, v21, s8
	v_add_co_ci_u32_e32 v51, vcc_lo, s9, v22, vcc_lo
	global_load_u16 v40, v[48:49], off
	global_load_u16 v46, v[50:51], off
.LBB97_14:                              ;   in Loop: Header=BB97_4 Depth=1
	s_or_b32 exec_lo, exec_lo, s5
	v_mov_b32_e32 v43, 0
	v_mov_b32_e32 v49, 0
	s_and_saveexec_b32 s5, s4
	s_cbranch_execz .LBB97_16
; %bb.15:                               ;   in Loop: Header=BB97_4 Depth=1
	v_add_co_u32 v48, vcc_lo, v23, s8
	v_add_co_ci_u32_e32 v49, vcc_lo, s9, v24, vcc_lo
	global_load_u16 v49, v[48:49], off
.LBB97_16:                              ;   in Loop: Header=BB97_4 Depth=1
	s_or_b32 exec_lo, exec_lo, s5
	v_add_co_u32 v50, vcc_lo, v17, s12
	v_add_co_ci_u32_e32 v51, vcc_lo, s13, v18, vcc_lo
	v_mov_b32_e32 v48, 0
	s_delay_alu instid0(VALU_DEP_2) | instskip(NEXT) | instid1(VALU_DEP_1)
	v_cmp_gt_u64_e64 s5, s[10:11], v[50:51]
	s_and_saveexec_b32 s15, s5
	s_cbranch_execz .LBB97_18
; %bb.17:                               ;   in Loop: Header=BB97_4 Depth=1
	v_add_co_u32 v50, vcc_lo, v9, s8
	v_add_co_ci_u32_e32 v51, vcc_lo, s9, v10, vcc_lo
	v_add_co_u32 v52, vcc_lo, v11, s8
	v_add_co_ci_u32_e32 v53, vcc_lo, s9, v12, vcc_lo
	global_load_u16 v43, v[50:51], off
	global_load_u16 v48, v[52:53], off
.LBB97_18:                              ;   in Loop: Header=BB97_4 Depth=1
	s_or_b32 exec_lo, exec_lo, s15
	v_mov_b32_e32 v50, 0
	s_and_saveexec_b32 s15, s5
	s_cbranch_execz .LBB97_20
; %bb.19:                               ;   in Loop: Header=BB97_4 Depth=1
	v_add_co_u32 v50, vcc_lo, v13, s8
	v_add_co_ci_u32_e32 v51, vcc_lo, s9, v14, vcc_lo
	global_load_u16 v50, v[50:51], off
.LBB97_20:                              ;   in Loop: Header=BB97_4 Depth=1
	s_or_b32 exec_lo, exec_lo, s15
	s_waitcnt vmcnt(1)
	v_cvt_f32_f16_e32 v51, v41
	s_waitcnt vmcnt(0)
	v_cvt_f32_f16_e32 v42, v42
	v_cvt_f32_f16_e32 v45, v45
	s_and_b32 vcc_lo, exec_lo, s25
	s_cbranch_vccz .LBB97_40
; %bb.21:                               ;   in Loop: Header=BB97_4 Depth=1
	s_delay_alu instid0(VALU_DEP_1) | instskip(NEXT) | instid1(VALU_DEP_1)
	v_mul_f32_e32 v41, v42, v45
	v_fma_f32 v41, s24, v41, v51
	s_cbranch_execnz .LBB97_23
.LBB97_22:                              ;   in Loop: Header=BB97_4 Depth=1
	s_delay_alu instid0(VALU_DEP_1) | instskip(NEXT) | instid1(VALU_DEP_1)
	v_fmac_f32_e32 v51, v42, v45
	v_mov_b32_e32 v41, v51
.LBB97_23:                              ;   in Loop: Header=BB97_4 Depth=1
	v_cvt_f32_f16_e32 v42, v39
	v_cvt_f32_f16_e32 v44, v44
	;; [unrolled: 1-line block ×3, first 2 shown]
	s_and_not1_b32 vcc_lo, exec_lo, s25
	s_cbranch_vccnz .LBB97_41
; %bb.24:                               ;   in Loop: Header=BB97_4 Depth=1
	s_delay_alu instid0(VALU_DEP_1) | instskip(NEXT) | instid1(VALU_DEP_1)
	v_mul_f32_e32 v39, v44, v45
	v_fma_f32 v39, s24, v39, v42
	s_cbranch_execnz .LBB97_26
.LBB97_25:                              ;   in Loop: Header=BB97_4 Depth=1
	s_delay_alu instid0(VALU_DEP_1) | instskip(NEXT) | instid1(VALU_DEP_1)
	v_fmac_f32_e32 v42, v44, v45
	v_mov_b32_e32 v39, v42
.LBB97_26:                              ;   in Loop: Header=BB97_4 Depth=1
	v_cvt_f32_f16_e32 v42, v40
	v_cvt_f32_f16_e32 v44, v46
	;; [unrolled: 1-line block ×3, first 2 shown]
	s_and_not1_b32 vcc_lo, exec_lo, s25
	s_cbranch_vccnz .LBB97_42
; %bb.27:                               ;   in Loop: Header=BB97_4 Depth=1
	s_delay_alu instid0(VALU_DEP_1) | instskip(NEXT) | instid1(VALU_DEP_1)
	v_mul_f32_e32 v40, v44, v45
	v_fma_f32 v40, s24, v40, v42
	s_cbranch_execnz .LBB97_29
.LBB97_28:                              ;   in Loop: Header=BB97_4 Depth=1
	s_delay_alu instid0(VALU_DEP_1) | instskip(NEXT) | instid1(VALU_DEP_1)
	v_fmac_f32_e32 v42, v44, v45
	v_mov_b32_e32 v40, v42
.LBB97_29:                              ;   in Loop: Header=BB97_4 Depth=1
	v_cvt_f32_f16_e32 v43, v43
	v_cvt_f32_f16_e32 v44, v48
	;; [unrolled: 1-line block ×3, first 2 shown]
	s_and_not1_b32 vcc_lo, exec_lo, s25
	s_cbranch_vccnz .LBB97_43
; %bb.30:                               ;   in Loop: Header=BB97_4 Depth=1
	s_delay_alu instid0(VALU_DEP_1) | instskip(NEXT) | instid1(VALU_DEP_1)
	v_mul_f32_e32 v42, v44, v45
	v_fma_f32 v42, s24, v42, v43
	s_cbranch_execnz .LBB97_32
.LBB97_31:                              ;   in Loop: Header=BB97_4 Depth=1
	s_delay_alu instid0(VALU_DEP_1) | instskip(NEXT) | instid1(VALU_DEP_1)
	v_fmac_f32_e32 v43, v44, v45
	v_mov_b32_e32 v42, v43
.LBB97_32:                              ;   in Loop: Header=BB97_4 Depth=1
	s_and_saveexec_b32 s15, s2
	s_delay_alu instid0(SALU_CYCLE_1)
	s_xor_b32 s2, exec_lo, s15
	s_cbranch_execnz .LBB97_36
; %bb.33:                               ;   in Loop: Header=BB97_4 Depth=1
	s_or_b32 exec_lo, exec_lo, s2
	s_and_saveexec_b32 s2, s3
	s_cbranch_execnz .LBB97_37
.LBB97_34:                              ;   in Loop: Header=BB97_4 Depth=1
	s_or_b32 exec_lo, exec_lo, s2
	s_and_saveexec_b32 s2, s4
	s_cbranch_execnz .LBB97_38
.LBB97_35:                              ;   in Loop: Header=BB97_4 Depth=1
	s_or_b32 exec_lo, exec_lo, s2
	s_and_saveexec_b32 s2, s5
	s_cbranch_execz .LBB97_3
	s_branch .LBB97_39
.LBB97_36:                              ;   in Loop: Header=BB97_4 Depth=1
	v_add_co_u32 v43, vcc_lo, v7, s8
	v_cvt_f16_f32_e32 v41, v41
	v_add_co_ci_u32_e32 v44, vcc_lo, s9, v8, vcc_lo
	global_store_b16 v[43:44], v41, off
	s_or_b32 exec_lo, exec_lo, s2
	s_and_saveexec_b32 s2, s3
	s_cbranch_execz .LBB97_34
.LBB97_37:                              ;   in Loop: Header=BB97_4 Depth=1
	v_add_co_u32 v43, vcc_lo, v37, s8
	v_cvt_f16_f32_e32 v39, v39
	v_add_co_ci_u32_e32 v44, vcc_lo, s9, v38, vcc_lo
	global_store_b16 v[43:44], v39, off
	s_or_b32 exec_lo, exec_lo, s2
	s_and_saveexec_b32 s2, s4
	s_cbranch_execz .LBB97_35
.LBB97_38:                              ;   in Loop: Header=BB97_4 Depth=1
	v_add_co_u32 v39, vcc_lo, v26, s8
	v_cvt_f16_f32_e32 v41, v40
	v_add_co_ci_u32_e32 v40, vcc_lo, s9, v27, vcc_lo
	global_store_b16 v[39:40], v41, off
	s_or_b32 exec_lo, exec_lo, s2
	s_and_saveexec_b32 s2, s5
	s_cbranch_execz .LBB97_3
.LBB97_39:                              ;   in Loop: Header=BB97_4 Depth=1
	v_add_co_u32 v39, vcc_lo, v15, s8
	v_cvt_f16_f32_e32 v41, v42
	v_add_co_ci_u32_e32 v40, vcc_lo, s9, v16, vcc_lo
	global_store_b16 v[39:40], v41, off
	s_branch .LBB97_3
.LBB97_40:                              ;   in Loop: Header=BB97_4 Depth=1
                                        ; implicit-def: $vgpr41
	s_branch .LBB97_22
.LBB97_41:                              ;   in Loop: Header=BB97_4 Depth=1
                                        ; implicit-def: $vgpr39
	s_branch .LBB97_25
.LBB97_42:                              ;   in Loop: Header=BB97_4 Depth=1
                                        ; implicit-def: $vgpr40
	s_branch .LBB97_28
.LBB97_43:                              ;   in Loop: Header=BB97_4 Depth=1
                                        ; implicit-def: $vgpr42
	s_branch .LBB97_31
.LBB97_44:
	s_mov_b32 s10, 0
.LBB97_45:
	s_delay_alu instid0(SALU_CYCLE_1)
	s_and_not1_b32 vcc_lo, exec_lo, s10
	s_cbranch_vccnz .LBB97_65
; %bb.46:
	v_dual_mov_b32 v2, 0 :: v_dual_lshlrev_b32 v1, 2, v0
	s_mov_b32 s2, 0
	s_mov_b32 s3, exec_lo
	s_delay_alu instid0(VALU_DEP_1)
	v_cmpx_gt_i64_e64 s[6:7], v[1:2]
	s_cbranch_execz .LBB97_65
; %bb.47:
	s_load_b32 s0, s[0:1], 0xc84
	v_lshlrev_b32_e32 v9, 3, v0
	v_cmp_neq_f32_e64 s1, s24, 1.0
	s_waitcnt lgkmcnt(0)
	s_and_b32 s0, s0, 0xffff
	s_delay_alu instid0(SALU_CYCLE_1)
	v_add_lshl_u32 v1, v0, s0, 2
	s_lshl_b32 s3, s0, 3
	s_lshl_b32 s4, s0, 2
	s_branch .LBB97_49
.LBB97_48:                              ;   in Loop: Header=BB97_49 Depth=1
	v_cmp_le_i64_e32 vcc_lo, s[6:7], v[1:2]
	v_cmp_lt_u64_e64 s0, 0xffff, v[1:2]
	v_cvt_f16_f32_e32 v5, v5
	v_cvt_f16_f32_e32 v7, v3
	;; [unrolled: 1-line block ×4, first 2 shown]
	v_add_co_u32 v3, s5, s22, v9
	s_or_b32 s0, vcc_lo, s0
	s_add_u32 s16, s16, s3
	s_addc_u32 s17, s17, 0
	s_add_u32 s18, s18, s3
	s_addc_u32 s19, s19, 0
	;; [unrolled: 2-line block ×3, first 2 shown]
	v_add_co_u32 v1, vcc_lo, v1, s4
	s_add_u32 s22, s22, s3
	v_add_co_ci_u32_e64 v4, null, s23, 0, s5
	v_pack_b32_f16 v6, v5, v6
	v_pack_b32_f16 v5, v0, v7
	v_add_co_ci_u32_e32 v2, vcc_lo, 0, v2, vcc_lo
	s_addc_u32 s23, s23, 0
	s_and_b32 s0, exec_lo, s0
	global_store_b64 v[3:4], v[5:6], off
	s_or_b32 s2, s0, s2
	s_delay_alu instid0(SALU_CYCLE_1)
	s_and_not1_b32 exec_lo, exec_lo, s2
	s_cbranch_execz .LBB97_65
.LBB97_49:                              ; =>This Inner Loop Header: Depth=1
	v_add_co_u32 v3, s0, s16, v9
	s_delay_alu instid0(VALU_DEP_1) | instskip(SKIP_1) | instid1(VALU_DEP_1)
	v_add_co_ci_u32_e64 v4, null, s17, 0, s0
	v_add_co_u32 v5, s0, s18, v9
	v_add_co_ci_u32_e64 v6, null, s19, 0, s0
	v_add_co_u32 v7, s0, s20, v9
	s_delay_alu instid0(VALU_DEP_1)
	v_add_co_ci_u32_e64 v8, null, s21, 0, s0
	global_load_b64 v[3:4], v[3:4], off
	global_load_b64 v[5:6], v[5:6], off
	;; [unrolled: 1-line block ×3, first 2 shown]
	s_and_b32 vcc_lo, exec_lo, s1
	s_waitcnt vmcnt(2)
	v_cvt_f32_f16_e32 v10, v3
	s_waitcnt vmcnt(1)
	v_cvt_f32_f16_e32 v11, v5
	;; [unrolled: 2-line block ×3, first 2 shown]
	s_cbranch_vccz .LBB97_60
; %bb.50:                               ;   in Loop: Header=BB97_49 Depth=1
	s_delay_alu instid0(VALU_DEP_1) | instskip(NEXT) | instid1(VALU_DEP_1)
	v_mul_f32_e32 v0, v11, v12
	v_fma_f32 v0, s24, v0, v10
	s_cbranch_execnz .LBB97_52
.LBB97_51:                              ;   in Loop: Header=BB97_49 Depth=1
	s_delay_alu instid0(VALU_DEP_1) | instskip(NEXT) | instid1(VALU_DEP_1)
	v_fmac_f32_e32 v10, v11, v12
	v_mov_b32_e32 v0, v10
.LBB97_52:                              ;   in Loop: Header=BB97_49 Depth=1
	v_lshrrev_b32_e32 v3, 16, v3
	v_lshrrev_b32_e32 v10, 16, v5
	;; [unrolled: 1-line block ×3, first 2 shown]
	s_and_not1_b32 vcc_lo, exec_lo, s1
	s_delay_alu instid0(VALU_DEP_3) | instskip(NEXT) | instid1(VALU_DEP_3)
	v_cvt_f32_f16_e32 v5, v3
	v_cvt_f32_f16_e32 v7, v10
	s_delay_alu instid0(VALU_DEP_3)
	v_cvt_f32_f16_e32 v10, v11
	s_cbranch_vccnz .LBB97_61
; %bb.53:                               ;   in Loop: Header=BB97_49 Depth=1
	s_delay_alu instid0(VALU_DEP_1) | instskip(NEXT) | instid1(VALU_DEP_1)
	v_mul_f32_e32 v3, v7, v10
	v_fma_f32 v3, s24, v3, v5
	s_cbranch_execnz .LBB97_55
.LBB97_54:                              ;   in Loop: Header=BB97_49 Depth=1
	s_delay_alu instid0(VALU_DEP_1) | instskip(NEXT) | instid1(VALU_DEP_1)
	v_fmac_f32_e32 v5, v7, v10
	v_mov_b32_e32 v3, v5
.LBB97_55:                              ;   in Loop: Header=BB97_49 Depth=1
	v_cvt_f32_f16_e32 v7, v4
	v_cvt_f32_f16_e32 v10, v6
	;; [unrolled: 1-line block ×3, first 2 shown]
	s_and_not1_b32 vcc_lo, exec_lo, s1
	s_cbranch_vccnz .LBB97_62
; %bb.56:                               ;   in Loop: Header=BB97_49 Depth=1
	s_delay_alu instid0(VALU_DEP_1) | instskip(NEXT) | instid1(VALU_DEP_1)
	v_mul_f32_e32 v5, v10, v11
	v_fma_f32 v5, s24, v5, v7
	s_cbranch_execnz .LBB97_58
.LBB97_57:                              ;   in Loop: Header=BB97_49 Depth=1
	s_delay_alu instid0(VALU_DEP_1) | instskip(NEXT) | instid1(VALU_DEP_1)
	v_fmac_f32_e32 v7, v10, v11
	v_mov_b32_e32 v5, v7
.LBB97_58:                              ;   in Loop: Header=BB97_49 Depth=1
	v_lshrrev_b32_e32 v4, 16, v4
	v_lshrrev_b32_e32 v6, 16, v6
	;; [unrolled: 1-line block ×3, first 2 shown]
	s_and_not1_b32 vcc_lo, exec_lo, s1
	s_delay_alu instid0(VALU_DEP_3) | instskip(NEXT) | instid1(VALU_DEP_3)
	v_cvt_f32_f16_e32 v4, v4
	v_cvt_f32_f16_e32 v6, v6
	s_delay_alu instid0(VALU_DEP_3)
	v_cvt_f32_f16_e32 v7, v7
	s_cbranch_vccnz .LBB97_63
; %bb.59:                               ;   in Loop: Header=BB97_49 Depth=1
	s_delay_alu instid0(VALU_DEP_1) | instskip(NEXT) | instid1(VALU_DEP_1)
	v_mul_f32_e32 v8, v6, v7
	v_fma_f32 v8, s24, v8, v4
	s_cbranch_execnz .LBB97_48
	s_branch .LBB97_64
.LBB97_60:                              ;   in Loop: Header=BB97_49 Depth=1
                                        ; implicit-def: $vgpr0
	s_branch .LBB97_51
.LBB97_61:                              ;   in Loop: Header=BB97_49 Depth=1
                                        ; implicit-def: $vgpr3
	s_branch .LBB97_54
.LBB97_62:                              ;   in Loop: Header=BB97_49 Depth=1
                                        ; implicit-def: $vgpr5
	s_branch .LBB97_57
.LBB97_63:                              ;   in Loop: Header=BB97_49 Depth=1
                                        ; implicit-def: $vgpr8
.LBB97_64:                              ;   in Loop: Header=BB97_49 Depth=1
	s_delay_alu instid0(VALU_DEP_1) | instskip(NEXT) | instid1(VALU_DEP_1)
	v_fmac_f32_e32 v4, v6, v7
	v_mov_b32_e32 v8, v4
	s_branch .LBB97_48
.LBB97_65:
	s_nop 0
	s_sendmsg sendmsg(MSG_DEALLOC_VGPRS)
	s_endpgm
	.section	.rodata,"a",@progbits
	.p2align	6, 0x0
	.amdhsa_kernel _ZN2at6native12_GLOBAL__N_125multi_tensor_apply_kernelINS1_28TensorListScalarListMetadataIfLi4EEENS1_28PointwiseOpScalarListFunctorIN3c104HalfELi4ELi3ELi3EEEJSt10multipliesIfEEEEvT_T0_DpT1_
		.amdhsa_group_segment_fixed_size 0
		.amdhsa_private_segment_fixed_size 0
		.amdhsa_kernarg_size 3448
		.amdhsa_user_sgpr_count 15
		.amdhsa_user_sgpr_dispatch_ptr 0
		.amdhsa_user_sgpr_queue_ptr 0
		.amdhsa_user_sgpr_kernarg_segment_ptr 1
		.amdhsa_user_sgpr_dispatch_id 0
		.amdhsa_user_sgpr_private_segment_size 0
		.amdhsa_wavefront_size32 1
		.amdhsa_uses_dynamic_stack 0
		.amdhsa_enable_private_segment 0
		.amdhsa_system_sgpr_workgroup_id_x 1
		.amdhsa_system_sgpr_workgroup_id_y 0
		.amdhsa_system_sgpr_workgroup_id_z 0
		.amdhsa_system_sgpr_workgroup_info 0
		.amdhsa_system_vgpr_workitem_id 0
		.amdhsa_next_free_vgpr 54
		.amdhsa_next_free_sgpr 31
		.amdhsa_reserve_vcc 1
		.amdhsa_float_round_mode_32 0
		.amdhsa_float_round_mode_16_64 0
		.amdhsa_float_denorm_mode_32 3
		.amdhsa_float_denorm_mode_16_64 3
		.amdhsa_dx10_clamp 1
		.amdhsa_ieee_mode 1
		.amdhsa_fp16_overflow 0
		.amdhsa_workgroup_processor_mode 1
		.amdhsa_memory_ordered 1
		.amdhsa_forward_progress 0
		.amdhsa_shared_vgpr_count 0
		.amdhsa_exception_fp_ieee_invalid_op 0
		.amdhsa_exception_fp_denorm_src 0
		.amdhsa_exception_fp_ieee_div_zero 0
		.amdhsa_exception_fp_ieee_overflow 0
		.amdhsa_exception_fp_ieee_underflow 0
		.amdhsa_exception_fp_ieee_inexact 0
		.amdhsa_exception_int_div_zero 0
	.end_amdhsa_kernel
	.section	.text._ZN2at6native12_GLOBAL__N_125multi_tensor_apply_kernelINS1_28TensorListScalarListMetadataIfLi4EEENS1_28PointwiseOpScalarListFunctorIN3c104HalfELi4ELi3ELi3EEEJSt10multipliesIfEEEEvT_T0_DpT1_,"axG",@progbits,_ZN2at6native12_GLOBAL__N_125multi_tensor_apply_kernelINS1_28TensorListScalarListMetadataIfLi4EEENS1_28PointwiseOpScalarListFunctorIN3c104HalfELi4ELi3ELi3EEEJSt10multipliesIfEEEEvT_T0_DpT1_,comdat
.Lfunc_end97:
	.size	_ZN2at6native12_GLOBAL__N_125multi_tensor_apply_kernelINS1_28TensorListScalarListMetadataIfLi4EEENS1_28PointwiseOpScalarListFunctorIN3c104HalfELi4ELi3ELi3EEEJSt10multipliesIfEEEEvT_T0_DpT1_, .Lfunc_end97-_ZN2at6native12_GLOBAL__N_125multi_tensor_apply_kernelINS1_28TensorListScalarListMetadataIfLi4EEENS1_28PointwiseOpScalarListFunctorIN3c104HalfELi4ELi3ELi3EEEJSt10multipliesIfEEEEvT_T0_DpT1_
                                        ; -- End function
	.section	.AMDGPU.csdata,"",@progbits
; Kernel info:
; codeLenInByte = 2492
; NumSgprs: 33
; NumVgprs: 54
; ScratchSize: 0
; MemoryBound: 0
; FloatMode: 240
; IeeeMode: 1
; LDSByteSize: 0 bytes/workgroup (compile time only)
; SGPRBlocks: 4
; VGPRBlocks: 6
; NumSGPRsForWavesPerEU: 33
; NumVGPRsForWavesPerEU: 54
; Occupancy: 16
; WaveLimiterHint : 0
; COMPUTE_PGM_RSRC2:SCRATCH_EN: 0
; COMPUTE_PGM_RSRC2:USER_SGPR: 15
; COMPUTE_PGM_RSRC2:TRAP_HANDLER: 0
; COMPUTE_PGM_RSRC2:TGID_X_EN: 1
; COMPUTE_PGM_RSRC2:TGID_Y_EN: 0
; COMPUTE_PGM_RSRC2:TGID_Z_EN: 0
; COMPUTE_PGM_RSRC2:TIDIG_COMP_CNT: 0
	.section	.text._ZN2at6native12_GLOBAL__N_125multi_tensor_apply_kernelINS1_28TensorListScalarListMetadataIfLi4EEENS1_28PointwiseOpScalarListFunctorIN3c108BFloat16ELi4ELi3ELi3EEEJSt10multipliesIfEEEEvT_T0_DpT1_,"axG",@progbits,_ZN2at6native12_GLOBAL__N_125multi_tensor_apply_kernelINS1_28TensorListScalarListMetadataIfLi4EEENS1_28PointwiseOpScalarListFunctorIN3c108BFloat16ELi4ELi3ELi3EEEJSt10multipliesIfEEEEvT_T0_DpT1_,comdat
	.globl	_ZN2at6native12_GLOBAL__N_125multi_tensor_apply_kernelINS1_28TensorListScalarListMetadataIfLi4EEENS1_28PointwiseOpScalarListFunctorIN3c108BFloat16ELi4ELi3ELi3EEEJSt10multipliesIfEEEEvT_T0_DpT1_ ; -- Begin function _ZN2at6native12_GLOBAL__N_125multi_tensor_apply_kernelINS1_28TensorListScalarListMetadataIfLi4EEENS1_28PointwiseOpScalarListFunctorIN3c108BFloat16ELi4ELi3ELi3EEEJSt10multipliesIfEEEEvT_T0_DpT1_
	.p2align	8
	.type	_ZN2at6native12_GLOBAL__N_125multi_tensor_apply_kernelINS1_28TensorListScalarListMetadataIfLi4EEENS1_28PointwiseOpScalarListFunctorIN3c108BFloat16ELi4ELi3ELi3EEEJSt10multipliesIfEEEEvT_T0_DpT1_,@function
_ZN2at6native12_GLOBAL__N_125multi_tensor_apply_kernelINS1_28TensorListScalarListMetadataIfLi4EEENS1_28PointwiseOpScalarListFunctorIN3c108BFloat16ELi4ELi3ELi3EEEJSt10multipliesIfEEEEvT_T0_DpT1_: ; @_ZN2at6native12_GLOBAL__N_125multi_tensor_apply_kernelINS1_28TensorListScalarListMetadataIfLi4EEENS1_28PointwiseOpScalarListFunctorIN3c108BFloat16ELi4ELi3ELi3EEEJSt10multipliesIfEEEEvT_T0_DpT1_
; %bb.0:
	v_mov_b32_e32 v1, s15
	s_add_u32 s2, s0, s15
	s_mul_i32 s3, s15, 3
	s_mul_hi_u32 s4, s15, 3
	s_addc_u32 s5, s1, 0
	global_load_u8 v1, v1, s[0:1] offset:1584
	s_add_u32 s2, s2, s3
	s_addc_u32 s3, s5, s4
	s_mov_b32 s19, 0
	s_load_b32 s2, s[2:3], 0x770
	s_waitcnt lgkmcnt(0)
	s_ashr_i32 s3, s2, 31
	s_waitcnt vmcnt(0)
	v_readfirstlane_b32 s4, v1
	v_lshlrev_b32_e32 v1, 2, v1
	s_delay_alu instid0(VALU_DEP_2)
	s_lshl_b32 s14, s4, 3
	s_clause 0x4
	s_load_b64 s[6:7], s[0:1], s14 offset:0x120
	s_load_b64 s[8:9], s[0:1], s14 offset:0x0
	;; [unrolled: 1-line block ×5, first 2 shown]
	s_add_u32 s14, s0, s14
	s_addc_u32 s15, s1, 0
	s_lshl_b64 s[16:17], s[2:3], 17
	v_sub_co_u32 v1, s14, s14, v1
	s_delay_alu instid0(VALU_DEP_1) | instskip(NEXT) | instid1(VALU_DEP_2)
	v_sub_co_ci_u32_e64 v2, null, s15, 0, s14
	v_readfirstlane_b32 s14, v1
	s_delay_alu instid0(VALU_DEP_2)
	v_readfirstlane_b32 s15, v2
	s_load_b32 s22, s[14:15], 0x5a0
	s_waitcnt lgkmcnt(0)
	s_add_u32 s18, s6, s16
	s_and_b32 s20, s8, 7
	s_and_b32 s18, s18, 7
	s_delay_alu instid0(SALU_CYCLE_1) | instskip(SKIP_2) | instid1(SALU_CYCLE_1)
	s_cmp_eq_u64 s[18:19], 0
	s_cselect_b32 s18, -1, 0
	s_add_u32 s21, s10, s16
	s_or_b32 s21, s12, s21
	s_delay_alu instid0(SALU_CYCLE_1) | instskip(NEXT) | instid1(SALU_CYCLE_1)
	s_and_b32 s21, s21, 7
	s_cmp_eq_u32 s21, 0
	s_cselect_b32 s14, -1, 0
	s_lshl_b64 s[2:3], s[2:3], 16
	s_and_b32 s21, s14, s18
	s_sub_u32 s14, s4, s2
	s_subb_u32 s15, s5, s3
	s_and_b32 s2, s4, 3
	s_delay_alu instid0(SALU_CYCLE_1) | instskip(NEXT) | instid1(SALU_CYCLE_1)
	s_or_b32 s18, s20, s2
	s_cmp_eq_u64 s[18:19], 0
	s_cselect_b32 s2, -1, 0
	s_delay_alu instid0(SALU_CYCLE_1) | instskip(NEXT) | instid1(SALU_CYCLE_1)
	s_and_b32 s2, s21, s2
	s_and_b32 vcc_lo, exec_lo, s2
	s_mov_b32 s2, -1
	s_cbranch_vccnz .LBB98_45
; %bb.1:
	v_cmp_lt_i64_e64 s2, s[14:15], 1
	s_delay_alu instid0(VALU_DEP_1)
	s_and_b32 vcc_lo, exec_lo, s2
	s_cbranch_vccnz .LBB98_44
; %bb.2:
	s_load_b32 s2, s[0:1], 0xc84
	v_dual_mov_b32 v18, 0 :: v_dual_lshlrev_b32 v17, 1, v0
	v_cmp_gt_u64_e64 s3, 0x10000, s[14:15]
	v_cmp_neq_f32_e64 s23, s22, 1.0
	s_mov_b64 s[20:21], 0
	s_delay_alu instid0(VALU_DEP_3) | instskip(NEXT) | instid1(VALU_DEP_1)
	v_add_co_u32 v1, s4, s8, v17
	v_add_co_ci_u32_e64 v2, null, s9, 0, s4
	v_add_co_u32 v3, s4, s6, v17
	v_add_co_u32 v5, s5, s10, v17
	v_add_co_ci_u32_e64 v4, null, s7, 0, s4
	v_add_co_ci_u32_e64 v6, null, s11, 0, s5
	v_add_co_u32 v7, s5, s12, v17
	s_waitcnt lgkmcnt(0)
	s_and_b32 s2, s2, 0xffff
	s_and_b32 s3, s3, exec_lo
	v_mad_u64_u32 v[15:16], null, s2, 6, v[17:18]
	s_cselect_b32 s19, s15, 0
	s_cselect_b32 s18, s14, 0x10000
	s_mul_i32 s4, s2, 3
	s_lshl_b32 s24, s2, 2
	v_add_co_ci_u32_e64 v8, null, s13, 0, s5
	s_delay_alu instid0(VALU_DEP_2) | instskip(NEXT) | instid1(VALU_DEP_3)
	v_add_co_u32 v9, vcc_lo, s8, v15
	v_add_co_ci_u32_e32 v10, vcc_lo, s9, v16, vcc_lo
	v_add_co_u32 v11, vcc_lo, s6, v15
	v_add_co_u32 v26, s5, s24, v17
	v_add_co_u32 v17, s4, s4, v0
	v_add_co_ci_u32_e32 v12, vcc_lo, s7, v16, vcc_lo
	v_add_co_ci_u32_e64 v18, null, 0, 0, s4
	v_add_co_u32 v25, s4, v0, s2
	v_add_co_u32 v13, vcc_lo, s10, v15
	v_add_co_ci_u32_e32 v14, vcc_lo, s11, v16, vcc_lo
	v_add_co_u32 v15, vcc_lo, s12, v15
	v_add_co_ci_u32_e64 v27, null, 0, 0, s5
	v_lshlrev_b32_e32 v37, 1, v25
	s_lshl_b32 s3, s2, 1
	v_add_co_ci_u32_e32 v16, vcc_lo, s13, v16, vcc_lo
	v_add_co_u32 v19, vcc_lo, s8, v26
	v_add_co_u32 v29, s3, s3, v0
	v_add_co_ci_u32_e32 v20, vcc_lo, s9, v27, vcc_lo
	v_add_co_u32 v21, vcc_lo, s6, v26
	v_add_co_ci_u32_e64 v30, null, 0, 0, s3
	v_add_co_u32 v31, s3, s8, v37
	v_add_co_ci_u32_e32 v22, vcc_lo, s7, v27, vcc_lo
	v_add_co_ci_u32_e64 v32, null, s9, 0, s3
	v_add_co_u32 v33, s3, s6, v37
	v_add_co_u32 v23, vcc_lo, s10, v26
	v_add_co_ci_u32_e64 v34, null, s7, 0, s3
	v_add_co_u32 v35, s3, s10, v37
	v_add_co_ci_u32_e32 v24, vcc_lo, s11, v27, vcc_lo
	v_add_co_u32 v26, vcc_lo, s12, v26
	v_add_co_ci_u32_e64 v36, null, s11, 0, s3
	v_add_co_u32 v37, s3, s12, v37
	v_add_co_ci_u32_e32 v27, vcc_lo, s13, v27, vcc_lo
	v_add_co_ci_u32_e64 v28, null, 0, 0, s4
	v_add_co_ci_u32_e64 v38, null, s13, 0, s3
	s_lshl_b32 s25, s2, 3
	s_branch .LBB98_4
.LBB98_3:                               ;   in Loop: Header=BB98_4 Depth=1
	s_or_b32 exec_lo, exec_lo, s2
	v_add_co_u32 v1, vcc_lo, v1, s25
	v_add_co_ci_u32_e32 v2, vcc_lo, 0, v2, vcc_lo
	v_add_co_u32 v3, vcc_lo, v3, s25
	v_add_co_ci_u32_e32 v4, vcc_lo, 0, v4, vcc_lo
	;; [unrolled: 2-line block ×13, first 2 shown]
	s_add_u32 s20, s20, s24
	v_add_co_u32 v33, vcc_lo, v33, s25
	s_addc_u32 s21, s21, 0
	v_add_co_ci_u32_e32 v34, vcc_lo, 0, v34, vcc_lo
	v_cmp_ge_i64_e64 s2, s[20:21], s[14:15]
	v_cmp_lt_u64_e64 s3, 0xffff, s[20:21]
	v_add_co_u32 v35, vcc_lo, v35, s25
	v_add_co_ci_u32_e32 v36, vcc_lo, 0, v36, vcc_lo
	v_add_co_u32 v37, vcc_lo, v37, s25
	v_add_co_ci_u32_e32 v38, vcc_lo, 0, v38, vcc_lo
	s_or_b32 s2, s2, s3
	s_delay_alu instid0(SALU_CYCLE_1)
	s_and_b32 vcc_lo, exec_lo, s2
	s_cbranch_vccnz .LBB98_44
.LBB98_4:                               ; =>This Inner Loop Header: Depth=1
	v_add_co_u32 v39, s2, v0, s20
	s_delay_alu instid0(VALU_DEP_1) | instskip(SKIP_1) | instid1(VALU_DEP_2)
	v_add_co_ci_u32_e64 v40, null, 0, s21, s2
	v_mov_b32_e32 v42, 0
	v_cmp_gt_u64_e64 s2, s[18:19], v[39:40]
	v_mov_b32_e32 v40, 0
	s_delay_alu instid0(VALU_DEP_2)
	s_and_saveexec_b32 s3, s2
	s_cbranch_execz .LBB98_6
; %bb.5:                                ;   in Loop: Header=BB98_4 Depth=1
	v_add_co_u32 v39, vcc_lo, v1, s16
	v_add_co_ci_u32_e32 v40, vcc_lo, s17, v2, vcc_lo
	v_add_co_u32 v41, vcc_lo, v3, s16
	v_add_co_ci_u32_e32 v42, vcc_lo, s17, v4, vcc_lo
	global_load_u16 v40, v[39:40], off
	global_load_u16 v42, v[41:42], off
.LBB98_6:                               ;   in Loop: Header=BB98_4 Depth=1
	s_or_b32 exec_lo, exec_lo, s3
	v_mov_b32_e32 v39, 0
	v_mov_b32_e32 v45, 0
	s_and_saveexec_b32 s3, s2
	s_cbranch_execz .LBB98_8
; %bb.7:                                ;   in Loop: Header=BB98_4 Depth=1
	v_add_co_u32 v43, vcc_lo, v5, s16
	v_add_co_ci_u32_e32 v44, vcc_lo, s17, v6, vcc_lo
	global_load_u16 v45, v[43:44], off
.LBB98_8:                               ;   in Loop: Header=BB98_4 Depth=1
	s_or_b32 exec_lo, exec_lo, s3
	v_add_co_u32 v43, vcc_lo, v25, s20
	v_add_co_ci_u32_e32 v44, vcc_lo, s21, v28, vcc_lo
	s_delay_alu instid0(VALU_DEP_1) | instskip(SKIP_1) | instid1(VALU_DEP_2)
	v_cmp_gt_u64_e64 s3, s[18:19], v[43:44]
	v_mov_b32_e32 v43, 0
	s_and_saveexec_b32 s4, s3
	s_cbranch_execz .LBB98_10
; %bb.9:                                ;   in Loop: Header=BB98_4 Depth=1
	v_add_co_u32 v43, vcc_lo, v31, s16
	v_add_co_ci_u32_e32 v44, vcc_lo, s17, v32, vcc_lo
	v_add_co_u32 v46, vcc_lo, v33, s16
	v_add_co_ci_u32_e32 v47, vcc_lo, s17, v34, vcc_lo
	global_load_u16 v39, v[43:44], off
	global_load_u16 v43, v[46:47], off
.LBB98_10:                              ;   in Loop: Header=BB98_4 Depth=1
	s_or_b32 exec_lo, exec_lo, s4
	v_mov_b32_e32 v41, 0
	v_mov_b32_e32 v47, 0
	s_and_saveexec_b32 s4, s3
	s_cbranch_execz .LBB98_12
; %bb.11:                               ;   in Loop: Header=BB98_4 Depth=1
	v_add_co_u32 v46, vcc_lo, v35, s16
	v_add_co_ci_u32_e32 v47, vcc_lo, s17, v36, vcc_lo
	global_load_u16 v47, v[46:47], off
.LBB98_12:                              ;   in Loop: Header=BB98_4 Depth=1
	s_or_b32 exec_lo, exec_lo, s4
	v_add_co_u32 v48, vcc_lo, v29, s20
	v_add_co_ci_u32_e32 v49, vcc_lo, s21, v30, vcc_lo
	v_mov_b32_e32 v46, 0
	s_delay_alu instid0(VALU_DEP_2) | instskip(NEXT) | instid1(VALU_DEP_1)
	v_cmp_gt_u64_e64 s4, s[18:19], v[48:49]
	s_and_saveexec_b32 s5, s4
	s_cbranch_execz .LBB98_14
; %bb.13:                               ;   in Loop: Header=BB98_4 Depth=1
	v_add_co_u32 v48, vcc_lo, v19, s16
	v_add_co_ci_u32_e32 v49, vcc_lo, s17, v20, vcc_lo
	v_add_co_u32 v50, vcc_lo, v21, s16
	v_add_co_ci_u32_e32 v51, vcc_lo, s17, v22, vcc_lo
	global_load_u16 v41, v[48:49], off
	global_load_u16 v46, v[50:51], off
.LBB98_14:                              ;   in Loop: Header=BB98_4 Depth=1
	s_or_b32 exec_lo, exec_lo, s5
	v_dual_mov_b32 v44, 0 :: v_dual_mov_b32 v49, 0
	s_and_saveexec_b32 s5, s4
	s_cbranch_execz .LBB98_16
; %bb.15:                               ;   in Loop: Header=BB98_4 Depth=1
	v_add_co_u32 v48, vcc_lo, v23, s16
	v_add_co_ci_u32_e32 v49, vcc_lo, s17, v24, vcc_lo
	global_load_u16 v49, v[48:49], off
.LBB98_16:                              ;   in Loop: Header=BB98_4 Depth=1
	s_or_b32 exec_lo, exec_lo, s5
	v_add_co_u32 v50, vcc_lo, v17, s20
	v_add_co_ci_u32_e32 v51, vcc_lo, s21, v18, vcc_lo
	v_mov_b32_e32 v48, 0
	s_delay_alu instid0(VALU_DEP_2) | instskip(NEXT) | instid1(VALU_DEP_1)
	v_cmp_gt_u64_e64 s5, s[18:19], v[50:51]
	s_and_saveexec_b32 s26, s5
	s_cbranch_execz .LBB98_18
; %bb.17:                               ;   in Loop: Header=BB98_4 Depth=1
	v_add_co_u32 v50, vcc_lo, v9, s16
	v_add_co_ci_u32_e32 v51, vcc_lo, s17, v10, vcc_lo
	v_add_co_u32 v52, vcc_lo, v11, s16
	v_add_co_ci_u32_e32 v53, vcc_lo, s17, v12, vcc_lo
	global_load_u16 v44, v[50:51], off
	global_load_u16 v48, v[52:53], off
.LBB98_18:                              ;   in Loop: Header=BB98_4 Depth=1
	s_or_b32 exec_lo, exec_lo, s26
	v_mov_b32_e32 v50, 0
	s_and_saveexec_b32 s26, s5
	s_cbranch_execz .LBB98_20
; %bb.19:                               ;   in Loop: Header=BB98_4 Depth=1
	v_add_co_u32 v50, vcc_lo, v13, s16
	v_add_co_ci_u32_e32 v51, vcc_lo, s17, v14, vcc_lo
	global_load_u16 v50, v[50:51], off
.LBB98_20:                              ;   in Loop: Header=BB98_4 Depth=1
	s_or_b32 exec_lo, exec_lo, s26
	s_waitcnt vmcnt(1)
	v_lshlrev_b32_e32 v51, 16, v40
	s_waitcnt vmcnt(0)
	v_lshlrev_b32_e32 v42, 16, v42
	v_lshlrev_b32_e32 v45, 16, v45
	s_and_b32 vcc_lo, exec_lo, s23
	s_cbranch_vccz .LBB98_40
; %bb.21:                               ;   in Loop: Header=BB98_4 Depth=1
	s_delay_alu instid0(VALU_DEP_1) | instskip(NEXT) | instid1(VALU_DEP_1)
	v_mul_f32_e32 v40, v42, v45
	v_fma_f32 v40, s22, v40, v51
	s_cbranch_execnz .LBB98_23
.LBB98_22:                              ;   in Loop: Header=BB98_4 Depth=1
	s_delay_alu instid0(VALU_DEP_1) | instskip(NEXT) | instid1(VALU_DEP_1)
	v_fmac_f32_e32 v51, v42, v45
	v_mov_b32_e32 v40, v51
.LBB98_23:                              ;   in Loop: Header=BB98_4 Depth=1
	v_lshlrev_b32_e32 v42, 16, v39
	v_lshlrev_b32_e32 v43, 16, v43
	;; [unrolled: 1-line block ×3, first 2 shown]
	s_and_not1_b32 vcc_lo, exec_lo, s23
	s_cbranch_vccnz .LBB98_41
; %bb.24:                               ;   in Loop: Header=BB98_4 Depth=1
	s_delay_alu instid0(VALU_DEP_1) | instskip(NEXT) | instid1(VALU_DEP_1)
	v_mul_f32_e32 v39, v43, v45
	v_fma_f32 v39, s22, v39, v42
	s_cbranch_execnz .LBB98_26
.LBB98_25:                              ;   in Loop: Header=BB98_4 Depth=1
	s_delay_alu instid0(VALU_DEP_1) | instskip(NEXT) | instid1(VALU_DEP_1)
	v_fmac_f32_e32 v42, v43, v45
	v_mov_b32_e32 v39, v42
.LBB98_26:                              ;   in Loop: Header=BB98_4 Depth=1
	v_lshlrev_b32_e32 v42, 16, v41
	v_lshlrev_b32_e32 v43, 16, v46
	v_lshlrev_b32_e32 v45, 16, v49
	s_and_not1_b32 vcc_lo, exec_lo, s23
	s_cbranch_vccnz .LBB98_42
; %bb.27:                               ;   in Loop: Header=BB98_4 Depth=1
	s_delay_alu instid0(VALU_DEP_1) | instskip(NEXT) | instid1(VALU_DEP_1)
	v_mul_f32_e32 v41, v43, v45
	v_fma_f32 v41, s22, v41, v42
	s_cbranch_execnz .LBB98_29
.LBB98_28:                              ;   in Loop: Header=BB98_4 Depth=1
	s_delay_alu instid0(VALU_DEP_1) | instskip(NEXT) | instid1(VALU_DEP_1)
	v_fmac_f32_e32 v42, v43, v45
	v_mov_b32_e32 v41, v42
.LBB98_29:                              ;   in Loop: Header=BB98_4 Depth=1
	v_lshlrev_b32_e32 v43, 16, v44
	v_lshlrev_b32_e32 v44, 16, v48
	;; [unrolled: 1-line block ×3, first 2 shown]
	s_and_not1_b32 vcc_lo, exec_lo, s23
	s_cbranch_vccnz .LBB98_43
; %bb.30:                               ;   in Loop: Header=BB98_4 Depth=1
	s_delay_alu instid0(VALU_DEP_1) | instskip(NEXT) | instid1(VALU_DEP_1)
	v_mul_f32_e32 v42, v44, v45
	v_fma_f32 v42, s22, v42, v43
	s_cbranch_execnz .LBB98_32
.LBB98_31:                              ;   in Loop: Header=BB98_4 Depth=1
	s_delay_alu instid0(VALU_DEP_1) | instskip(NEXT) | instid1(VALU_DEP_1)
	v_fmac_f32_e32 v43, v44, v45
	v_mov_b32_e32 v42, v43
.LBB98_32:                              ;   in Loop: Header=BB98_4 Depth=1
	s_and_saveexec_b32 s26, s2
	s_delay_alu instid0(SALU_CYCLE_1)
	s_xor_b32 s2, exec_lo, s26
	s_cbranch_execnz .LBB98_36
; %bb.33:                               ;   in Loop: Header=BB98_4 Depth=1
	s_or_b32 exec_lo, exec_lo, s2
	s_and_saveexec_b32 s2, s3
	s_cbranch_execnz .LBB98_37
.LBB98_34:                              ;   in Loop: Header=BB98_4 Depth=1
	s_or_b32 exec_lo, exec_lo, s2
	s_and_saveexec_b32 s2, s4
	s_cbranch_execnz .LBB98_38
.LBB98_35:                              ;   in Loop: Header=BB98_4 Depth=1
	s_or_b32 exec_lo, exec_lo, s2
	s_and_saveexec_b32 s2, s5
	s_cbranch_execz .LBB98_3
	s_branch .LBB98_39
.LBB98_36:                              ;   in Loop: Header=BB98_4 Depth=1
	v_bfe_u32 v43, v40, 16, 1
	v_cmp_o_f32_e32 vcc_lo, v40, v40
	s_delay_alu instid0(VALU_DEP_2) | instskip(NEXT) | instid1(VALU_DEP_1)
	v_add3_u32 v43, v40, v43, 0x7fff
	v_lshrrev_b32_e32 v43, 16, v43
	s_delay_alu instid0(VALU_DEP_1)
	v_cndmask_b32_e32 v40, 0x7fc0, v43, vcc_lo
	v_add_co_u32 v43, vcc_lo, v7, s16
	v_add_co_ci_u32_e32 v44, vcc_lo, s17, v8, vcc_lo
	global_store_b16 v[43:44], v40, off
	s_or_b32 exec_lo, exec_lo, s2
	s_and_saveexec_b32 s2, s3
	s_cbranch_execz .LBB98_34
.LBB98_37:                              ;   in Loop: Header=BB98_4 Depth=1
	v_bfe_u32 v40, v39, 16, 1
	v_add_co_u32 v43, vcc_lo, v37, s16
	v_add_co_ci_u32_e32 v44, vcc_lo, s17, v38, vcc_lo
	s_delay_alu instid0(VALU_DEP_3) | instskip(SKIP_1) | instid1(VALU_DEP_2)
	v_add3_u32 v40, v39, v40, 0x7fff
	v_cmp_o_f32_e32 vcc_lo, v39, v39
	v_lshrrev_b32_e32 v40, 16, v40
	s_delay_alu instid0(VALU_DEP_1)
	v_cndmask_b32_e32 v39, 0x7fc0, v40, vcc_lo
	global_store_b16 v[43:44], v39, off
	s_or_b32 exec_lo, exec_lo, s2
	s_and_saveexec_b32 s2, s4
	s_cbranch_execz .LBB98_35
.LBB98_38:                              ;   in Loop: Header=BB98_4 Depth=1
	v_bfe_u32 v39, v41, 16, 1
	s_delay_alu instid0(VALU_DEP_1) | instskip(NEXT) | instid1(VALU_DEP_1)
	v_add3_u32 v39, v41, v39, 0x7fff
	v_lshrrev_b32_e32 v43, 16, v39
	v_add_co_u32 v39, vcc_lo, v26, s16
	v_add_co_ci_u32_e32 v40, vcc_lo, s17, v27, vcc_lo
	v_cmp_o_f32_e32 vcc_lo, v41, v41
	s_delay_alu instid0(VALU_DEP_4)
	v_cndmask_b32_e32 v41, 0x7fc0, v43, vcc_lo
	global_store_b16 v[39:40], v41, off
	s_or_b32 exec_lo, exec_lo, s2
	s_and_saveexec_b32 s2, s5
	s_cbranch_execz .LBB98_3
.LBB98_39:                              ;   in Loop: Header=BB98_4 Depth=1
	v_bfe_u32 v39, v42, 16, 1
	s_delay_alu instid0(VALU_DEP_1) | instskip(NEXT) | instid1(VALU_DEP_1)
	v_add3_u32 v39, v42, v39, 0x7fff
	v_lshrrev_b32_e32 v41, 16, v39
	v_add_co_u32 v39, vcc_lo, v15, s16
	v_add_co_ci_u32_e32 v40, vcc_lo, s17, v16, vcc_lo
	v_cmp_o_f32_e32 vcc_lo, v42, v42
	s_delay_alu instid0(VALU_DEP_4)
	v_cndmask_b32_e32 v41, 0x7fc0, v41, vcc_lo
	global_store_b16 v[39:40], v41, off
	s_branch .LBB98_3
.LBB98_40:                              ;   in Loop: Header=BB98_4 Depth=1
                                        ; implicit-def: $vgpr40
	s_branch .LBB98_22
.LBB98_41:                              ;   in Loop: Header=BB98_4 Depth=1
                                        ; implicit-def: $vgpr39
	s_branch .LBB98_25
.LBB98_42:                              ;   in Loop: Header=BB98_4 Depth=1
                                        ; implicit-def: $vgpr41
	s_branch .LBB98_28
.LBB98_43:                              ;   in Loop: Header=BB98_4 Depth=1
                                        ; implicit-def: $vgpr42
	s_branch .LBB98_31
.LBB98_44:
	s_mov_b32 s2, 0
.LBB98_45:
	s_delay_alu instid0(SALU_CYCLE_1)
	s_and_not1_b32 vcc_lo, exec_lo, s2
	s_cbranch_vccnz .LBB98_65
; %bb.46:
	v_dual_mov_b32 v2, 0 :: v_dual_lshlrev_b32 v1, 2, v0
	s_mov_b32 s2, 0
	s_mov_b32 s3, exec_lo
	s_delay_alu instid0(VALU_DEP_1)
	v_cmpx_gt_i64_e64 s[14:15], v[1:2]
	s_cbranch_execz .LBB98_65
; %bb.47:
	s_load_b32 s0, s[0:1], 0xc84
	v_lshlrev_b32_e32 v1, 3, v0
	v_cmp_neq_f32_e64 s3, s22, 1.0
	s_delay_alu instid0(VALU_DEP_2) | instskip(NEXT) | instid1(VALU_DEP_1)
	v_add_co_u32 v9, s1, s16, v1
	v_add_co_ci_u32_e64 v10, null, s17, 0, s1
	s_waitcnt lgkmcnt(0)
	s_and_b32 s0, s0, 0xffff
	s_delay_alu instid0(SALU_CYCLE_1)
	v_add_lshl_u32 v1, v0, s0, 2
	s_lshl_b32 s4, s0, 3
	s_lshl_b32 s5, s0, 2
	s_branch .LBB98_49
.LBB98_48:                              ;   in Loop: Header=BB98_49 Depth=1
	v_bfe_u32 v5, v0, 16, 1
	v_bfe_u32 v6, v11, 16, 1
	;; [unrolled: 1-line block ×3, first 2 shown]
	v_cmp_o_f32_e32 vcc_lo, v0, v0
	v_bfe_u32 v8, v4, 16, 1
	v_add3_u32 v5, v0, v5, 0x7fff
	v_add3_u32 v6, v11, v6, 0x7fff
	;; [unrolled: 1-line block ×3, first 2 shown]
	v_cmp_lt_u64_e64 s0, 0xffff, v[1:2]
	v_add3_u32 v8, v4, v8, 0x7fff
	v_lshrrev_b32_e32 v5, 16, v5
	v_and_b32_e32 v6, 0xffff0000, v6
	v_lshrrev_b32_e32 v7, 16, v7
	s_delay_alu instid0(VALU_DEP_4) | instskip(NEXT) | instid1(VALU_DEP_4)
	v_and_b32_e32 v8, 0xffff0000, v8
	v_cndmask_b32_e32 v0, 0x7fc0, v5, vcc_lo
	v_cmp_o_f32_e32 vcc_lo, v11, v11
	v_cndmask_b32_e32 v5, 0x7fc00000, v6, vcc_lo
	v_cmp_o_f32_e32 vcc_lo, v3, v3
	s_delay_alu instid0(VALU_DEP_2) | instskip(SKIP_3) | instid1(VALU_DEP_1)
	v_or_b32_e32 v0, v5, v0
	v_cndmask_b32_e32 v3, 0x7fc0, v7, vcc_lo
	v_cmp_o_f32_e32 vcc_lo, v4, v4
	v_add_co_u32 v5, s1, s12, v9
	v_add_co_ci_u32_e64 v6, s1, s13, v10, s1
	v_cndmask_b32_e32 v4, 0x7fc00000, v8, vcc_lo
	v_cmp_le_i64_e32 vcc_lo, s[14:15], v[1:2]
	s_delay_alu instid0(VALU_DEP_2)
	v_or3_b32 v4, 0, v3, v4
	v_or3_b32 v3, v0, 0, 0
	s_or_b32 s0, vcc_lo, s0
	v_add_co_u32 v9, vcc_lo, v9, s4
	v_add_co_ci_u32_e32 v10, vcc_lo, 0, v10, vcc_lo
	v_add_co_u32 v1, vcc_lo, v1, s5
	v_add_co_ci_u32_e32 v2, vcc_lo, 0, v2, vcc_lo
	s_and_b32 s0, exec_lo, s0
	global_store_b64 v[5:6], v[3:4], off
	s_or_b32 s2, s0, s2
	s_delay_alu instid0(SALU_CYCLE_1)
	s_and_not1_b32 exec_lo, exec_lo, s2
	s_cbranch_execz .LBB98_65
.LBB98_49:                              ; =>This Inner Loop Header: Depth=1
	v_add_co_u32 v3, vcc_lo, s8, v9
	v_add_co_ci_u32_e32 v4, vcc_lo, s9, v10, vcc_lo
	v_add_co_u32 v5, vcc_lo, s6, v9
	v_add_co_ci_u32_e32 v6, vcc_lo, s7, v10, vcc_lo
	;; [unrolled: 2-line block ×3, first 2 shown]
	global_load_b64 v[3:4], v[3:4], off
	global_load_b64 v[5:6], v[5:6], off
	;; [unrolled: 1-line block ×3, first 2 shown]
	s_and_b32 vcc_lo, exec_lo, s3
	s_waitcnt vmcnt(2)
	v_lshlrev_b32_e32 v11, 16, v3
	s_waitcnt vmcnt(1)
	v_lshlrev_b32_e32 v12, 16, v5
	;; [unrolled: 2-line block ×3, first 2 shown]
	s_cbranch_vccz .LBB98_60
; %bb.50:                               ;   in Loop: Header=BB98_49 Depth=1
	s_delay_alu instid0(VALU_DEP_1) | instskip(NEXT) | instid1(VALU_DEP_1)
	v_mul_f32_e32 v0, v12, v13
	v_fma_f32 v0, s22, v0, v11
	s_cbranch_execnz .LBB98_52
.LBB98_51:                              ;   in Loop: Header=BB98_49 Depth=1
	s_delay_alu instid0(VALU_DEP_1) | instskip(NEXT) | instid1(VALU_DEP_1)
	v_fmac_f32_e32 v11, v12, v13
	v_mov_b32_e32 v0, v11
.LBB98_52:                              ;   in Loop: Header=BB98_49 Depth=1
	v_and_b32_e32 v12, 0xffff0000, v3
	v_and_b32_e32 v13, 0xffff0000, v5
	;; [unrolled: 1-line block ×3, first 2 shown]
	s_and_not1_b32 vcc_lo, exec_lo, s3
	s_cbranch_vccnz .LBB98_61
; %bb.53:                               ;   in Loop: Header=BB98_49 Depth=1
	s_delay_alu instid0(VALU_DEP_1) | instskip(NEXT) | instid1(VALU_DEP_1)
	v_mul_f32_e32 v11, v13, v14
	v_fma_f32 v11, s22, v11, v12
	s_cbranch_execnz .LBB98_55
.LBB98_54:                              ;   in Loop: Header=BB98_49 Depth=1
	s_delay_alu instid0(VALU_DEP_1) | instskip(NEXT) | instid1(VALU_DEP_1)
	v_fmac_f32_e32 v12, v13, v14
	v_mov_b32_e32 v11, v12
.LBB98_55:                              ;   in Loop: Header=BB98_49 Depth=1
	v_alignbit_b32 v3, v4, v3, 16
	v_alignbit_b32 v12, v6, v5, 16
	;; [unrolled: 1-line block ×3, first 2 shown]
	s_and_not1_b32 vcc_lo, exec_lo, s3
	s_delay_alu instid0(VALU_DEP_3) | instskip(NEXT) | instid1(VALU_DEP_3)
	v_and_b32_e32 v5, 0xffff0000, v3
	v_and_b32_e32 v7, 0xffff0000, v12
	s_delay_alu instid0(VALU_DEP_3)
	v_and_b32_e32 v12, 0xffff0000, v13
	s_cbranch_vccnz .LBB98_62
; %bb.56:                               ;   in Loop: Header=BB98_49 Depth=1
	s_delay_alu instid0(VALU_DEP_1) | instskip(NEXT) | instid1(VALU_DEP_1)
	v_mul_f32_e32 v3, v7, v12
	v_fma_f32 v3, s22, v3, v5
	s_cbranch_execnz .LBB98_58
.LBB98_57:                              ;   in Loop: Header=BB98_49 Depth=1
	s_delay_alu instid0(VALU_DEP_1) | instskip(NEXT) | instid1(VALU_DEP_1)
	v_fmac_f32_e32 v5, v7, v12
	v_mov_b32_e32 v3, v5
.LBB98_58:                              ;   in Loop: Header=BB98_49 Depth=1
	v_and_b32_e32 v5, 0xffff0000, v4
	v_and_b32_e32 v6, 0xffff0000, v6
	;; [unrolled: 1-line block ×3, first 2 shown]
	s_and_not1_b32 vcc_lo, exec_lo, s3
	s_cbranch_vccnz .LBB98_63
; %bb.59:                               ;   in Loop: Header=BB98_49 Depth=1
	s_delay_alu instid0(VALU_DEP_1) | instskip(NEXT) | instid1(VALU_DEP_1)
	v_mul_f32_e32 v4, v6, v7
	v_fma_f32 v4, s22, v4, v5
	s_cbranch_execnz .LBB98_48
	s_branch .LBB98_64
.LBB98_60:                              ;   in Loop: Header=BB98_49 Depth=1
                                        ; implicit-def: $vgpr0
	s_branch .LBB98_51
.LBB98_61:                              ;   in Loop: Header=BB98_49 Depth=1
                                        ; implicit-def: $vgpr11
	s_branch .LBB98_54
.LBB98_62:                              ;   in Loop: Header=BB98_49 Depth=1
                                        ; implicit-def: $vgpr3
	s_branch .LBB98_57
.LBB98_63:                              ;   in Loop: Header=BB98_49 Depth=1
                                        ; implicit-def: $vgpr4
.LBB98_64:                              ;   in Loop: Header=BB98_49 Depth=1
	s_delay_alu instid0(VALU_DEP_1) | instskip(NEXT) | instid1(VALU_DEP_1)
	v_fmac_f32_e32 v5, v6, v7
	v_mov_b32_e32 v4, v5
	s_branch .LBB98_48
.LBB98_65:
	s_nop 0
	s_sendmsg sendmsg(MSG_DEALLOC_VGPRS)
	s_endpgm
	.section	.rodata,"a",@progbits
	.p2align	6, 0x0
	.amdhsa_kernel _ZN2at6native12_GLOBAL__N_125multi_tensor_apply_kernelINS1_28TensorListScalarListMetadataIfLi4EEENS1_28PointwiseOpScalarListFunctorIN3c108BFloat16ELi4ELi3ELi3EEEJSt10multipliesIfEEEEvT_T0_DpT1_
		.amdhsa_group_segment_fixed_size 0
		.amdhsa_private_segment_fixed_size 0
		.amdhsa_kernarg_size 3448
		.amdhsa_user_sgpr_count 15
		.amdhsa_user_sgpr_dispatch_ptr 0
		.amdhsa_user_sgpr_queue_ptr 0
		.amdhsa_user_sgpr_kernarg_segment_ptr 1
		.amdhsa_user_sgpr_dispatch_id 0
		.amdhsa_user_sgpr_private_segment_size 0
		.amdhsa_wavefront_size32 1
		.amdhsa_uses_dynamic_stack 0
		.amdhsa_enable_private_segment 0
		.amdhsa_system_sgpr_workgroup_id_x 1
		.amdhsa_system_sgpr_workgroup_id_y 0
		.amdhsa_system_sgpr_workgroup_id_z 0
		.amdhsa_system_sgpr_workgroup_info 0
		.amdhsa_system_vgpr_workitem_id 0
		.amdhsa_next_free_vgpr 54
		.amdhsa_next_free_sgpr 27
		.amdhsa_reserve_vcc 1
		.amdhsa_float_round_mode_32 0
		.amdhsa_float_round_mode_16_64 0
		.amdhsa_float_denorm_mode_32 3
		.amdhsa_float_denorm_mode_16_64 3
		.amdhsa_dx10_clamp 1
		.amdhsa_ieee_mode 1
		.amdhsa_fp16_overflow 0
		.amdhsa_workgroup_processor_mode 1
		.amdhsa_memory_ordered 1
		.amdhsa_forward_progress 0
		.amdhsa_shared_vgpr_count 0
		.amdhsa_exception_fp_ieee_invalid_op 0
		.amdhsa_exception_fp_denorm_src 0
		.amdhsa_exception_fp_ieee_div_zero 0
		.amdhsa_exception_fp_ieee_overflow 0
		.amdhsa_exception_fp_ieee_underflow 0
		.amdhsa_exception_fp_ieee_inexact 0
		.amdhsa_exception_int_div_zero 0
	.end_amdhsa_kernel
	.section	.text._ZN2at6native12_GLOBAL__N_125multi_tensor_apply_kernelINS1_28TensorListScalarListMetadataIfLi4EEENS1_28PointwiseOpScalarListFunctorIN3c108BFloat16ELi4ELi3ELi3EEEJSt10multipliesIfEEEEvT_T0_DpT1_,"axG",@progbits,_ZN2at6native12_GLOBAL__N_125multi_tensor_apply_kernelINS1_28TensorListScalarListMetadataIfLi4EEENS1_28PointwiseOpScalarListFunctorIN3c108BFloat16ELi4ELi3ELi3EEEJSt10multipliesIfEEEEvT_T0_DpT1_,comdat
.Lfunc_end98:
	.size	_ZN2at6native12_GLOBAL__N_125multi_tensor_apply_kernelINS1_28TensorListScalarListMetadataIfLi4EEENS1_28PointwiseOpScalarListFunctorIN3c108BFloat16ELi4ELi3ELi3EEEJSt10multipliesIfEEEEvT_T0_DpT1_, .Lfunc_end98-_ZN2at6native12_GLOBAL__N_125multi_tensor_apply_kernelINS1_28TensorListScalarListMetadataIfLi4EEENS1_28PointwiseOpScalarListFunctorIN3c108BFloat16ELi4ELi3ELi3EEEJSt10multipliesIfEEEEvT_T0_DpT1_
                                        ; -- End function
	.section	.AMDGPU.csdata,"",@progbits
; Kernel info:
; codeLenInByte = 2784
; NumSgprs: 29
; NumVgprs: 54
; ScratchSize: 0
; MemoryBound: 0
; FloatMode: 240
; IeeeMode: 1
; LDSByteSize: 0 bytes/workgroup (compile time only)
; SGPRBlocks: 3
; VGPRBlocks: 6
; NumSGPRsForWavesPerEU: 29
; NumVGPRsForWavesPerEU: 54
; Occupancy: 16
; WaveLimiterHint : 0
; COMPUTE_PGM_RSRC2:SCRATCH_EN: 0
; COMPUTE_PGM_RSRC2:USER_SGPR: 15
; COMPUTE_PGM_RSRC2:TRAP_HANDLER: 0
; COMPUTE_PGM_RSRC2:TGID_X_EN: 1
; COMPUTE_PGM_RSRC2:TGID_Y_EN: 0
; COMPUTE_PGM_RSRC2:TGID_Z_EN: 0
; COMPUTE_PGM_RSRC2:TIDIG_COMP_CNT: 0
	.section	.text._ZN2at6native12_GLOBAL__N_125multi_tensor_apply_kernelINS1_28TensorListScalarListMetadataIhLi3EEENS1_28PointwiseOpScalarListFunctorIhLi3ELi3ELi0EEEJSt10multipliesIhEEEEvT_T0_DpT1_,"axG",@progbits,_ZN2at6native12_GLOBAL__N_125multi_tensor_apply_kernelINS1_28TensorListScalarListMetadataIhLi3EEENS1_28PointwiseOpScalarListFunctorIhLi3ELi3ELi0EEEJSt10multipliesIhEEEEvT_T0_DpT1_,comdat
	.globl	_ZN2at6native12_GLOBAL__N_125multi_tensor_apply_kernelINS1_28TensorListScalarListMetadataIhLi3EEENS1_28PointwiseOpScalarListFunctorIhLi3ELi3ELi0EEEJSt10multipliesIhEEEEvT_T0_DpT1_ ; -- Begin function _ZN2at6native12_GLOBAL__N_125multi_tensor_apply_kernelINS1_28TensorListScalarListMetadataIhLi3EEENS1_28PointwiseOpScalarListFunctorIhLi3ELi3ELi0EEEJSt10multipliesIhEEEEvT_T0_DpT1_
	.p2align	8
	.type	_ZN2at6native12_GLOBAL__N_125multi_tensor_apply_kernelINS1_28TensorListScalarListMetadataIhLi3EEENS1_28PointwiseOpScalarListFunctorIhLi3ELi3ELi0EEEJSt10multipliesIhEEEEvT_T0_DpT1_,@function
_ZN2at6native12_GLOBAL__N_125multi_tensor_apply_kernelINS1_28TensorListScalarListMetadataIhLi3EEENS1_28PointwiseOpScalarListFunctorIhLi3ELi3ELi0EEEJSt10multipliesIhEEEEvT_T0_DpT1_: ; @_ZN2at6native12_GLOBAL__N_125multi_tensor_apply_kernelINS1_28TensorListScalarListMetadataIhLi3EEENS1_28PointwiseOpScalarListFunctorIhLi3ELi3ELi0EEEJSt10multipliesIhEEEEvT_T0_DpT1_
; %bb.0:
	v_mov_b32_e32 v1, s15
	s_mul_i32 s4, s15, 3
	s_mul_hi_u32 s5, s15, 3
	global_load_u8 v3, v1, s[0:1] offset:1584
	s_waitcnt vmcnt(0)
	v_add_co_u32 v1, s2, s0, v3
	s_delay_alu instid0(VALU_DEP_1)
	v_add_co_ci_u32_e64 v2, null, s1, 0, s2
	s_add_u32 s2, s0, s15
	s_addc_u32 s3, s1, 0
	s_add_u32 s2, s2, s4
	global_load_u8 v2, v[1:2], off offset:1536
	s_addc_u32 s3, s3, s5
	v_readfirstlane_b32 s4, v3
	s_load_b32 s6, s[2:3], 0x770
	s_delay_alu instid0(VALU_DEP_1)
	s_lshl_b32 s7, s4, 3
	s_clause 0x3
	s_load_b64 s[12:13], s[0:1], s7 offset:0x0
	s_load_b64 s[4:5], s[0:1], s7 offset:0x180
	;; [unrolled: 1-line block ×4, first 2 shown]
	s_waitcnt lgkmcnt(0)
	s_ashr_i32 s7, s6, 31
	s_delay_alu instid0(SALU_CYCLE_1) | instskip(NEXT) | instid1(SALU_CYCLE_1)
	s_lshl_b64 s[14:15], s[6:7], 16
	s_add_u32 s6, s12, s14
	s_addc_u32 s7, s13, s15
	s_add_u32 s16, s4, s14
	s_addc_u32 s17, s5, s15
	;; [unrolled: 2-line block ×3, first 2 shown]
	s_or_b32 s8, s18, s16
	s_delay_alu instid0(SALU_CYCLE_1) | instskip(NEXT) | instid1(SALU_CYCLE_1)
	s_and_b32 s8, s8, 3
	s_cmp_eq_u32 s8, 0
	s_cselect_b32 s20, -1, 0
	s_sub_u32 s8, s10, s14
	s_subb_u32 s9, s11, s15
	s_or_b64 s[10:11], s[10:11], s[6:7]
	s_mov_b32 s11, 0
	s_and_b32 s10, s10, 3
	s_delay_alu instid0(SALU_CYCLE_1) | instskip(SKIP_1) | instid1(SALU_CYCLE_1)
	s_cmp_eq_u64 s[10:11], 0
	s_cselect_b32 s10, -1, 0
	s_and_b32 s10, s20, s10
	s_delay_alu instid0(SALU_CYCLE_1)
	s_and_b32 vcc_lo, exec_lo, s10
	s_mov_b32 s10, -1
	s_cbranch_vccnz .LBB99_29
; %bb.1:
	v_cmp_lt_i64_e64 s10, s[8:9], 1
	s_delay_alu instid0(VALU_DEP_1)
	s_and_b32 vcc_lo, exec_lo, s10
	s_cbranch_vccnz .LBB99_28
; %bb.2:
	s_load_b32 s10, s[0:1], 0xc84
	v_add_co_u32 v22, s11, s14, v0
	s_delay_alu instid0(VALU_DEP_1) | instskip(SKIP_1) | instid1(VALU_DEP_3)
	v_add_co_ci_u32_e64 v23, null, s15, 0, s11
	v_cmp_gt_u64_e64 s11, 0x10000, s[8:9]
	v_add_co_u32 v1, vcc_lo, s12, v22
	s_delay_alu instid0(VALU_DEP_3)
	v_add_co_ci_u32_e32 v3, vcc_lo, s13, v23, vcc_lo
	v_add_co_u32 v4, vcc_lo, s4, v22
	v_add_co_ci_u32_e32 v5, vcc_lo, s5, v23, vcc_lo
	v_add_co_u32 v6, vcc_lo, s2, v22
	v_add_co_ci_u32_e32 v7, vcc_lo, s3, v23, vcc_lo
	s_waitcnt lgkmcnt(0)
	s_and_b32 s21, s10, 0xffff
	s_and_b32 s10, s11, exec_lo
	s_mul_i32 s23, s21, 3
	s_cselect_b32 s11, s9, 0
	s_cselect_b32 s10, s8, 0x10000
	s_lshl_b32 s22, s21, 1
	s_lshl_b32 s20, s21, 2
	s_add_u32 s24, s14, s23
	s_addc_u32 s25, s15, 0
	v_add_co_u32 v12, s24, s24, v0
	s_delay_alu instid0(VALU_DEP_1) | instskip(SKIP_1) | instid1(VALU_DEP_2)
	v_add_co_ci_u32_e64 v13, null, s25, 0, s24
	s_add_u32 s14, s14, s22
	v_add_co_u32 v8, vcc_lo, s12, v12
	s_delay_alu instid0(VALU_DEP_2)
	v_add_co_ci_u32_e32 v9, vcc_lo, s13, v13, vcc_lo
	v_add_co_u32 v10, vcc_lo, s4, v12
	s_addc_u32 s15, s15, 0
	v_add_co_u32 v20, s14, s14, v0
	v_add_co_ci_u32_e32 v11, vcc_lo, s5, v13, vcc_lo
	v_add_co_u32 v12, vcc_lo, s2, v12
	v_add_co_ci_u32_e64 v21, null, s15, 0, s14
	v_add_co_ci_u32_e32 v13, vcc_lo, s3, v13, vcc_lo
	v_add_co_u32 v16, vcc_lo, s12, v20
	s_delay_alu instid0(VALU_DEP_3)
	v_add_co_ci_u32_e32 v17, vcc_lo, s13, v21, vcc_lo
	v_add_co_u32 v18, vcc_lo, s4, v20
	v_add_co_ci_u32_e32 v19, vcc_lo, s5, v21, vcc_lo
	v_add_co_u32 v20, vcc_lo, s2, v20
	;; [unrolled: 2-line block ×3, first 2 shown]
	v_add_co_ci_u32_e32 v29, vcc_lo, 0, v23, vcc_lo
	v_add_co_u32 v14, s14, s23, v0
	s_delay_alu instid0(VALU_DEP_3) | instskip(NEXT) | instid1(VALU_DEP_3)
	v_add_co_u32 v24, vcc_lo, s12, v28
	v_add_co_ci_u32_e32 v25, vcc_lo, s13, v29, vcc_lo
	v_add_co_u32 v26, vcc_lo, s4, v28
	v_add_co_ci_u32_e32 v27, vcc_lo, s5, v29, vcc_lo
	v_add_co_ci_u32_e64 v15, null, 0, 0, s14
	v_add_co_u32 v22, s14, s22, v0
	v_add_co_u32 v28, vcc_lo, s2, v28
	v_add_co_u32 v30, s2, v0, s21
	v_add_co_ci_u32_e64 v23, null, 0, 0, s14
	v_add_co_ci_u32_e32 v29, vcc_lo, s3, v29, vcc_lo
	v_add_co_ci_u32_e64 v31, null, 0, 0, s2
	s_mov_b64 s[12:13], 0
	s_branch .LBB99_4
.LBB99_3:                               ;   in Loop: Header=BB99_4 Depth=1
	s_or_b32 exec_lo, exec_lo, s2
	s_add_u32 s12, s12, s20
	s_addc_u32 s13, s13, 0
	s_delay_alu instid0(SALU_CYCLE_1) | instskip(SKIP_1) | instid1(VALU_DEP_1)
	v_cmp_lt_i64_e64 s2, s[12:13], s[8:9]
	v_cmp_gt_u64_e64 s3, 0x10000, s[12:13]
	s_and_b32 s2, s2, s3
	s_delay_alu instid0(SALU_CYCLE_1)
	s_and_b32 vcc_lo, exec_lo, s2
	s_cbranch_vccz .LBB99_28
.LBB99_4:                               ; =>This Inner Loop Header: Depth=1
	s_waitcnt vmcnt(1)
	v_add_co_u32 v32, s2, v0, s12
	s_waitcnt vmcnt(0)
	v_add_co_ci_u32_e64 v33, null, 0, s13, s2
	s_delay_alu instid0(VALU_DEP_1)
	v_cmp_gt_u64_e32 vcc_lo, s[10:11], v[32:33]
	v_dual_mov_b32 v32, 0 :: v_dual_mov_b32 v33, 0
	s_and_saveexec_b32 s3, vcc_lo
	s_cbranch_execz .LBB99_6
; %bb.5:                                ;   in Loop: Header=BB99_4 Depth=1
	v_add_co_u32 v32, s2, v1, s12
	s_delay_alu instid0(VALU_DEP_1) | instskip(SKIP_1) | instid1(VALU_DEP_1)
	v_add_co_ci_u32_e64 v33, s2, s13, v3, s2
	v_add_co_u32 v34, s2, v4, s12
	v_add_co_ci_u32_e64 v35, s2, s13, v5, s2
	global_load_u8 v32, v[32:33], off
	global_load_u8 v33, v[34:35], off
.LBB99_6:                               ;   in Loop: Header=BB99_4 Depth=1
	s_or_b32 exec_lo, exec_lo, s3
	v_dual_mov_b32 v34, 0 :: v_dual_mov_b32 v35, 0
	s_and_saveexec_b32 s3, vcc_lo
	s_cbranch_execz .LBB99_8
; %bb.7:                                ;   in Loop: Header=BB99_4 Depth=1
	v_add_co_u32 v35, s2, v6, s12
	s_delay_alu instid0(VALU_DEP_1)
	v_add_co_ci_u32_e64 v36, s2, s13, v7, s2
	global_load_u8 v35, v[35:36], off
.LBB99_8:                               ;   in Loop: Header=BB99_4 Depth=1
	s_or_b32 exec_lo, exec_lo, s3
	v_add_co_u32 v36, s2, v30, s12
	s_delay_alu instid0(VALU_DEP_1) | instskip(NEXT) | instid1(VALU_DEP_1)
	v_add_co_ci_u32_e64 v37, s2, s13, v31, s2
	v_cmp_gt_u64_e64 s2, s[10:11], v[36:37]
	v_mov_b32_e32 v36, 0
	s_delay_alu instid0(VALU_DEP_2)
	s_and_saveexec_b32 s4, s2
	s_cbranch_execz .LBB99_10
; %bb.9:                                ;   in Loop: Header=BB99_4 Depth=1
	v_add_co_u32 v36, s3, v24, s12
	s_delay_alu instid0(VALU_DEP_1) | instskip(SKIP_1) | instid1(VALU_DEP_1)
	v_add_co_ci_u32_e64 v37, s3, s13, v25, s3
	v_add_co_u32 v38, s3, v26, s12
	v_add_co_ci_u32_e64 v39, s3, s13, v27, s3
	global_load_u8 v34, v[36:37], off
	global_load_u8 v36, v[38:39], off
.LBB99_10:                              ;   in Loop: Header=BB99_4 Depth=1
	s_or_b32 exec_lo, exec_lo, s4
	v_dual_mov_b32 v37, 0 :: v_dual_mov_b32 v38, 0
	s_and_saveexec_b32 s4, s2
	s_cbranch_execz .LBB99_12
; %bb.11:                               ;   in Loop: Header=BB99_4 Depth=1
	v_add_co_u32 v38, s3, v28, s12
	s_delay_alu instid0(VALU_DEP_1)
	v_add_co_ci_u32_e64 v39, s3, s13, v29, s3
	global_load_u8 v38, v[38:39], off
.LBB99_12:                              ;   in Loop: Header=BB99_4 Depth=1
	s_or_b32 exec_lo, exec_lo, s4
	v_add_co_u32 v39, s3, v22, s12
	s_delay_alu instid0(VALU_DEP_1) | instskip(NEXT) | instid1(VALU_DEP_1)
	v_add_co_ci_u32_e64 v40, s3, s13, v23, s3
	v_cmp_gt_u64_e64 s3, s[10:11], v[39:40]
	v_mov_b32_e32 v39, 0
	s_delay_alu instid0(VALU_DEP_2)
	s_and_saveexec_b32 s5, s3
	s_cbranch_execz .LBB99_14
; %bb.13:                               ;   in Loop: Header=BB99_4 Depth=1
	v_add_co_u32 v39, s4, v16, s12
	s_delay_alu instid0(VALU_DEP_1) | instskip(SKIP_1) | instid1(VALU_DEP_1)
	v_add_co_ci_u32_e64 v40, s4, s13, v17, s4
	v_add_co_u32 v41, s4, v18, s12
	v_add_co_ci_u32_e64 v42, s4, s13, v19, s4
	global_load_u8 v37, v[39:40], off
	global_load_u8 v39, v[41:42], off
.LBB99_14:                              ;   in Loop: Header=BB99_4 Depth=1
	s_or_b32 exec_lo, exec_lo, s5
	v_dual_mov_b32 v40, 0 :: v_dual_mov_b32 v41, 0
	s_and_saveexec_b32 s5, s3
	s_cbranch_execz .LBB99_16
; %bb.15:                               ;   in Loop: Header=BB99_4 Depth=1
	v_add_co_u32 v41, s4, v20, s12
	s_delay_alu instid0(VALU_DEP_1)
	v_add_co_ci_u32_e64 v42, s4, s13, v21, s4
	global_load_u8 v41, v[41:42], off
.LBB99_16:                              ;   in Loop: Header=BB99_4 Depth=1
	s_or_b32 exec_lo, exec_lo, s5
	v_add_co_u32 v42, s4, v14, s12
	s_delay_alu instid0(VALU_DEP_1) | instskip(NEXT) | instid1(VALU_DEP_1)
	v_add_co_ci_u32_e64 v43, s4, s13, v15, s4
	v_cmp_gt_u64_e64 s4, s[10:11], v[42:43]
	v_mov_b32_e32 v42, 0
	s_delay_alu instid0(VALU_DEP_2)
	s_and_saveexec_b32 s14, s4
	s_cbranch_execnz .LBB99_22
; %bb.17:                               ;   in Loop: Header=BB99_4 Depth=1
	s_or_b32 exec_lo, exec_lo, s14
	v_mov_b32_e32 v43, 0
	s_and_saveexec_b32 s14, s4
	s_cbranch_execnz .LBB99_23
.LBB99_18:                              ;   in Loop: Header=BB99_4 Depth=1
	s_or_b32 exec_lo, exec_lo, s14
	s_and_saveexec_b32 s5, vcc_lo
	s_cbranch_execnz .LBB99_24
.LBB99_19:                              ;   in Loop: Header=BB99_4 Depth=1
	s_or_b32 exec_lo, exec_lo, s5
	s_and_saveexec_b32 s5, s2
	s_cbranch_execnz .LBB99_25
.LBB99_20:                              ;   in Loop: Header=BB99_4 Depth=1
	s_or_b32 exec_lo, exec_lo, s5
	s_and_saveexec_b32 s2, s3
	s_cbranch_execnz .LBB99_26
.LBB99_21:                              ;   in Loop: Header=BB99_4 Depth=1
	s_or_b32 exec_lo, exec_lo, s2
	s_and_saveexec_b32 s2, s4
	s_cbranch_execz .LBB99_3
	s_branch .LBB99_27
.LBB99_22:                              ;   in Loop: Header=BB99_4 Depth=1
	v_add_co_u32 v42, s5, v8, s12
	s_delay_alu instid0(VALU_DEP_1) | instskip(SKIP_1) | instid1(VALU_DEP_1)
	v_add_co_ci_u32_e64 v43, s5, s13, v9, s5
	v_add_co_u32 v44, s5, v10, s12
	v_add_co_ci_u32_e64 v45, s5, s13, v11, s5
	global_load_u8 v40, v[42:43], off
	global_load_u8 v42, v[44:45], off
	s_or_b32 exec_lo, exec_lo, s14
	v_mov_b32_e32 v43, 0
	s_and_saveexec_b32 s14, s4
	s_cbranch_execz .LBB99_18
.LBB99_23:                              ;   in Loop: Header=BB99_4 Depth=1
	v_add_co_u32 v43, s5, v12, s12
	s_delay_alu instid0(VALU_DEP_1)
	v_add_co_ci_u32_e64 v44, s5, s13, v13, s5
	global_load_u8 v43, v[43:44], off
	s_or_b32 exec_lo, exec_lo, s14
	s_and_saveexec_b32 s5, vcc_lo
	s_cbranch_execz .LBB99_19
.LBB99_24:                              ;   in Loop: Header=BB99_4 Depth=1
	s_waitcnt vmcnt(0)
	v_mul_lo_u16 v33, v33, v2
	s_delay_alu instid0(VALU_DEP_1)
	v_mad_u16 v35, v33, v35, v32
	v_add_co_u32 v32, vcc_lo, v1, s12
	v_add_co_ci_u32_e32 v33, vcc_lo, s13, v3, vcc_lo
	global_store_b8 v[32:33], v35, off
	s_or_b32 exec_lo, exec_lo, s5
	s_and_saveexec_b32 s5, s2
	s_cbranch_execz .LBB99_20
.LBB99_25:                              ;   in Loop: Header=BB99_4 Depth=1
	s_waitcnt vmcnt(0)
	v_mul_lo_u16 v32, v36, v2
	s_delay_alu instid0(VALU_DEP_1)
	v_mad_u16 v34, v32, v38, v34
	v_add_co_u32 v32, vcc_lo, v24, s12
	v_add_co_ci_u32_e32 v33, vcc_lo, s13, v25, vcc_lo
	global_store_b8 v[32:33], v34, off
	s_or_b32 exec_lo, exec_lo, s5
	s_and_saveexec_b32 s2, s3
	s_cbranch_execz .LBB99_21
.LBB99_26:                              ;   in Loop: Header=BB99_4 Depth=1
	s_waitcnt vmcnt(0)
	v_mul_lo_u16 v32, v39, v2
	s_delay_alu instid0(VALU_DEP_1)
	v_mad_u16 v34, v32, v41, v37
	v_add_co_u32 v32, vcc_lo, v16, s12
	v_add_co_ci_u32_e32 v33, vcc_lo, s13, v17, vcc_lo
	global_store_b8 v[32:33], v34, off
	s_or_b32 exec_lo, exec_lo, s2
	s_and_saveexec_b32 s2, s4
	s_cbranch_execz .LBB99_3
.LBB99_27:                              ;   in Loop: Header=BB99_4 Depth=1
	s_waitcnt vmcnt(0)
	v_mul_lo_u16 v32, v42, v2
	s_delay_alu instid0(VALU_DEP_1)
	v_mad_u16 v34, v32, v43, v40
	v_add_co_u32 v32, vcc_lo, v8, s12
	v_add_co_ci_u32_e32 v33, vcc_lo, s13, v9, vcc_lo
	global_store_b8 v[32:33], v34, off
	s_branch .LBB99_3
.LBB99_28:
	s_mov_b32 s10, 0
.LBB99_29:
	s_delay_alu instid0(SALU_CYCLE_1)
	s_and_not1_b32 vcc_lo, exec_lo, s10
	s_cbranch_vccnz .LBB99_33
; %bb.30:
	v_dual_mov_b32 v1, 0 :: v_dual_lshlrev_b32 v0, 2, v0
	s_mov_b32 s2, exec_lo
	s_delay_alu instid0(VALU_DEP_1)
	v_cmpx_gt_i64_e64 s[8:9], v[0:1]
	s_cbranch_execz .LBB99_33
; %bb.31:
	s_load_b32 s0, s[0:1], 0xc84
	s_mov_b32 s2, 0
	s_waitcnt lgkmcnt(0)
	s_and_b32 s0, s0, 0xffff
	s_delay_alu instid0(SALU_CYCLE_1)
	s_lshl_b32 s1, s0, 2
.LBB99_32:                              ; =>This Inner Loop Header: Depth=1
	v_add_co_u32 v3, vcc_lo, s6, v0
	v_add_co_ci_u32_e32 v4, vcc_lo, s7, v1, vcc_lo
	v_add_co_u32 v5, vcc_lo, s16, v0
	v_add_co_ci_u32_e32 v6, vcc_lo, s17, v1, vcc_lo
	;; [unrolled: 2-line block ×3, first 2 shown]
	global_load_b32 v5, v[5:6], off
	global_load_b32 v6, v[3:4], off
	;; [unrolled: 1-line block ×3, first 2 shown]
	v_add_co_u32 v0, vcc_lo, s1, v0
	v_add_co_ci_u32_e32 v1, vcc_lo, 0, v1, vcc_lo
	s_delay_alu instid0(VALU_DEP_1) | instskip(SKIP_1) | instid1(VALU_DEP_1)
	v_cmp_le_i64_e32 vcc_lo, s[8:9], v[0:1]
	v_cmp_lt_u64_e64 s0, 0xffff, v[0:1]
	s_or_b32 s0, vcc_lo, s0
	s_delay_alu instid0(SALU_CYCLE_1) | instskip(NEXT) | instid1(SALU_CYCLE_1)
	s_and_b32 s0, exec_lo, s0
	s_or_b32 s2, s0, s2
	s_waitcnt vmcnt(2)
	v_lshrrev_b32_e32 v10, 8, v5
	v_lshrrev_b32_e32 v13, 16, v5
	v_mul_lo_u16 v8, v2, v5
	s_waitcnt vmcnt(1)
	v_lshrrev_b32_e32 v9, 8, v6
	s_waitcnt vmcnt(0)
	v_lshrrev_b32_e32 v11, 8, v7
	v_lshrrev_b32_e32 v12, 16, v6
	;; [unrolled: 1-line block ×4, first 2 shown]
	v_mul_lo_u16 v10, v2, v10
	v_mul_lo_u16 v13, v2, v13
	v_lshrrev_b32_e32 v15, 24, v6
	v_lshrrev_b32_e32 v16, 24, v7
	v_mul_lo_u16 v5, v2, v5
	v_mad_u16 v9, v10, v11, v9
	v_mad_u16 v10, v13, v14, v12
	;; [unrolled: 1-line block ×3, first 2 shown]
	s_delay_alu instid0(VALU_DEP_4) | instskip(NEXT) | instid1(VALU_DEP_4)
	v_mad_u16 v5, v5, v16, v15
	v_and_b32_e32 v7, 0xff, v9
	s_delay_alu instid0(VALU_DEP_4) | instskip(NEXT) | instid1(VALU_DEP_3)
	v_and_b32_e32 v8, 0xff, v10
	v_lshlrev_b32_e32 v5, 24, v5
	s_delay_alu instid0(VALU_DEP_3) | instskip(NEXT) | instid1(VALU_DEP_3)
	v_perm_b32 v6, v7, v6, 0x6050400
	v_lshlrev_b32_e32 v7, 16, v8
	s_delay_alu instid0(VALU_DEP_1)
	v_or3_b32 v5, v6, v7, v5
	global_store_b32 v[3:4], v5, off
	s_and_not1_b32 exec_lo, exec_lo, s2
	s_cbranch_execnz .LBB99_32
.LBB99_33:
	s_nop 0
	s_sendmsg sendmsg(MSG_DEALLOC_VGPRS)
	s_endpgm
	.section	.rodata,"a",@progbits
	.p2align	6, 0x0
	.amdhsa_kernel _ZN2at6native12_GLOBAL__N_125multi_tensor_apply_kernelINS1_28TensorListScalarListMetadataIhLi3EEENS1_28PointwiseOpScalarListFunctorIhLi3ELi3ELi0EEEJSt10multipliesIhEEEEvT_T0_DpT1_
		.amdhsa_group_segment_fixed_size 0
		.amdhsa_private_segment_fixed_size 0
		.amdhsa_kernarg_size 3448
		.amdhsa_user_sgpr_count 15
		.amdhsa_user_sgpr_dispatch_ptr 0
		.amdhsa_user_sgpr_queue_ptr 0
		.amdhsa_user_sgpr_kernarg_segment_ptr 1
		.amdhsa_user_sgpr_dispatch_id 0
		.amdhsa_user_sgpr_private_segment_size 0
		.amdhsa_wavefront_size32 1
		.amdhsa_uses_dynamic_stack 0
		.amdhsa_enable_private_segment 0
		.amdhsa_system_sgpr_workgroup_id_x 1
		.amdhsa_system_sgpr_workgroup_id_y 0
		.amdhsa_system_sgpr_workgroup_id_z 0
		.amdhsa_system_sgpr_workgroup_info 0
		.amdhsa_system_vgpr_workitem_id 0
		.amdhsa_next_free_vgpr 46
		.amdhsa_next_free_sgpr 26
		.amdhsa_reserve_vcc 1
		.amdhsa_float_round_mode_32 0
		.amdhsa_float_round_mode_16_64 0
		.amdhsa_float_denorm_mode_32 3
		.amdhsa_float_denorm_mode_16_64 3
		.amdhsa_dx10_clamp 1
		.amdhsa_ieee_mode 1
		.amdhsa_fp16_overflow 0
		.amdhsa_workgroup_processor_mode 1
		.amdhsa_memory_ordered 1
		.amdhsa_forward_progress 0
		.amdhsa_shared_vgpr_count 0
		.amdhsa_exception_fp_ieee_invalid_op 0
		.amdhsa_exception_fp_denorm_src 0
		.amdhsa_exception_fp_ieee_div_zero 0
		.amdhsa_exception_fp_ieee_overflow 0
		.amdhsa_exception_fp_ieee_underflow 0
		.amdhsa_exception_fp_ieee_inexact 0
		.amdhsa_exception_int_div_zero 0
	.end_amdhsa_kernel
	.section	.text._ZN2at6native12_GLOBAL__N_125multi_tensor_apply_kernelINS1_28TensorListScalarListMetadataIhLi3EEENS1_28PointwiseOpScalarListFunctorIhLi3ELi3ELi0EEEJSt10multipliesIhEEEEvT_T0_DpT1_,"axG",@progbits,_ZN2at6native12_GLOBAL__N_125multi_tensor_apply_kernelINS1_28TensorListScalarListMetadataIhLi3EEENS1_28PointwiseOpScalarListFunctorIhLi3ELi3ELi0EEEJSt10multipliesIhEEEEvT_T0_DpT1_,comdat
.Lfunc_end99:
	.size	_ZN2at6native12_GLOBAL__N_125multi_tensor_apply_kernelINS1_28TensorListScalarListMetadataIhLi3EEENS1_28PointwiseOpScalarListFunctorIhLi3ELi3ELi0EEEJSt10multipliesIhEEEEvT_T0_DpT1_, .Lfunc_end99-_ZN2at6native12_GLOBAL__N_125multi_tensor_apply_kernelINS1_28TensorListScalarListMetadataIhLi3EEENS1_28PointwiseOpScalarListFunctorIhLi3ELi3ELi0EEEJSt10multipliesIhEEEEvT_T0_DpT1_
                                        ; -- End function
	.section	.AMDGPU.csdata,"",@progbits
; Kernel info:
; codeLenInByte = 1936
; NumSgprs: 28
; NumVgprs: 46
; ScratchSize: 0
; MemoryBound: 0
; FloatMode: 240
; IeeeMode: 1
; LDSByteSize: 0 bytes/workgroup (compile time only)
; SGPRBlocks: 3
; VGPRBlocks: 5
; NumSGPRsForWavesPerEU: 28
; NumVGPRsForWavesPerEU: 46
; Occupancy: 16
; WaveLimiterHint : 0
; COMPUTE_PGM_RSRC2:SCRATCH_EN: 0
; COMPUTE_PGM_RSRC2:USER_SGPR: 15
; COMPUTE_PGM_RSRC2:TRAP_HANDLER: 0
; COMPUTE_PGM_RSRC2:TGID_X_EN: 1
; COMPUTE_PGM_RSRC2:TGID_Y_EN: 0
; COMPUTE_PGM_RSRC2:TGID_Z_EN: 0
; COMPUTE_PGM_RSRC2:TIDIG_COMP_CNT: 0
	.section	.text._ZN2at6native12_GLOBAL__N_125multi_tensor_apply_kernelINS1_28TensorListScalarListMetadataIaLi3EEENS1_28PointwiseOpScalarListFunctorIaLi3ELi3ELi0EEEJSt10multipliesIaEEEEvT_T0_DpT1_,"axG",@progbits,_ZN2at6native12_GLOBAL__N_125multi_tensor_apply_kernelINS1_28TensorListScalarListMetadataIaLi3EEENS1_28PointwiseOpScalarListFunctorIaLi3ELi3ELi0EEEJSt10multipliesIaEEEEvT_T0_DpT1_,comdat
	.globl	_ZN2at6native12_GLOBAL__N_125multi_tensor_apply_kernelINS1_28TensorListScalarListMetadataIaLi3EEENS1_28PointwiseOpScalarListFunctorIaLi3ELi3ELi0EEEJSt10multipliesIaEEEEvT_T0_DpT1_ ; -- Begin function _ZN2at6native12_GLOBAL__N_125multi_tensor_apply_kernelINS1_28TensorListScalarListMetadataIaLi3EEENS1_28PointwiseOpScalarListFunctorIaLi3ELi3ELi0EEEJSt10multipliesIaEEEEvT_T0_DpT1_
	.p2align	8
	.type	_ZN2at6native12_GLOBAL__N_125multi_tensor_apply_kernelINS1_28TensorListScalarListMetadataIaLi3EEENS1_28PointwiseOpScalarListFunctorIaLi3ELi3ELi0EEEJSt10multipliesIaEEEEvT_T0_DpT1_,@function
_ZN2at6native12_GLOBAL__N_125multi_tensor_apply_kernelINS1_28TensorListScalarListMetadataIaLi3EEENS1_28PointwiseOpScalarListFunctorIaLi3ELi3ELi0EEEJSt10multipliesIaEEEEvT_T0_DpT1_: ; @_ZN2at6native12_GLOBAL__N_125multi_tensor_apply_kernelINS1_28TensorListScalarListMetadataIaLi3EEENS1_28PointwiseOpScalarListFunctorIaLi3ELi3ELi0EEEJSt10multipliesIaEEEEvT_T0_DpT1_
; %bb.0:
	v_mov_b32_e32 v1, s15
	s_mul_i32 s4, s15, 3
	s_mul_hi_u32 s5, s15, 3
	global_load_u8 v3, v1, s[0:1] offset:1584
	s_waitcnt vmcnt(0)
	v_add_co_u32 v1, s2, s0, v3
	s_delay_alu instid0(VALU_DEP_1)
	v_add_co_ci_u32_e64 v2, null, s1, 0, s2
	s_add_u32 s2, s0, s15
	s_addc_u32 s3, s1, 0
	s_add_u32 s2, s2, s4
	global_load_u8 v2, v[1:2], off offset:1536
	s_addc_u32 s3, s3, s5
	v_readfirstlane_b32 s4, v3
	s_load_b32 s6, s[2:3], 0x770
	s_delay_alu instid0(VALU_DEP_1)
	s_lshl_b32 s7, s4, 3
	s_clause 0x3
	s_load_b64 s[12:13], s[0:1], s7 offset:0x0
	s_load_b64 s[4:5], s[0:1], s7 offset:0x180
	;; [unrolled: 1-line block ×4, first 2 shown]
	s_waitcnt lgkmcnt(0)
	s_ashr_i32 s7, s6, 31
	s_delay_alu instid0(SALU_CYCLE_1) | instskip(NEXT) | instid1(SALU_CYCLE_1)
	s_lshl_b64 s[14:15], s[6:7], 16
	s_add_u32 s6, s12, s14
	s_addc_u32 s7, s13, s15
	s_add_u32 s16, s4, s14
	s_addc_u32 s17, s5, s15
	;; [unrolled: 2-line block ×3, first 2 shown]
	s_or_b32 s8, s18, s16
	s_delay_alu instid0(SALU_CYCLE_1) | instskip(NEXT) | instid1(SALU_CYCLE_1)
	s_and_b32 s8, s8, 3
	s_cmp_eq_u32 s8, 0
	s_cselect_b32 s20, -1, 0
	s_sub_u32 s8, s10, s14
	s_subb_u32 s9, s11, s15
	s_or_b64 s[10:11], s[10:11], s[6:7]
	s_mov_b32 s11, 0
	s_and_b32 s10, s10, 3
	s_delay_alu instid0(SALU_CYCLE_1) | instskip(SKIP_1) | instid1(SALU_CYCLE_1)
	s_cmp_eq_u64 s[10:11], 0
	s_cselect_b32 s10, -1, 0
	s_and_b32 s10, s20, s10
	s_delay_alu instid0(SALU_CYCLE_1)
	s_and_b32 vcc_lo, exec_lo, s10
	s_mov_b32 s10, -1
	s_cbranch_vccnz .LBB100_29
; %bb.1:
	v_cmp_lt_i64_e64 s10, s[8:9], 1
	s_delay_alu instid0(VALU_DEP_1)
	s_and_b32 vcc_lo, exec_lo, s10
	s_cbranch_vccnz .LBB100_28
; %bb.2:
	s_load_b32 s10, s[0:1], 0xc84
	v_add_co_u32 v22, s11, s14, v0
	s_delay_alu instid0(VALU_DEP_1) | instskip(SKIP_1) | instid1(VALU_DEP_3)
	v_add_co_ci_u32_e64 v23, null, s15, 0, s11
	v_cmp_gt_u64_e64 s11, 0x10000, s[8:9]
	v_add_co_u32 v1, vcc_lo, s12, v22
	s_delay_alu instid0(VALU_DEP_3)
	v_add_co_ci_u32_e32 v3, vcc_lo, s13, v23, vcc_lo
	v_add_co_u32 v4, vcc_lo, s4, v22
	v_add_co_ci_u32_e32 v5, vcc_lo, s5, v23, vcc_lo
	v_add_co_u32 v6, vcc_lo, s2, v22
	v_add_co_ci_u32_e32 v7, vcc_lo, s3, v23, vcc_lo
	s_waitcnt lgkmcnt(0)
	s_and_b32 s21, s10, 0xffff
	s_and_b32 s10, s11, exec_lo
	s_mul_i32 s23, s21, 3
	s_cselect_b32 s11, s9, 0
	s_cselect_b32 s10, s8, 0x10000
	s_lshl_b32 s22, s21, 1
	s_lshl_b32 s20, s21, 2
	s_add_u32 s24, s14, s23
	s_addc_u32 s25, s15, 0
	v_add_co_u32 v12, s24, s24, v0
	s_delay_alu instid0(VALU_DEP_1) | instskip(SKIP_1) | instid1(VALU_DEP_2)
	v_add_co_ci_u32_e64 v13, null, s25, 0, s24
	s_add_u32 s14, s14, s22
	v_add_co_u32 v8, vcc_lo, s12, v12
	s_delay_alu instid0(VALU_DEP_2)
	v_add_co_ci_u32_e32 v9, vcc_lo, s13, v13, vcc_lo
	v_add_co_u32 v10, vcc_lo, s4, v12
	s_addc_u32 s15, s15, 0
	v_add_co_u32 v20, s14, s14, v0
	v_add_co_ci_u32_e32 v11, vcc_lo, s5, v13, vcc_lo
	v_add_co_u32 v12, vcc_lo, s2, v12
	v_add_co_ci_u32_e64 v21, null, s15, 0, s14
	v_add_co_ci_u32_e32 v13, vcc_lo, s3, v13, vcc_lo
	v_add_co_u32 v16, vcc_lo, s12, v20
	s_delay_alu instid0(VALU_DEP_3)
	v_add_co_ci_u32_e32 v17, vcc_lo, s13, v21, vcc_lo
	v_add_co_u32 v18, vcc_lo, s4, v20
	v_add_co_ci_u32_e32 v19, vcc_lo, s5, v21, vcc_lo
	v_add_co_u32 v20, vcc_lo, s2, v20
	;; [unrolled: 2-line block ×3, first 2 shown]
	v_add_co_ci_u32_e32 v29, vcc_lo, 0, v23, vcc_lo
	v_add_co_u32 v14, s14, s23, v0
	s_delay_alu instid0(VALU_DEP_3) | instskip(NEXT) | instid1(VALU_DEP_3)
	v_add_co_u32 v24, vcc_lo, s12, v28
	v_add_co_ci_u32_e32 v25, vcc_lo, s13, v29, vcc_lo
	v_add_co_u32 v26, vcc_lo, s4, v28
	v_add_co_ci_u32_e32 v27, vcc_lo, s5, v29, vcc_lo
	v_add_co_ci_u32_e64 v15, null, 0, 0, s14
	v_add_co_u32 v22, s14, s22, v0
	v_add_co_u32 v28, vcc_lo, s2, v28
	v_add_co_u32 v30, s2, v0, s21
	v_add_co_ci_u32_e64 v23, null, 0, 0, s14
	v_add_co_ci_u32_e32 v29, vcc_lo, s3, v29, vcc_lo
	v_add_co_ci_u32_e64 v31, null, 0, 0, s2
	s_mov_b64 s[12:13], 0
	s_branch .LBB100_4
.LBB100_3:                              ;   in Loop: Header=BB100_4 Depth=1
	s_or_b32 exec_lo, exec_lo, s2
	s_add_u32 s12, s12, s20
	s_addc_u32 s13, s13, 0
	s_delay_alu instid0(SALU_CYCLE_1) | instskip(SKIP_1) | instid1(VALU_DEP_1)
	v_cmp_lt_i64_e64 s2, s[12:13], s[8:9]
	v_cmp_gt_u64_e64 s3, 0x10000, s[12:13]
	s_and_b32 s2, s2, s3
	s_delay_alu instid0(SALU_CYCLE_1)
	s_and_b32 vcc_lo, exec_lo, s2
	s_cbranch_vccz .LBB100_28
.LBB100_4:                              ; =>This Inner Loop Header: Depth=1
	s_waitcnt vmcnt(1)
	v_add_co_u32 v32, s2, v0, s12
	s_waitcnt vmcnt(0)
	v_add_co_ci_u32_e64 v33, null, 0, s13, s2
	s_delay_alu instid0(VALU_DEP_1)
	v_cmp_gt_u64_e32 vcc_lo, s[10:11], v[32:33]
	v_dual_mov_b32 v32, 0 :: v_dual_mov_b32 v33, 0
	s_and_saveexec_b32 s3, vcc_lo
	s_cbranch_execz .LBB100_6
; %bb.5:                                ;   in Loop: Header=BB100_4 Depth=1
	v_add_co_u32 v32, s2, v1, s12
	s_delay_alu instid0(VALU_DEP_1) | instskip(SKIP_1) | instid1(VALU_DEP_1)
	v_add_co_ci_u32_e64 v33, s2, s13, v3, s2
	v_add_co_u32 v34, s2, v4, s12
	v_add_co_ci_u32_e64 v35, s2, s13, v5, s2
	global_load_u8 v32, v[32:33], off
	global_load_u8 v33, v[34:35], off
.LBB100_6:                              ;   in Loop: Header=BB100_4 Depth=1
	s_or_b32 exec_lo, exec_lo, s3
	v_dual_mov_b32 v34, 0 :: v_dual_mov_b32 v35, 0
	s_and_saveexec_b32 s3, vcc_lo
	s_cbranch_execz .LBB100_8
; %bb.7:                                ;   in Loop: Header=BB100_4 Depth=1
	v_add_co_u32 v35, s2, v6, s12
	s_delay_alu instid0(VALU_DEP_1)
	v_add_co_ci_u32_e64 v36, s2, s13, v7, s2
	global_load_u8 v35, v[35:36], off
.LBB100_8:                              ;   in Loop: Header=BB100_4 Depth=1
	s_or_b32 exec_lo, exec_lo, s3
	v_add_co_u32 v36, s2, v30, s12
	s_delay_alu instid0(VALU_DEP_1) | instskip(NEXT) | instid1(VALU_DEP_1)
	v_add_co_ci_u32_e64 v37, s2, s13, v31, s2
	v_cmp_gt_u64_e64 s2, s[10:11], v[36:37]
	v_mov_b32_e32 v36, 0
	s_delay_alu instid0(VALU_DEP_2)
	s_and_saveexec_b32 s4, s2
	s_cbranch_execz .LBB100_10
; %bb.9:                                ;   in Loop: Header=BB100_4 Depth=1
	v_add_co_u32 v36, s3, v24, s12
	s_delay_alu instid0(VALU_DEP_1) | instskip(SKIP_1) | instid1(VALU_DEP_1)
	v_add_co_ci_u32_e64 v37, s3, s13, v25, s3
	v_add_co_u32 v38, s3, v26, s12
	v_add_co_ci_u32_e64 v39, s3, s13, v27, s3
	global_load_u8 v34, v[36:37], off
	global_load_u8 v36, v[38:39], off
.LBB100_10:                             ;   in Loop: Header=BB100_4 Depth=1
	s_or_b32 exec_lo, exec_lo, s4
	v_dual_mov_b32 v37, 0 :: v_dual_mov_b32 v38, 0
	s_and_saveexec_b32 s4, s2
	s_cbranch_execz .LBB100_12
; %bb.11:                               ;   in Loop: Header=BB100_4 Depth=1
	v_add_co_u32 v38, s3, v28, s12
	s_delay_alu instid0(VALU_DEP_1)
	v_add_co_ci_u32_e64 v39, s3, s13, v29, s3
	global_load_u8 v38, v[38:39], off
.LBB100_12:                             ;   in Loop: Header=BB100_4 Depth=1
	s_or_b32 exec_lo, exec_lo, s4
	v_add_co_u32 v39, s3, v22, s12
	s_delay_alu instid0(VALU_DEP_1) | instskip(NEXT) | instid1(VALU_DEP_1)
	v_add_co_ci_u32_e64 v40, s3, s13, v23, s3
	v_cmp_gt_u64_e64 s3, s[10:11], v[39:40]
	v_mov_b32_e32 v39, 0
	s_delay_alu instid0(VALU_DEP_2)
	s_and_saveexec_b32 s5, s3
	s_cbranch_execz .LBB100_14
; %bb.13:                               ;   in Loop: Header=BB100_4 Depth=1
	v_add_co_u32 v39, s4, v16, s12
	s_delay_alu instid0(VALU_DEP_1) | instskip(SKIP_1) | instid1(VALU_DEP_1)
	v_add_co_ci_u32_e64 v40, s4, s13, v17, s4
	v_add_co_u32 v41, s4, v18, s12
	v_add_co_ci_u32_e64 v42, s4, s13, v19, s4
	global_load_u8 v37, v[39:40], off
	global_load_u8 v39, v[41:42], off
.LBB100_14:                             ;   in Loop: Header=BB100_4 Depth=1
	s_or_b32 exec_lo, exec_lo, s5
	v_dual_mov_b32 v40, 0 :: v_dual_mov_b32 v41, 0
	s_and_saveexec_b32 s5, s3
	s_cbranch_execz .LBB100_16
; %bb.15:                               ;   in Loop: Header=BB100_4 Depth=1
	v_add_co_u32 v41, s4, v20, s12
	s_delay_alu instid0(VALU_DEP_1)
	v_add_co_ci_u32_e64 v42, s4, s13, v21, s4
	global_load_u8 v41, v[41:42], off
.LBB100_16:                             ;   in Loop: Header=BB100_4 Depth=1
	s_or_b32 exec_lo, exec_lo, s5
	v_add_co_u32 v42, s4, v14, s12
	s_delay_alu instid0(VALU_DEP_1) | instskip(NEXT) | instid1(VALU_DEP_1)
	v_add_co_ci_u32_e64 v43, s4, s13, v15, s4
	v_cmp_gt_u64_e64 s4, s[10:11], v[42:43]
	v_mov_b32_e32 v42, 0
	s_delay_alu instid0(VALU_DEP_2)
	s_and_saveexec_b32 s14, s4
	s_cbranch_execnz .LBB100_22
; %bb.17:                               ;   in Loop: Header=BB100_4 Depth=1
	s_or_b32 exec_lo, exec_lo, s14
	v_mov_b32_e32 v43, 0
	s_and_saveexec_b32 s14, s4
	s_cbranch_execnz .LBB100_23
.LBB100_18:                             ;   in Loop: Header=BB100_4 Depth=1
	s_or_b32 exec_lo, exec_lo, s14
	s_and_saveexec_b32 s5, vcc_lo
	s_cbranch_execnz .LBB100_24
.LBB100_19:                             ;   in Loop: Header=BB100_4 Depth=1
	s_or_b32 exec_lo, exec_lo, s5
	s_and_saveexec_b32 s5, s2
	s_cbranch_execnz .LBB100_25
.LBB100_20:                             ;   in Loop: Header=BB100_4 Depth=1
	s_or_b32 exec_lo, exec_lo, s5
	s_and_saveexec_b32 s2, s3
	s_cbranch_execnz .LBB100_26
.LBB100_21:                             ;   in Loop: Header=BB100_4 Depth=1
	s_or_b32 exec_lo, exec_lo, s2
	s_and_saveexec_b32 s2, s4
	s_cbranch_execz .LBB100_3
	s_branch .LBB100_27
.LBB100_22:                             ;   in Loop: Header=BB100_4 Depth=1
	v_add_co_u32 v42, s5, v8, s12
	s_delay_alu instid0(VALU_DEP_1) | instskip(SKIP_1) | instid1(VALU_DEP_1)
	v_add_co_ci_u32_e64 v43, s5, s13, v9, s5
	v_add_co_u32 v44, s5, v10, s12
	v_add_co_ci_u32_e64 v45, s5, s13, v11, s5
	global_load_u8 v40, v[42:43], off
	global_load_u8 v42, v[44:45], off
	s_or_b32 exec_lo, exec_lo, s14
	v_mov_b32_e32 v43, 0
	s_and_saveexec_b32 s14, s4
	s_cbranch_execz .LBB100_18
.LBB100_23:                             ;   in Loop: Header=BB100_4 Depth=1
	v_add_co_u32 v43, s5, v12, s12
	s_delay_alu instid0(VALU_DEP_1)
	v_add_co_ci_u32_e64 v44, s5, s13, v13, s5
	global_load_u8 v43, v[43:44], off
	s_or_b32 exec_lo, exec_lo, s14
	s_and_saveexec_b32 s5, vcc_lo
	s_cbranch_execz .LBB100_19
.LBB100_24:                             ;   in Loop: Header=BB100_4 Depth=1
	s_waitcnt vmcnt(0)
	v_mul_lo_u16 v33, v33, v2
	s_delay_alu instid0(VALU_DEP_1)
	v_mad_u16 v35, v33, v35, v32
	v_add_co_u32 v32, vcc_lo, v1, s12
	v_add_co_ci_u32_e32 v33, vcc_lo, s13, v3, vcc_lo
	global_store_b8 v[32:33], v35, off
	s_or_b32 exec_lo, exec_lo, s5
	s_and_saveexec_b32 s5, s2
	s_cbranch_execz .LBB100_20
.LBB100_25:                             ;   in Loop: Header=BB100_4 Depth=1
	s_waitcnt vmcnt(0)
	v_mul_lo_u16 v32, v36, v2
	s_delay_alu instid0(VALU_DEP_1)
	v_mad_u16 v34, v32, v38, v34
	v_add_co_u32 v32, vcc_lo, v24, s12
	v_add_co_ci_u32_e32 v33, vcc_lo, s13, v25, vcc_lo
	global_store_b8 v[32:33], v34, off
	s_or_b32 exec_lo, exec_lo, s5
	s_and_saveexec_b32 s2, s3
	s_cbranch_execz .LBB100_21
.LBB100_26:                             ;   in Loop: Header=BB100_4 Depth=1
	s_waitcnt vmcnt(0)
	v_mul_lo_u16 v32, v39, v2
	s_delay_alu instid0(VALU_DEP_1)
	v_mad_u16 v34, v32, v41, v37
	v_add_co_u32 v32, vcc_lo, v16, s12
	v_add_co_ci_u32_e32 v33, vcc_lo, s13, v17, vcc_lo
	global_store_b8 v[32:33], v34, off
	s_or_b32 exec_lo, exec_lo, s2
	s_and_saveexec_b32 s2, s4
	s_cbranch_execz .LBB100_3
.LBB100_27:                             ;   in Loop: Header=BB100_4 Depth=1
	s_waitcnt vmcnt(0)
	v_mul_lo_u16 v32, v42, v2
	s_delay_alu instid0(VALU_DEP_1)
	v_mad_u16 v34, v32, v43, v40
	v_add_co_u32 v32, vcc_lo, v8, s12
	v_add_co_ci_u32_e32 v33, vcc_lo, s13, v9, vcc_lo
	global_store_b8 v[32:33], v34, off
	s_branch .LBB100_3
.LBB100_28:
	s_mov_b32 s10, 0
.LBB100_29:
	s_delay_alu instid0(SALU_CYCLE_1)
	s_and_not1_b32 vcc_lo, exec_lo, s10
	s_cbranch_vccnz .LBB100_33
; %bb.30:
	v_dual_mov_b32 v1, 0 :: v_dual_lshlrev_b32 v0, 2, v0
	s_mov_b32 s2, exec_lo
	s_delay_alu instid0(VALU_DEP_1)
	v_cmpx_gt_i64_e64 s[8:9], v[0:1]
	s_cbranch_execz .LBB100_33
; %bb.31:
	s_load_b32 s0, s[0:1], 0xc84
	s_mov_b32 s2, 0
	s_waitcnt lgkmcnt(0)
	s_and_b32 s0, s0, 0xffff
	s_delay_alu instid0(SALU_CYCLE_1)
	s_lshl_b32 s1, s0, 2
.LBB100_32:                             ; =>This Inner Loop Header: Depth=1
	v_add_co_u32 v3, vcc_lo, s6, v0
	v_add_co_ci_u32_e32 v4, vcc_lo, s7, v1, vcc_lo
	v_add_co_u32 v5, vcc_lo, s16, v0
	v_add_co_ci_u32_e32 v6, vcc_lo, s17, v1, vcc_lo
	;; [unrolled: 2-line block ×3, first 2 shown]
	global_load_b32 v5, v[5:6], off
	global_load_b32 v6, v[3:4], off
	;; [unrolled: 1-line block ×3, first 2 shown]
	v_add_co_u32 v0, vcc_lo, s1, v0
	v_add_co_ci_u32_e32 v1, vcc_lo, 0, v1, vcc_lo
	s_delay_alu instid0(VALU_DEP_1) | instskip(SKIP_1) | instid1(VALU_DEP_1)
	v_cmp_le_i64_e32 vcc_lo, s[8:9], v[0:1]
	v_cmp_lt_u64_e64 s0, 0xffff, v[0:1]
	s_or_b32 s0, vcc_lo, s0
	s_delay_alu instid0(SALU_CYCLE_1) | instskip(NEXT) | instid1(SALU_CYCLE_1)
	s_and_b32 s0, exec_lo, s0
	s_or_b32 s2, s0, s2
	s_waitcnt vmcnt(2)
	v_lshrrev_b32_e32 v10, 8, v5
	v_lshrrev_b32_e32 v13, 16, v5
	v_mul_lo_u16 v8, v2, v5
	s_waitcnt vmcnt(1)
	v_lshrrev_b32_e32 v9, 8, v6
	s_waitcnt vmcnt(0)
	v_lshrrev_b32_e32 v11, 8, v7
	v_lshrrev_b32_e32 v12, 16, v6
	v_lshrrev_b32_e32 v14, 16, v7
	v_lshrrev_b32_e32 v5, 24, v5
	v_mul_lo_u16 v10, v2, v10
	v_mul_lo_u16 v13, v2, v13
	v_lshrrev_b32_e32 v15, 24, v6
	v_lshrrev_b32_e32 v16, 24, v7
	v_mul_lo_u16 v5, v2, v5
	v_mad_u16 v9, v10, v11, v9
	v_mad_u16 v10, v13, v14, v12
	;; [unrolled: 1-line block ×3, first 2 shown]
	s_delay_alu instid0(VALU_DEP_4) | instskip(NEXT) | instid1(VALU_DEP_4)
	v_mad_u16 v5, v5, v16, v15
	v_and_b32_e32 v7, 0xff, v9
	s_delay_alu instid0(VALU_DEP_4) | instskip(NEXT) | instid1(VALU_DEP_3)
	v_and_b32_e32 v8, 0xff, v10
	v_lshlrev_b32_e32 v5, 24, v5
	s_delay_alu instid0(VALU_DEP_3) | instskip(NEXT) | instid1(VALU_DEP_3)
	v_perm_b32 v6, v7, v6, 0x6050400
	v_lshlrev_b32_e32 v7, 16, v8
	s_delay_alu instid0(VALU_DEP_1)
	v_or3_b32 v5, v6, v7, v5
	global_store_b32 v[3:4], v5, off
	s_and_not1_b32 exec_lo, exec_lo, s2
	s_cbranch_execnz .LBB100_32
.LBB100_33:
	s_nop 0
	s_sendmsg sendmsg(MSG_DEALLOC_VGPRS)
	s_endpgm
	.section	.rodata,"a",@progbits
	.p2align	6, 0x0
	.amdhsa_kernel _ZN2at6native12_GLOBAL__N_125multi_tensor_apply_kernelINS1_28TensorListScalarListMetadataIaLi3EEENS1_28PointwiseOpScalarListFunctorIaLi3ELi3ELi0EEEJSt10multipliesIaEEEEvT_T0_DpT1_
		.amdhsa_group_segment_fixed_size 0
		.amdhsa_private_segment_fixed_size 0
		.amdhsa_kernarg_size 3448
		.amdhsa_user_sgpr_count 15
		.amdhsa_user_sgpr_dispatch_ptr 0
		.amdhsa_user_sgpr_queue_ptr 0
		.amdhsa_user_sgpr_kernarg_segment_ptr 1
		.amdhsa_user_sgpr_dispatch_id 0
		.amdhsa_user_sgpr_private_segment_size 0
		.amdhsa_wavefront_size32 1
		.amdhsa_uses_dynamic_stack 0
		.amdhsa_enable_private_segment 0
		.amdhsa_system_sgpr_workgroup_id_x 1
		.amdhsa_system_sgpr_workgroup_id_y 0
		.amdhsa_system_sgpr_workgroup_id_z 0
		.amdhsa_system_sgpr_workgroup_info 0
		.amdhsa_system_vgpr_workitem_id 0
		.amdhsa_next_free_vgpr 46
		.amdhsa_next_free_sgpr 26
		.amdhsa_reserve_vcc 1
		.amdhsa_float_round_mode_32 0
		.amdhsa_float_round_mode_16_64 0
		.amdhsa_float_denorm_mode_32 3
		.amdhsa_float_denorm_mode_16_64 3
		.amdhsa_dx10_clamp 1
		.amdhsa_ieee_mode 1
		.amdhsa_fp16_overflow 0
		.amdhsa_workgroup_processor_mode 1
		.amdhsa_memory_ordered 1
		.amdhsa_forward_progress 0
		.amdhsa_shared_vgpr_count 0
		.amdhsa_exception_fp_ieee_invalid_op 0
		.amdhsa_exception_fp_denorm_src 0
		.amdhsa_exception_fp_ieee_div_zero 0
		.amdhsa_exception_fp_ieee_overflow 0
		.amdhsa_exception_fp_ieee_underflow 0
		.amdhsa_exception_fp_ieee_inexact 0
		.amdhsa_exception_int_div_zero 0
	.end_amdhsa_kernel
	.section	.text._ZN2at6native12_GLOBAL__N_125multi_tensor_apply_kernelINS1_28TensorListScalarListMetadataIaLi3EEENS1_28PointwiseOpScalarListFunctorIaLi3ELi3ELi0EEEJSt10multipliesIaEEEEvT_T0_DpT1_,"axG",@progbits,_ZN2at6native12_GLOBAL__N_125multi_tensor_apply_kernelINS1_28TensorListScalarListMetadataIaLi3EEENS1_28PointwiseOpScalarListFunctorIaLi3ELi3ELi0EEEJSt10multipliesIaEEEEvT_T0_DpT1_,comdat
.Lfunc_end100:
	.size	_ZN2at6native12_GLOBAL__N_125multi_tensor_apply_kernelINS1_28TensorListScalarListMetadataIaLi3EEENS1_28PointwiseOpScalarListFunctorIaLi3ELi3ELi0EEEJSt10multipliesIaEEEEvT_T0_DpT1_, .Lfunc_end100-_ZN2at6native12_GLOBAL__N_125multi_tensor_apply_kernelINS1_28TensorListScalarListMetadataIaLi3EEENS1_28PointwiseOpScalarListFunctorIaLi3ELi3ELi0EEEJSt10multipliesIaEEEEvT_T0_DpT1_
                                        ; -- End function
	.section	.AMDGPU.csdata,"",@progbits
; Kernel info:
; codeLenInByte = 1936
; NumSgprs: 28
; NumVgprs: 46
; ScratchSize: 0
; MemoryBound: 0
; FloatMode: 240
; IeeeMode: 1
; LDSByteSize: 0 bytes/workgroup (compile time only)
; SGPRBlocks: 3
; VGPRBlocks: 5
; NumSGPRsForWavesPerEU: 28
; NumVGPRsForWavesPerEU: 46
; Occupancy: 16
; WaveLimiterHint : 0
; COMPUTE_PGM_RSRC2:SCRATCH_EN: 0
; COMPUTE_PGM_RSRC2:USER_SGPR: 15
; COMPUTE_PGM_RSRC2:TRAP_HANDLER: 0
; COMPUTE_PGM_RSRC2:TGID_X_EN: 1
; COMPUTE_PGM_RSRC2:TGID_Y_EN: 0
; COMPUTE_PGM_RSRC2:TGID_Z_EN: 0
; COMPUTE_PGM_RSRC2:TIDIG_COMP_CNT: 0
	.section	.text._ZN2at6native12_GLOBAL__N_125multi_tensor_apply_kernelINS1_28TensorListScalarListMetadataIiLi3EEENS1_28PointwiseOpScalarListFunctorIiLi3ELi3ELi0EEEJSt10multipliesIiEEEEvT_T0_DpT1_,"axG",@progbits,_ZN2at6native12_GLOBAL__N_125multi_tensor_apply_kernelINS1_28TensorListScalarListMetadataIiLi3EEENS1_28PointwiseOpScalarListFunctorIiLi3ELi3ELi0EEEJSt10multipliesIiEEEEvT_T0_DpT1_,comdat
	.globl	_ZN2at6native12_GLOBAL__N_125multi_tensor_apply_kernelINS1_28TensorListScalarListMetadataIiLi3EEENS1_28PointwiseOpScalarListFunctorIiLi3ELi3ELi0EEEJSt10multipliesIiEEEEvT_T0_DpT1_ ; -- Begin function _ZN2at6native12_GLOBAL__N_125multi_tensor_apply_kernelINS1_28TensorListScalarListMetadataIiLi3EEENS1_28PointwiseOpScalarListFunctorIiLi3ELi3ELi0EEEJSt10multipliesIiEEEEvT_T0_DpT1_
	.p2align	8
	.type	_ZN2at6native12_GLOBAL__N_125multi_tensor_apply_kernelINS1_28TensorListScalarListMetadataIiLi3EEENS1_28PointwiseOpScalarListFunctorIiLi3ELi3ELi0EEEJSt10multipliesIiEEEEvT_T0_DpT1_,@function
_ZN2at6native12_GLOBAL__N_125multi_tensor_apply_kernelINS1_28TensorListScalarListMetadataIiLi3EEENS1_28PointwiseOpScalarListFunctorIiLi3ELi3ELi0EEEJSt10multipliesIiEEEEvT_T0_DpT1_: ; @_ZN2at6native12_GLOBAL__N_125multi_tensor_apply_kernelINS1_28TensorListScalarListMetadataIiLi3EEENS1_28PointwiseOpScalarListFunctorIiLi3ELi3ELi0EEEJSt10multipliesIiEEEEvT_T0_DpT1_
; %bb.0:
	v_mov_b32_e32 v1, s15
	s_add_u32 s2, s0, s15
	s_mul_i32 s3, s15, 3
	s_mul_hi_u32 s4, s15, 3
	s_addc_u32 s5, s1, 0
	global_load_u8 v1, v1, s[0:1] offset:1728
	s_add_u32 s2, s2, s3
	s_addc_u32 s3, s5, s4
	s_load_b32 s6, s[2:3], 0x800
	s_waitcnt lgkmcnt(0)
	s_ashr_i32 s7, s6, 31
	s_waitcnt vmcnt(0)
	v_readfirstlane_b32 s2, v1
	v_lshlrev_b32_e32 v1, 2, v1
	s_delay_alu instid0(VALU_DEP_2)
	s_lshl_b32 s8, s2, 3
	s_clause 0x2
	s_load_b64 s[2:3], s[0:1], s8 offset:0x0
	s_load_b64 s[4:5], s[0:1], s8 offset:0x180
	;; [unrolled: 1-line block ×3, first 2 shown]
	s_add_u32 s9, s0, s8
	s_addc_u32 s10, s1, 0
	v_sub_co_u32 v1, s9, s9, v1
	s_delay_alu instid0(VALU_DEP_1) | instskip(SKIP_1) | instid1(VALU_DEP_2)
	v_sub_co_ci_u32_e64 v2, null, s10, 0, s9
	s_load_b64 s[10:11], s[0:1], s8 offset:0x480
	v_readfirstlane_b32 s20, v1
	s_delay_alu instid0(VALU_DEP_2)
	v_readfirstlane_b32 s21, v2
	s_load_b32 s20, s[20:21], 0x600
	s_lshl_b64 s[8:9], s[6:7], 18
	s_waitcnt lgkmcnt(0)
	s_add_u32 s14, s2, s8
	s_addc_u32 s15, s3, s9
	s_and_b32 s22, s14, 15
	s_add_u32 s16, s4, s8
	s_addc_u32 s17, s5, s9
	s_add_u32 s18, s12, s8
	s_addc_u32 s19, s13, s9
	s_or_b32 s23, s18, s16
	s_delay_alu instid0(SALU_CYCLE_1) | instskip(NEXT) | instid1(SALU_CYCLE_1)
	s_and_b32 s23, s23, 15
	s_cmp_eq_u32 s23, 0
	s_cselect_b32 s21, -1, 0
	s_lshl_b64 s[6:7], s[6:7], 16
	s_delay_alu instid0(SALU_CYCLE_1) | instskip(SKIP_4) | instid1(SALU_CYCLE_1)
	s_sub_u32 s6, s10, s6
	s_subb_u32 s7, s11, s7
	s_and_b32 s10, s10, 3
	s_mov_b32 s11, 0
	s_or_b32 s10, s22, s10
	s_cmp_eq_u64 s[10:11], 0
	s_cselect_b32 s10, -1, 0
	s_delay_alu instid0(SALU_CYCLE_1) | instskip(NEXT) | instid1(SALU_CYCLE_1)
	s_and_b32 s10, s21, s10
	s_and_b32 vcc_lo, exec_lo, s10
	s_mov_b32 s10, -1
	s_cbranch_vccnz .LBB101_29
; %bb.1:
	v_cmp_lt_i64_e64 s10, s[6:7], 1
	s_delay_alu instid0(VALU_DEP_1)
	s_and_b32 vcc_lo, exec_lo, s10
	s_cbranch_vccnz .LBB101_28
; %bb.2:
	s_load_b32 s10, s[0:1], 0xd14
	v_dual_mov_b32 v2, 0 :: v_dual_lshlrev_b32 v1, 2, v0
	v_cmp_gt_u64_e64 s11, 0x10000, s[6:7]
	s_delay_alu instid0(VALU_DEP_2) | instskip(NEXT) | instid1(VALU_DEP_1)
	v_add_co_u32 v5, s21, s2, v1
	v_add_co_ci_u32_e64 v6, null, s3, 0, s21
	v_add_co_u32 v7, s21, s4, v1
	s_delay_alu instid0(VALU_DEP_1)
	v_add_co_ci_u32_e64 v8, null, s5, 0, s21
	s_waitcnt lgkmcnt(0)
	s_and_b32 s22, s10, 0xffff
	v_add_co_u32 v9, s10, s12, v1
	v_mad_u64_u32 v[3:4], null, s22, 12, v[1:2]
	v_add_co_ci_u32_e64 v10, null, s13, 0, s10
	s_and_b32 s10, s11, exec_lo
	s_cselect_b32 s11, s7, 0
	s_cselect_b32 s10, s6, 0x10000
	s_lshl_b32 s24, s22, 3
	s_delay_alu instid0(VALU_DEP_2) | instskip(NEXT) | instid1(VALU_DEP_3)
	v_add_co_u32 v11, vcc_lo, s2, v3
	v_add_co_ci_u32_e32 v12, vcc_lo, s3, v4, vcc_lo
	v_add_co_u32 v13, vcc_lo, s4, v3
	v_add_co_u32 v1, s24, s24, v1
	v_add_co_ci_u32_e32 v14, vcc_lo, s5, v4, vcc_lo
	s_mul_i32 s23, s22, 3
	v_add_co_u32 v15, vcc_lo, s12, v3
	v_add_co_ci_u32_e64 v2, null, 0, 0, s24
	v_add_co_ci_u32_e32 v16, vcc_lo, s13, v4, vcc_lo
	v_add_co_u32 v17, s23, s23, v0
	v_add_co_u32 v19, vcc_lo, s2, v1
	v_add_co_ci_u32_e64 v18, null, 0, 0, s23
	v_add_co_u32 v23, s23, v0, s22
	v_add_co_ci_u32_e32 v20, vcc_lo, s3, v2, vcc_lo
	v_add_co_u32 v21, vcc_lo, s4, v1
	v_add_co_ci_u32_e32 v22, vcc_lo, s5, v2, vcc_lo
	v_add_co_u32 v24, vcc_lo, s12, v1
	v_lshlrev_b32_e32 v1, 2, v23
	s_lshl_b32 s21, s22, 1
	v_add_co_ci_u32_e32 v25, vcc_lo, s13, v2, vcc_lo
	v_add_co_u32 v27, s21, s21, v0
	s_delay_alu instid0(VALU_DEP_3) | instskip(NEXT) | instid1(VALU_DEP_1)
	v_add_co_u32 v29, s2, s2, v1
	v_add_co_ci_u32_e64 v30, null, s3, 0, s2
	v_add_co_u32 v31, s2, s4, v1
	s_delay_alu instid0(VALU_DEP_1)
	v_add_co_ci_u32_e64 v32, null, s5, 0, s2
	v_add_co_u32 v33, s2, s12, v1
	v_add_co_ci_u32_e64 v26, null, 0, 0, s23
	v_add_co_ci_u32_e64 v28, null, 0, 0, s21
	;; [unrolled: 1-line block ×3, first 2 shown]
	s_lshl_b32 s21, s22, 2
	s_lshl_b32 s22, s22, 4
	s_mov_b64 s[12:13], 0
	s_branch .LBB101_4
.LBB101_3:                              ;   in Loop: Header=BB101_4 Depth=1
	s_or_b32 exec_lo, exec_lo, s2
	v_add_co_u32 v5, vcc_lo, v5, s22
	v_add_co_ci_u32_e32 v6, vcc_lo, 0, v6, vcc_lo
	v_add_co_u32 v7, vcc_lo, v7, s22
	v_add_co_ci_u32_e32 v8, vcc_lo, 0, v8, vcc_lo
	;; [unrolled: 2-line block ×9, first 2 shown]
	s_add_u32 s12, s12, s21
	v_add_co_u32 v29, vcc_lo, v29, s22
	s_addc_u32 s13, s13, 0
	v_add_co_ci_u32_e32 v30, vcc_lo, 0, v30, vcc_lo
	v_cmp_lt_i64_e64 s2, s[12:13], s[6:7]
	v_cmp_gt_u64_e64 s3, 0x10000, s[12:13]
	v_add_co_u32 v31, vcc_lo, v31, s22
	v_add_co_ci_u32_e32 v32, vcc_lo, 0, v32, vcc_lo
	v_add_co_u32 v33, vcc_lo, v33, s22
	v_add_co_ci_u32_e32 v34, vcc_lo, 0, v34, vcc_lo
	s_and_b32 s2, s2, s3
	s_delay_alu instid0(SALU_CYCLE_1)
	s_and_b32 vcc_lo, exec_lo, s2
	s_cbranch_vccz .LBB101_28
.LBB101_4:                              ; =>This Inner Loop Header: Depth=1
	s_waitcnt vmcnt(1)
	v_add_co_u32 v1, s2, v0, s12
	s_delay_alu instid0(VALU_DEP_1) | instskip(SKIP_2) | instid1(VALU_DEP_2)
	v_add_co_ci_u32_e64 v2, null, 0, s13, s2
	s_waitcnt vmcnt(0)
	v_mov_b32_e32 v35, 0
	v_cmp_gt_u64_e32 vcc_lo, s[10:11], v[1:2]
	v_mov_b32_e32 v1, 0
	s_and_saveexec_b32 s3, vcc_lo
	s_cbranch_execz .LBB101_6
; %bb.5:                                ;   in Loop: Header=BB101_4 Depth=1
	v_add_co_u32 v1, s2, v5, s8
	s_delay_alu instid0(VALU_DEP_1) | instskip(SKIP_1) | instid1(VALU_DEP_1)
	v_add_co_ci_u32_e64 v2, s2, s9, v6, s2
	v_add_co_u32 v3, s2, v7, s8
	v_add_co_ci_u32_e64 v4, s2, s9, v8, s2
	global_load_b32 v1, v[1:2], off
	global_load_b32 v35, v[3:4], off
.LBB101_6:                              ;   in Loop: Header=BB101_4 Depth=1
	s_or_b32 exec_lo, exec_lo, s3
	v_mov_b32_e32 v2, 0
	v_mov_b32_e32 v36, 0
	s_and_saveexec_b32 s3, vcc_lo
	s_cbranch_execz .LBB101_8
; %bb.7:                                ;   in Loop: Header=BB101_4 Depth=1
	v_add_co_u32 v3, s2, v9, s8
	s_delay_alu instid0(VALU_DEP_1)
	v_add_co_ci_u32_e64 v4, s2, s9, v10, s2
	global_load_b32 v36, v[3:4], off
.LBB101_8:                              ;   in Loop: Header=BB101_4 Depth=1
	s_or_b32 exec_lo, exec_lo, s3
	v_add_co_u32 v3, s2, v23, s12
	s_delay_alu instid0(VALU_DEP_1) | instskip(SKIP_1) | instid1(VALU_DEP_2)
	v_add_co_ci_u32_e64 v4, s2, s13, v26, s2
	v_mov_b32_e32 v37, 0
	v_cmp_gt_u64_e64 s2, s[10:11], v[3:4]
	s_delay_alu instid0(VALU_DEP_1)
	s_and_saveexec_b32 s4, s2
	s_cbranch_execz .LBB101_10
; %bb.9:                                ;   in Loop: Header=BB101_4 Depth=1
	v_add_co_u32 v2, s3, v29, s8
	s_delay_alu instid0(VALU_DEP_1) | instskip(SKIP_1) | instid1(VALU_DEP_1)
	v_add_co_ci_u32_e64 v3, s3, s9, v30, s3
	v_add_co_u32 v37, s3, v31, s8
	v_add_co_ci_u32_e64 v38, s3, s9, v32, s3
	global_load_b32 v2, v[2:3], off
	global_load_b32 v37, v[37:38], off
.LBB101_10:                             ;   in Loop: Header=BB101_4 Depth=1
	s_or_b32 exec_lo, exec_lo, s4
	v_dual_mov_b32 v3, 0 :: v_dual_mov_b32 v38, 0
	s_and_saveexec_b32 s4, s2
	s_cbranch_execz .LBB101_12
; %bb.11:                               ;   in Loop: Header=BB101_4 Depth=1
	v_add_co_u32 v38, s3, v33, s8
	s_delay_alu instid0(VALU_DEP_1)
	v_add_co_ci_u32_e64 v39, s3, s9, v34, s3
	global_load_b32 v38, v[38:39], off
.LBB101_12:                             ;   in Loop: Header=BB101_4 Depth=1
	s_or_b32 exec_lo, exec_lo, s4
	v_add_co_u32 v39, s3, v27, s12
	s_delay_alu instid0(VALU_DEP_1) | instskip(NEXT) | instid1(VALU_DEP_1)
	v_add_co_ci_u32_e64 v40, s3, s13, v28, s3
	v_cmp_gt_u64_e64 s3, s[10:11], v[39:40]
	v_mov_b32_e32 v39, 0
	s_delay_alu instid0(VALU_DEP_2)
	s_and_saveexec_b32 s5, s3
	s_cbranch_execz .LBB101_14
; %bb.13:                               ;   in Loop: Header=BB101_4 Depth=1
	v_add_co_u32 v3, s4, v19, s8
	s_delay_alu instid0(VALU_DEP_1) | instskip(SKIP_1) | instid1(VALU_DEP_1)
	v_add_co_ci_u32_e64 v4, s4, s9, v20, s4
	v_add_co_u32 v39, s4, v21, s8
	v_add_co_ci_u32_e64 v40, s4, s9, v22, s4
	global_load_b32 v3, v[3:4], off
	global_load_b32 v39, v[39:40], off
.LBB101_14:                             ;   in Loop: Header=BB101_4 Depth=1
	s_or_b32 exec_lo, exec_lo, s5
	v_mov_b32_e32 v4, 0
	v_mov_b32_e32 v40, 0
	s_and_saveexec_b32 s5, s3
	s_cbranch_execz .LBB101_16
; %bb.15:                               ;   in Loop: Header=BB101_4 Depth=1
	v_add_co_u32 v40, s4, v24, s8
	s_delay_alu instid0(VALU_DEP_1)
	v_add_co_ci_u32_e64 v41, s4, s9, v25, s4
	global_load_b32 v40, v[40:41], off
.LBB101_16:                             ;   in Loop: Header=BB101_4 Depth=1
	s_or_b32 exec_lo, exec_lo, s5
	v_add_co_u32 v41, s4, v17, s12
	s_delay_alu instid0(VALU_DEP_1) | instskip(NEXT) | instid1(VALU_DEP_1)
	v_add_co_ci_u32_e64 v42, s4, s13, v18, s4
	v_cmp_gt_u64_e64 s4, s[10:11], v[41:42]
	v_mov_b32_e32 v41, 0
	s_delay_alu instid0(VALU_DEP_2)
	s_and_saveexec_b32 s23, s4
	s_cbranch_execnz .LBB101_22
; %bb.17:                               ;   in Loop: Header=BB101_4 Depth=1
	s_or_b32 exec_lo, exec_lo, s23
	v_mov_b32_e32 v42, 0
	s_and_saveexec_b32 s23, s4
	s_cbranch_execnz .LBB101_23
.LBB101_18:                             ;   in Loop: Header=BB101_4 Depth=1
	s_or_b32 exec_lo, exec_lo, s23
	s_and_saveexec_b32 s5, vcc_lo
	s_cbranch_execnz .LBB101_24
.LBB101_19:                             ;   in Loop: Header=BB101_4 Depth=1
	s_or_b32 exec_lo, exec_lo, s5
	s_and_saveexec_b32 s5, s2
	s_cbranch_execnz .LBB101_25
.LBB101_20:                             ;   in Loop: Header=BB101_4 Depth=1
	s_or_b32 exec_lo, exec_lo, s5
	s_and_saveexec_b32 s2, s3
	s_cbranch_execnz .LBB101_26
.LBB101_21:                             ;   in Loop: Header=BB101_4 Depth=1
	s_or_b32 exec_lo, exec_lo, s2
	s_and_saveexec_b32 s2, s4
	s_cbranch_execz .LBB101_3
	s_branch .LBB101_27
.LBB101_22:                             ;   in Loop: Header=BB101_4 Depth=1
	v_add_co_u32 v41, s5, v11, s8
	s_delay_alu instid0(VALU_DEP_1) | instskip(SKIP_1) | instid1(VALU_DEP_1)
	v_add_co_ci_u32_e64 v42, s5, s9, v12, s5
	v_add_co_u32 v43, s5, v13, s8
	v_add_co_ci_u32_e64 v44, s5, s9, v14, s5
	global_load_b32 v4, v[41:42], off
	global_load_b32 v41, v[43:44], off
	s_or_b32 exec_lo, exec_lo, s23
	v_mov_b32_e32 v42, 0
	s_and_saveexec_b32 s23, s4
	s_cbranch_execz .LBB101_18
.LBB101_23:                             ;   in Loop: Header=BB101_4 Depth=1
	v_add_co_u32 v42, s5, v15, s8
	s_delay_alu instid0(VALU_DEP_1)
	v_add_co_ci_u32_e64 v43, s5, s9, v16, s5
	global_load_b32 v42, v[42:43], off
	s_or_b32 exec_lo, exec_lo, s23
	s_and_saveexec_b32 s5, vcc_lo
	s_cbranch_execz .LBB101_19
.LBB101_24:                             ;   in Loop: Header=BB101_4 Depth=1
	s_waitcnt vmcnt(0)
	v_mul_lo_u32 v35, v35, s20
	s_delay_alu instid0(VALU_DEP_1)
	v_mad_u64_u32 v[43:44], null, v35, v36, v[1:2]
	v_add_co_u32 v35, vcc_lo, v5, s8
	v_add_co_ci_u32_e32 v36, vcc_lo, s9, v6, vcc_lo
	global_store_b32 v[35:36], v43, off
	s_or_b32 exec_lo, exec_lo, s5
	s_and_saveexec_b32 s5, s2
	s_cbranch_execz .LBB101_20
.LBB101_25:                             ;   in Loop: Header=BB101_4 Depth=1
	s_waitcnt vmcnt(0)
	v_mul_lo_u32 v1, v37, s20
	s_delay_alu instid0(VALU_DEP_1)
	v_mad_u64_u32 v[35:36], null, v1, v38, v[2:3]
	v_add_co_u32 v1, vcc_lo, v29, s8
	v_add_co_ci_u32_e32 v2, vcc_lo, s9, v30, vcc_lo
	global_store_b32 v[1:2], v35, off
	s_or_b32 exec_lo, exec_lo, s5
	s_and_saveexec_b32 s2, s3
	s_cbranch_execz .LBB101_21
.LBB101_26:                             ;   in Loop: Header=BB101_4 Depth=1
	s_waitcnt vmcnt(0)
	v_mul_lo_u32 v35, v39, s20
	s_delay_alu instid0(VALU_DEP_1)
	v_mad_u64_u32 v[1:2], null, v35, v40, v[3:4]
	v_add_co_u32 v2, vcc_lo, v19, s8
	v_add_co_ci_u32_e32 v3, vcc_lo, s9, v20, vcc_lo
	global_store_b32 v[2:3], v1, off
	s_or_b32 exec_lo, exec_lo, s2
	s_and_saveexec_b32 s2, s4
	s_cbranch_execz .LBB101_3
.LBB101_27:                             ;   in Loop: Header=BB101_4 Depth=1
	s_waitcnt vmcnt(0)
	v_mul_lo_u32 v3, v41, s20
	s_delay_alu instid0(VALU_DEP_1)
	v_mad_u64_u32 v[1:2], null, v3, v42, v[4:5]
	v_add_co_u32 v2, vcc_lo, v11, s8
	v_add_co_ci_u32_e32 v3, vcc_lo, s9, v12, vcc_lo
	global_store_b32 v[2:3], v1, off
	s_branch .LBB101_3
.LBB101_28:
	s_mov_b32 s10, 0
.LBB101_29:
	s_delay_alu instid0(SALU_CYCLE_1)
	s_and_not1_b32 vcc_lo, exec_lo, s10
	s_cbranch_vccnz .LBB101_33
; %bb.30:
	s_waitcnt vmcnt(1)
	v_dual_mov_b32 v2, 0 :: v_dual_lshlrev_b32 v1, 2, v0
	s_mov_b32 s2, 0
	s_mov_b32 s3, exec_lo
	s_delay_alu instid0(VALU_DEP_1)
	v_cmpx_gt_i64_e64 s[6:7], v[1:2]
	s_cbranch_execz .LBB101_33
; %bb.31:
	s_load_b32 s0, s[0:1], 0xd14
	s_waitcnt lgkmcnt(0)
	s_and_b32 s0, s0, 0xffff
	s_delay_alu instid0(SALU_CYCLE_1)
	v_add_lshl_u32 v1, v0, s0, 2
	v_lshlrev_b32_e32 v0, 4, v0
	s_lshl_b32 s3, s0, 2
	s_lshl_b32 s4, s0, 4
.LBB101_32:                             ; =>This Inner Loop Header: Depth=1
	s_delay_alu instid0(VALU_DEP_1) | instskip(NEXT) | instid1(VALU_DEP_1)
	v_add_co_u32 v3, s0, s16, v0
	v_add_co_ci_u32_e64 v4, null, s17, 0, s0
	v_add_co_u32 v15, s0, s14, v0
	s_delay_alu instid0(VALU_DEP_1)
	v_add_co_ci_u32_e64 v16, null, s15, 0, s0
	v_add_co_u32 v11, s0, s18, v0
	global_load_b128 v[3:6], v[3:4], off
	v_add_co_ci_u32_e64 v12, null, s19, 0, s0
	global_load_b128 v[7:10], v[15:16], off
	global_load_b128 v[11:14], v[11:12], off
	v_cmp_le_i64_e32 vcc_lo, s[6:7], v[1:2]
	v_cmp_lt_u64_e64 s0, 0xffff, v[1:2]
	v_add_co_u32 v1, s1, v1, s3
	s_delay_alu instid0(VALU_DEP_1) | instskip(NEXT) | instid1(VALU_DEP_3)
	v_add_co_ci_u32_e64 v2, s1, 0, v2, s1
	s_or_b32 s0, vcc_lo, s0
	s_add_u32 s14, s14, s4
	s_addc_u32 s15, s15, 0
	s_add_u32 s18, s18, s4
	s_addc_u32 s19, s19, 0
	;; [unrolled: 2-line block ×3, first 2 shown]
	s_and_b32 s0, exec_lo, s0
	s_delay_alu instid0(SALU_CYCLE_1)
	s_or_b32 s2, s0, s2
	s_waitcnt vmcnt(2)
	v_mul_lo_u32 v6, v6, s20
	v_mul_lo_u32 v19, v3, s20
	;; [unrolled: 1-line block ×4, first 2 shown]
	s_waitcnt vmcnt(1)
	v_mov_b32_e32 v3, v10
	s_waitcnt vmcnt(0)
	s_delay_alu instid0(VALU_DEP_1) | instskip(SKIP_3) | instid1(VALU_DEP_4)
	v_mad_u64_u32 v[17:18], null, v6, v14, v[3:4]
	v_mad_u64_u32 v[3:4], null, v19, v11, v[7:8]
	;; [unrolled: 1-line block ×4, first 2 shown]
	v_mov_b32_e32 v6, v17
	global_store_b128 v[15:16], v[3:6], off
	s_and_not1_b32 exec_lo, exec_lo, s2
	s_cbranch_execnz .LBB101_32
.LBB101_33:
	s_nop 0
	s_sendmsg sendmsg(MSG_DEALLOC_VGPRS)
	s_endpgm
	.section	.rodata,"a",@progbits
	.p2align	6, 0x0
	.amdhsa_kernel _ZN2at6native12_GLOBAL__N_125multi_tensor_apply_kernelINS1_28TensorListScalarListMetadataIiLi3EEENS1_28PointwiseOpScalarListFunctorIiLi3ELi3ELi0EEEJSt10multipliesIiEEEEvT_T0_DpT1_
		.amdhsa_group_segment_fixed_size 0
		.amdhsa_private_segment_fixed_size 0
		.amdhsa_kernarg_size 3592
		.amdhsa_user_sgpr_count 15
		.amdhsa_user_sgpr_dispatch_ptr 0
		.amdhsa_user_sgpr_queue_ptr 0
		.amdhsa_user_sgpr_kernarg_segment_ptr 1
		.amdhsa_user_sgpr_dispatch_id 0
		.amdhsa_user_sgpr_private_segment_size 0
		.amdhsa_wavefront_size32 1
		.amdhsa_uses_dynamic_stack 0
		.amdhsa_enable_private_segment 0
		.amdhsa_system_sgpr_workgroup_id_x 1
		.amdhsa_system_sgpr_workgroup_id_y 0
		.amdhsa_system_sgpr_workgroup_id_z 0
		.amdhsa_system_sgpr_workgroup_info 0
		.amdhsa_system_vgpr_workitem_id 0
		.amdhsa_next_free_vgpr 45
		.amdhsa_next_free_sgpr 25
		.amdhsa_reserve_vcc 1
		.amdhsa_float_round_mode_32 0
		.amdhsa_float_round_mode_16_64 0
		.amdhsa_float_denorm_mode_32 3
		.amdhsa_float_denorm_mode_16_64 3
		.amdhsa_dx10_clamp 1
		.amdhsa_ieee_mode 1
		.amdhsa_fp16_overflow 0
		.amdhsa_workgroup_processor_mode 1
		.amdhsa_memory_ordered 1
		.amdhsa_forward_progress 0
		.amdhsa_shared_vgpr_count 0
		.amdhsa_exception_fp_ieee_invalid_op 0
		.amdhsa_exception_fp_denorm_src 0
		.amdhsa_exception_fp_ieee_div_zero 0
		.amdhsa_exception_fp_ieee_overflow 0
		.amdhsa_exception_fp_ieee_underflow 0
		.amdhsa_exception_fp_ieee_inexact 0
		.amdhsa_exception_int_div_zero 0
	.end_amdhsa_kernel
	.section	.text._ZN2at6native12_GLOBAL__N_125multi_tensor_apply_kernelINS1_28TensorListScalarListMetadataIiLi3EEENS1_28PointwiseOpScalarListFunctorIiLi3ELi3ELi0EEEJSt10multipliesIiEEEEvT_T0_DpT1_,"axG",@progbits,_ZN2at6native12_GLOBAL__N_125multi_tensor_apply_kernelINS1_28TensorListScalarListMetadataIiLi3EEENS1_28PointwiseOpScalarListFunctorIiLi3ELi3ELi0EEEJSt10multipliesIiEEEEvT_T0_DpT1_,comdat
.Lfunc_end101:
	.size	_ZN2at6native12_GLOBAL__N_125multi_tensor_apply_kernelINS1_28TensorListScalarListMetadataIiLi3EEENS1_28PointwiseOpScalarListFunctorIiLi3ELi3ELi0EEEJSt10multipliesIiEEEEvT_T0_DpT1_, .Lfunc_end101-_ZN2at6native12_GLOBAL__N_125multi_tensor_apply_kernelINS1_28TensorListScalarListMetadataIiLi3EEENS1_28PointwiseOpScalarListFunctorIiLi3ELi3ELi0EEEJSt10multipliesIiEEEEvT_T0_DpT1_
                                        ; -- End function
	.section	.AMDGPU.csdata,"",@progbits
; Kernel info:
; codeLenInByte = 2080
; NumSgprs: 27
; NumVgprs: 45
; ScratchSize: 0
; MemoryBound: 0
; FloatMode: 240
; IeeeMode: 1
; LDSByteSize: 0 bytes/workgroup (compile time only)
; SGPRBlocks: 3
; VGPRBlocks: 5
; NumSGPRsForWavesPerEU: 27
; NumVGPRsForWavesPerEU: 45
; Occupancy: 16
; WaveLimiterHint : 0
; COMPUTE_PGM_RSRC2:SCRATCH_EN: 0
; COMPUTE_PGM_RSRC2:USER_SGPR: 15
; COMPUTE_PGM_RSRC2:TRAP_HANDLER: 0
; COMPUTE_PGM_RSRC2:TGID_X_EN: 1
; COMPUTE_PGM_RSRC2:TGID_Y_EN: 0
; COMPUTE_PGM_RSRC2:TGID_Z_EN: 0
; COMPUTE_PGM_RSRC2:TIDIG_COMP_CNT: 0
	.section	.text._ZN2at6native12_GLOBAL__N_125multi_tensor_apply_kernelINS1_28TensorListScalarListMetadataIlLi3EEENS1_28PointwiseOpScalarListFunctorIlLi3ELi3ELi0EEEJSt10multipliesIlEEEEvT_T0_DpT1_,"axG",@progbits,_ZN2at6native12_GLOBAL__N_125multi_tensor_apply_kernelINS1_28TensorListScalarListMetadataIlLi3EEENS1_28PointwiseOpScalarListFunctorIlLi3ELi3ELi0EEEJSt10multipliesIlEEEEvT_T0_DpT1_,comdat
	.globl	_ZN2at6native12_GLOBAL__N_125multi_tensor_apply_kernelINS1_28TensorListScalarListMetadataIlLi3EEENS1_28PointwiseOpScalarListFunctorIlLi3ELi3ELi0EEEJSt10multipliesIlEEEEvT_T0_DpT1_ ; -- Begin function _ZN2at6native12_GLOBAL__N_125multi_tensor_apply_kernelINS1_28TensorListScalarListMetadataIlLi3EEENS1_28PointwiseOpScalarListFunctorIlLi3ELi3ELi0EEEJSt10multipliesIlEEEEvT_T0_DpT1_
	.p2align	8
	.type	_ZN2at6native12_GLOBAL__N_125multi_tensor_apply_kernelINS1_28TensorListScalarListMetadataIlLi3EEENS1_28PointwiseOpScalarListFunctorIlLi3ELi3ELi0EEEJSt10multipliesIlEEEEvT_T0_DpT1_,@function
_ZN2at6native12_GLOBAL__N_125multi_tensor_apply_kernelINS1_28TensorListScalarListMetadataIlLi3EEENS1_28PointwiseOpScalarListFunctorIlLi3ELi3ELi0EEEJSt10multipliesIlEEEEvT_T0_DpT1_: ; @_ZN2at6native12_GLOBAL__N_125multi_tensor_apply_kernelINS1_28TensorListScalarListMetadataIlLi3EEENS1_28PointwiseOpScalarListFunctorIlLi3ELi3ELi0EEEJSt10multipliesIlEEEEvT_T0_DpT1_
; %bb.0:
	v_mov_b32_e32 v1, s15
	s_add_u32 s2, s0, s15
	s_mul_hi_u32 s3, s15, 3
	s_mul_i32 s15, s15, 3
	s_addc_u32 s4, s1, 0
	global_load_u8 v1, v1, s[0:1] offset:1920
	s_add_u32 s2, s2, s15
	s_addc_u32 s3, s4, s3
	s_load_b32 s8, s[2:3], 0x8c0
	s_waitcnt lgkmcnt(0)
	s_ashr_i32 s9, s8, 31
	s_delay_alu instid0(SALU_CYCLE_1) | instskip(SKIP_2) | instid1(VALU_DEP_1)
	s_lshl_b64 s[10:11], s[8:9], 19
	s_waitcnt vmcnt(0)
	v_readfirstlane_b32 s5, v1
	s_lshl_b32 s6, s5, 3
	s_clause 0x4
	s_load_b64 s[2:3], s[0:1], s6 offset:0x0
	s_load_b64 s[4:5], s[0:1], s6 offset:0x180
	;; [unrolled: 1-line block ×5, first 2 shown]
	s_waitcnt lgkmcnt(0)
	s_add_u32 s16, s2, s10
	s_addc_u32 s17, s3, s11
	s_and_b32 s22, s16, 31
	s_add_u32 s18, s4, s10
	s_addc_u32 s19, s5, s11
	s_add_u32 s20, s14, s10
	s_addc_u32 s21, s15, s11
	s_or_b32 s23, s20, s18
	s_delay_alu instid0(SALU_CYCLE_1) | instskip(NEXT) | instid1(SALU_CYCLE_1)
	s_and_b32 s23, s23, 31
	s_cmp_eq_u32 s23, 0
	s_mov_b32 s23, 0
	s_cselect_b32 s24, -1, 0
	s_lshl_b64 s[8:9], s[8:9], 16
	s_delay_alu instid0(SALU_CYCLE_1) | instskip(SKIP_3) | instid1(SALU_CYCLE_1)
	s_sub_u32 s8, s12, s8
	s_subb_u32 s9, s13, s9
	s_and_b32 s12, s12, 3
	s_mov_b32 s13, s23
	s_or_b64 s[12:13], s[22:23], s[12:13]
	s_delay_alu instid0(SALU_CYCLE_1) | instskip(SKIP_1) | instid1(SALU_CYCLE_1)
	s_cmp_eq_u64 s[12:13], 0
	s_cselect_b32 s12, -1, 0
	s_and_b32 s12, s24, s12
	s_delay_alu instid0(SALU_CYCLE_1)
	s_and_b32 vcc_lo, exec_lo, s12
	s_mov_b32 s12, -1
	s_cbranch_vccnz .LBB102_29
; %bb.1:
	v_cmp_lt_i64_e64 s12, s[8:9], 1
	s_delay_alu instid0(VALU_DEP_1)
	s_and_b32 vcc_lo, exec_lo, s12
	s_cbranch_vccnz .LBB102_28
; %bb.2:
	s_load_b32 s12, s[0:1], 0xdd4
	v_dual_mov_b32 v2, 0 :: v_dual_lshlrev_b32 v1, 3, v0
	v_cmp_gt_u64_e64 s13, 0x10000, s[8:9]
	s_delay_alu instid0(VALU_DEP_2) | instskip(NEXT) | instid1(VALU_DEP_1)
	v_add_co_u32 v25, s22, s2, v1
	v_add_co_ci_u32_e64 v26, null, s3, 0, s22
	v_add_co_u32 v27, s22, s4, v1
	s_delay_alu instid0(VALU_DEP_1)
	v_add_co_ci_u32_e64 v28, null, s5, 0, s22
	s_waitcnt lgkmcnt(0)
	s_and_b32 s23, s12, 0xffff
	v_add_co_u32 v29, s12, s14, v1
	v_mad_u64_u32 v[3:4], null, s23, 24, v[1:2]
	v_add_co_ci_u32_e64 v30, null, s15, 0, s12
	s_and_b32 s12, s13, exec_lo
	s_cselect_b32 s13, s9, 0
	s_cselect_b32 s12, s8, 0x10000
	s_lshl_b32 s25, s23, 4
	s_delay_alu instid0(VALU_DEP_2) | instskip(NEXT) | instid1(VALU_DEP_3)
	v_add_co_u32 v31, vcc_lo, s2, v3
	v_add_co_ci_u32_e32 v32, vcc_lo, s3, v4, vcc_lo
	v_add_co_u32 v33, vcc_lo, s4, v3
	v_add_co_u32 v1, s25, s25, v1
	v_add_co_ci_u32_e32 v34, vcc_lo, s5, v4, vcc_lo
	s_mul_i32 s24, s23, 3
	v_add_co_u32 v35, vcc_lo, s14, v3
	v_add_co_ci_u32_e64 v2, null, 0, 0, s25
	v_add_co_ci_u32_e32 v36, vcc_lo, s15, v4, vcc_lo
	v_add_co_u32 v37, s24, s24, v0
	v_add_co_u32 v39, vcc_lo, s2, v1
	v_add_co_ci_u32_e64 v38, null, 0, 0, s24
	v_add_co_u32 v43, s24, v0, s23
	v_add_co_ci_u32_e32 v40, vcc_lo, s3, v2, vcc_lo
	v_add_co_u32 v41, vcc_lo, s4, v1
	v_add_co_ci_u32_e32 v42, vcc_lo, s5, v2, vcc_lo
	v_add_co_u32 v44, vcc_lo, s14, v1
	v_lshlrev_b32_e32 v1, 3, v43
	s_lshl_b32 s22, s23, 1
	v_add_co_ci_u32_e32 v45, vcc_lo, s15, v2, vcc_lo
	v_add_co_u32 v47, s22, s22, v0
	s_delay_alu instid0(VALU_DEP_3) | instskip(NEXT) | instid1(VALU_DEP_1)
	v_add_co_u32 v49, s2, s2, v1
	v_add_co_ci_u32_e64 v50, null, s3, 0, s2
	v_add_co_u32 v51, s2, s4, v1
	s_delay_alu instid0(VALU_DEP_1)
	v_add_co_ci_u32_e64 v52, null, s5, 0, s2
	v_add_co_u32 v53, s2, s14, v1
	v_add_co_ci_u32_e64 v46, null, 0, 0, s24
	v_add_co_ci_u32_e64 v48, null, 0, 0, s22
	;; [unrolled: 1-line block ×3, first 2 shown]
	s_lshl_b32 s22, s23, 2
	s_lshl_b32 s23, s23, 5
	s_mov_b64 s[14:15], 0
	s_branch .LBB102_4
.LBB102_3:                              ;   in Loop: Header=BB102_4 Depth=1
	s_or_b32 exec_lo, exec_lo, s2
	v_add_co_u32 v25, vcc_lo, v25, s23
	v_add_co_ci_u32_e32 v26, vcc_lo, 0, v26, vcc_lo
	v_add_co_u32 v27, vcc_lo, v27, s23
	v_add_co_ci_u32_e32 v28, vcc_lo, 0, v28, vcc_lo
	v_add_co_u32 v29, vcc_lo, v29, s23
	v_add_co_ci_u32_e32 v30, vcc_lo, 0, v30, vcc_lo
	v_add_co_u32 v31, vcc_lo, v31, s23
	v_add_co_ci_u32_e32 v32, vcc_lo, 0, v32, vcc_lo
	v_add_co_u32 v33, vcc_lo, v33, s23
	v_add_co_ci_u32_e32 v34, vcc_lo, 0, v34, vcc_lo
	v_add_co_u32 v35, vcc_lo, v35, s23
	v_add_co_ci_u32_e32 v36, vcc_lo, 0, v36, vcc_lo
	v_add_co_u32 v39, vcc_lo, v39, s23
	v_add_co_ci_u32_e32 v40, vcc_lo, 0, v40, vcc_lo
	v_add_co_u32 v41, vcc_lo, v41, s23
	v_add_co_ci_u32_e32 v42, vcc_lo, 0, v42, vcc_lo
	v_add_co_u32 v44, vcc_lo, v44, s23
	v_add_co_ci_u32_e32 v45, vcc_lo, 0, v45, vcc_lo
	s_add_u32 s14, s14, s22
	v_add_co_u32 v49, vcc_lo, v49, s23
	s_addc_u32 s15, s15, 0
	v_add_co_ci_u32_e32 v50, vcc_lo, 0, v50, vcc_lo
	v_cmp_lt_i64_e64 s2, s[14:15], s[8:9]
	v_cmp_gt_u64_e64 s3, 0x10000, s[14:15]
	v_add_co_u32 v51, vcc_lo, v51, s23
	v_add_co_ci_u32_e32 v52, vcc_lo, 0, v52, vcc_lo
	v_add_co_u32 v53, vcc_lo, v53, s23
	v_add_co_ci_u32_e32 v54, vcc_lo, 0, v54, vcc_lo
	s_and_b32 s2, s2, s3
	s_delay_alu instid0(SALU_CYCLE_1)
	s_and_b32 vcc_lo, exec_lo, s2
	s_cbranch_vccz .LBB102_28
.LBB102_4:                              ; =>This Inner Loop Header: Depth=1
	s_waitcnt vmcnt(1)
	v_add_co_u32 v3, s2, v0, s14
	s_delay_alu instid0(VALU_DEP_1) | instskip(SKIP_3) | instid1(VALU_DEP_3)
	v_add_co_ci_u32_e64 v4, null, 0, s15, s2
	s_waitcnt vmcnt(0)
	v_mov_b32_e32 v1, 0
	v_mov_b32_e32 v2, 0
	v_cmp_gt_u64_e32 vcc_lo, s[12:13], v[3:4]
	s_delay_alu instid0(VALU_DEP_2)
	v_dual_mov_b32 v4, v2 :: v_dual_mov_b32 v3, v1
	v_dual_mov_b32 v6, v2 :: v_dual_mov_b32 v5, v1
	s_and_saveexec_b32 s3, vcc_lo
	s_cbranch_execz .LBB102_6
; %bb.5:                                ;   in Loop: Header=BB102_4 Depth=1
	v_add_co_u32 v3, s2, v25, s10
	s_delay_alu instid0(VALU_DEP_1) | instskip(SKIP_1) | instid1(VALU_DEP_1)
	v_add_co_ci_u32_e64 v4, s2, s11, v26, s2
	v_add_co_u32 v5, s2, v27, s10
	v_add_co_ci_u32_e64 v6, s2, s11, v28, s2
	global_load_b64 v[3:4], v[3:4], off
	global_load_b64 v[5:6], v[5:6], off
.LBB102_6:                              ;   in Loop: Header=BB102_4 Depth=1
	s_or_b32 exec_lo, exec_lo, s3
	s_and_saveexec_b32 s3, vcc_lo
	s_cbranch_execz .LBB102_8
; %bb.7:                                ;   in Loop: Header=BB102_4 Depth=1
	v_add_co_u32 v1, s2, v29, s10
	s_delay_alu instid0(VALU_DEP_1)
	v_add_co_ci_u32_e64 v2, s2, s11, v30, s2
	global_load_b64 v[1:2], v[1:2], off
.LBB102_8:                              ;   in Loop: Header=BB102_4 Depth=1
	s_or_b32 exec_lo, exec_lo, s3
	v_add_co_u32 v9, s2, v43, s14
	s_delay_alu instid0(VALU_DEP_1) | instskip(SKIP_2) | instid1(VALU_DEP_3)
	v_add_co_ci_u32_e64 v10, s2, s15, v46, s2
	v_mov_b32_e32 v7, 0
	v_mov_b32_e32 v8, 0
	v_cmp_gt_u64_e64 s2, s[12:13], v[9:10]
	s_delay_alu instid0(VALU_DEP_2) | instskip(SKIP_1) | instid1(VALU_DEP_3)
	v_dual_mov_b32 v10, v8 :: v_dual_mov_b32 v9, v7
	v_dual_mov_b32 v12, v8 :: v_dual_mov_b32 v11, v7
	s_and_saveexec_b32 s4, s2
	s_cbranch_execz .LBB102_10
; %bb.9:                                ;   in Loop: Header=BB102_4 Depth=1
	v_add_co_u32 v9, s3, v49, s10
	s_delay_alu instid0(VALU_DEP_1) | instskip(SKIP_1) | instid1(VALU_DEP_1)
	v_add_co_ci_u32_e64 v10, s3, s11, v50, s3
	v_add_co_u32 v11, s3, v51, s10
	v_add_co_ci_u32_e64 v12, s3, s11, v52, s3
	global_load_b64 v[9:10], v[9:10], off
	global_load_b64 v[11:12], v[11:12], off
.LBB102_10:                             ;   in Loop: Header=BB102_4 Depth=1
	s_or_b32 exec_lo, exec_lo, s4
	s_and_saveexec_b32 s4, s2
	s_cbranch_execz .LBB102_12
; %bb.11:                               ;   in Loop: Header=BB102_4 Depth=1
	v_add_co_u32 v7, s3, v53, s10
	s_delay_alu instid0(VALU_DEP_1)
	v_add_co_ci_u32_e64 v8, s3, s11, v54, s3
	global_load_b64 v[7:8], v[7:8], off
.LBB102_12:                             ;   in Loop: Header=BB102_4 Depth=1
	s_or_b32 exec_lo, exec_lo, s4
	v_add_co_u32 v15, s3, v47, s14
	s_delay_alu instid0(VALU_DEP_1) | instskip(SKIP_2) | instid1(VALU_DEP_3)
	v_add_co_ci_u32_e64 v16, s3, s15, v48, s3
	v_mov_b32_e32 v13, 0
	v_mov_b32_e32 v14, 0
	v_cmp_gt_u64_e64 s3, s[12:13], v[15:16]
	s_delay_alu instid0(VALU_DEP_2) | instskip(SKIP_1) | instid1(VALU_DEP_3)
	v_dual_mov_b32 v16, v14 :: v_dual_mov_b32 v15, v13
	v_dual_mov_b32 v18, v14 :: v_dual_mov_b32 v17, v13
	s_and_saveexec_b32 s5, s3
	s_cbranch_execz .LBB102_14
; %bb.13:                               ;   in Loop: Header=BB102_4 Depth=1
	v_add_co_u32 v15, s4, v39, s10
	s_delay_alu instid0(VALU_DEP_1) | instskip(SKIP_1) | instid1(VALU_DEP_1)
	v_add_co_ci_u32_e64 v16, s4, s11, v40, s4
	v_add_co_u32 v17, s4, v41, s10
	v_add_co_ci_u32_e64 v18, s4, s11, v42, s4
	global_load_b64 v[15:16], v[15:16], off
	global_load_b64 v[17:18], v[17:18], off
.LBB102_14:                             ;   in Loop: Header=BB102_4 Depth=1
	s_or_b32 exec_lo, exec_lo, s5
	s_and_saveexec_b32 s5, s3
	s_cbranch_execz .LBB102_16
; %bb.15:                               ;   in Loop: Header=BB102_4 Depth=1
	v_add_co_u32 v13, s4, v44, s10
	s_delay_alu instid0(VALU_DEP_1)
	v_add_co_ci_u32_e64 v14, s4, s11, v45, s4
	global_load_b64 v[13:14], v[13:14], off
.LBB102_16:                             ;   in Loop: Header=BB102_4 Depth=1
	s_or_b32 exec_lo, exec_lo, s5
	v_add_co_u32 v21, s4, v37, s14
	s_delay_alu instid0(VALU_DEP_1) | instskip(SKIP_2) | instid1(VALU_DEP_3)
	v_add_co_ci_u32_e64 v22, s4, s15, v38, s4
	v_mov_b32_e32 v19, 0
	v_mov_b32_e32 v20, 0
	v_cmp_gt_u64_e64 s4, s[12:13], v[21:22]
	s_delay_alu instid0(VALU_DEP_2) | instskip(SKIP_1) | instid1(VALU_DEP_3)
	v_dual_mov_b32 v22, v20 :: v_dual_mov_b32 v21, v19
	v_dual_mov_b32 v24, v20 :: v_dual_mov_b32 v23, v19
	s_and_saveexec_b32 s24, s4
	s_cbranch_execnz .LBB102_22
; %bb.17:                               ;   in Loop: Header=BB102_4 Depth=1
	s_or_b32 exec_lo, exec_lo, s24
	s_and_saveexec_b32 s24, s4
	s_cbranch_execnz .LBB102_23
.LBB102_18:                             ;   in Loop: Header=BB102_4 Depth=1
	s_or_b32 exec_lo, exec_lo, s24
	s_and_saveexec_b32 s5, vcc_lo
	s_cbranch_execnz .LBB102_24
.LBB102_19:                             ;   in Loop: Header=BB102_4 Depth=1
	s_or_b32 exec_lo, exec_lo, s5
	s_and_saveexec_b32 s5, s2
	s_cbranch_execnz .LBB102_25
.LBB102_20:                             ;   in Loop: Header=BB102_4 Depth=1
	s_or_b32 exec_lo, exec_lo, s5
	s_and_saveexec_b32 s2, s3
	s_cbranch_execnz .LBB102_26
.LBB102_21:                             ;   in Loop: Header=BB102_4 Depth=1
	s_or_b32 exec_lo, exec_lo, s2
	s_and_saveexec_b32 s2, s4
	s_cbranch_execz .LBB102_3
	s_branch .LBB102_27
.LBB102_22:                             ;   in Loop: Header=BB102_4 Depth=1
	v_add_co_u32 v21, s5, v31, s10
	s_delay_alu instid0(VALU_DEP_1) | instskip(SKIP_1) | instid1(VALU_DEP_1)
	v_add_co_ci_u32_e64 v22, s5, s11, v32, s5
	v_add_co_u32 v23, s5, v33, s10
	v_add_co_ci_u32_e64 v24, s5, s11, v34, s5
	global_load_b64 v[21:22], v[21:22], off
	global_load_b64 v[23:24], v[23:24], off
	s_or_b32 exec_lo, exec_lo, s24
	s_and_saveexec_b32 s24, s4
	s_cbranch_execz .LBB102_18
.LBB102_23:                             ;   in Loop: Header=BB102_4 Depth=1
	v_add_co_u32 v19, s5, v35, s10
	s_delay_alu instid0(VALU_DEP_1)
	v_add_co_ci_u32_e64 v20, s5, s11, v36, s5
	global_load_b64 v[19:20], v[19:20], off
	s_or_b32 exec_lo, exec_lo, s24
	s_and_saveexec_b32 s5, vcc_lo
	s_cbranch_execz .LBB102_19
.LBB102_24:                             ;   in Loop: Header=BB102_4 Depth=1
	s_waitcnt vmcnt(0)
	v_mul_lo_u32 v6, v6, s6
	v_mul_lo_u32 v57, v5, s7
	v_mad_u64_u32 v[55:56], null, v5, s6, 0
	s_delay_alu instid0(VALU_DEP_1) | instskip(NEXT) | instid1(VALU_DEP_2)
	v_add3_u32 v5, v56, v57, v6
	v_mul_lo_u32 v56, v55, v2
	s_delay_alu instid0(VALU_DEP_2) | instskip(SKIP_3) | instid1(VALU_DEP_3)
	v_mul_lo_u32 v57, v5, v1
	v_mad_u64_u32 v[5:6], null, v55, v1, v[3:4]
	v_add_co_u32 v1, vcc_lo, v25, s10
	v_add_co_ci_u32_e32 v2, vcc_lo, s11, v26, vcc_lo
	v_add3_u32 v6, v57, v6, v56
	global_store_b64 v[1:2], v[5:6], off
	s_or_b32 exec_lo, exec_lo, s5
	s_and_saveexec_b32 s5, s2
	s_cbranch_execz .LBB102_20
.LBB102_25:                             ;   in Loop: Header=BB102_4 Depth=1
	s_waitcnt vmcnt(0)
	v_mul_lo_u32 v3, v12, s6
	v_mul_lo_u32 v4, v11, s7
	v_mad_u64_u32 v[1:2], null, v11, s6, 0
	s_delay_alu instid0(VALU_DEP_1) | instskip(NEXT) | instid1(VALU_DEP_2)
	v_add3_u32 v4, v2, v4, v3
	v_mul_lo_u32 v5, v1, v8
	v_mad_u64_u32 v[2:3], null, v1, v7, v[9:10]
	s_delay_alu instid0(VALU_DEP_3) | instskip(SKIP_1) | instid1(VALU_DEP_2)
	v_mul_lo_u32 v1, v4, v7
	v_add_co_u32 v4, vcc_lo, v49, s10
	v_add3_u32 v3, v1, v3, v5
	v_add_co_ci_u32_e32 v5, vcc_lo, s11, v50, vcc_lo
	global_store_b64 v[4:5], v[2:3], off
	s_or_b32 exec_lo, exec_lo, s5
	s_and_saveexec_b32 s2, s3
	s_cbranch_execz .LBB102_21
.LBB102_26:                             ;   in Loop: Header=BB102_4 Depth=1
	s_waitcnt vmcnt(0)
	v_mul_lo_u32 v3, v18, s6
	v_mul_lo_u32 v4, v17, s7
	v_mad_u64_u32 v[1:2], null, v17, s6, 0
	s_delay_alu instid0(VALU_DEP_1) | instskip(NEXT) | instid1(VALU_DEP_2)
	v_add3_u32 v4, v2, v4, v3
	v_mul_lo_u32 v5, v1, v14
	v_mad_u64_u32 v[2:3], null, v1, v13, v[15:16]
	s_delay_alu instid0(VALU_DEP_3) | instskip(SKIP_1) | instid1(VALU_DEP_2)
	v_mul_lo_u32 v1, v4, v13
	v_add_co_u32 v4, vcc_lo, v39, s10
	v_add3_u32 v3, v1, v3, v5
	v_add_co_ci_u32_e32 v5, vcc_lo, s11, v40, vcc_lo
	global_store_b64 v[4:5], v[2:3], off
	s_or_b32 exec_lo, exec_lo, s2
	s_and_saveexec_b32 s2, s4
	s_cbranch_execz .LBB102_3
.LBB102_27:                             ;   in Loop: Header=BB102_4 Depth=1
	s_waitcnt vmcnt(0)
	v_mul_lo_u32 v3, v24, s6
	v_mul_lo_u32 v4, v23, s7
	v_mad_u64_u32 v[1:2], null, v23, s6, 0
	s_delay_alu instid0(VALU_DEP_1) | instskip(NEXT) | instid1(VALU_DEP_2)
	v_add3_u32 v4, v2, v4, v3
	v_mul_lo_u32 v5, v1, v20
	v_mad_u64_u32 v[2:3], null, v1, v19, v[21:22]
	s_delay_alu instid0(VALU_DEP_3) | instskip(SKIP_1) | instid1(VALU_DEP_2)
	v_mul_lo_u32 v1, v4, v19
	v_add_co_u32 v4, vcc_lo, v31, s10
	v_add3_u32 v3, v1, v3, v5
	v_add_co_ci_u32_e32 v5, vcc_lo, s11, v32, vcc_lo
	global_store_b64 v[4:5], v[2:3], off
	s_branch .LBB102_3
.LBB102_28:
	s_mov_b32 s12, 0
.LBB102_29:
	s_delay_alu instid0(SALU_CYCLE_1)
	s_and_not1_b32 vcc_lo, exec_lo, s12
	s_cbranch_vccnz .LBB102_33
; %bb.30:
	s_waitcnt vmcnt(0)
	v_dual_mov_b32 v2, 0 :: v_dual_lshlrev_b32 v1, 2, v0
	s_mov_b32 s2, 0
	s_mov_b32 s3, exec_lo
	s_delay_alu instid0(VALU_DEP_1)
	v_cmpx_gt_i64_e64 s[8:9], v[1:2]
	s_cbranch_execz .LBB102_33
; %bb.31:
	s_load_b32 s0, s[0:1], 0xdd4
	s_waitcnt lgkmcnt(0)
	s_and_b32 s0, s0, 0xffff
	s_delay_alu instid0(SALU_CYCLE_1)
	v_add_lshl_u32 v1, v0, s0, 2
	v_lshlrev_b32_e32 v0, 5, v0
	s_lshl_b32 s3, s0, 2
	s_lshl_b32 s4, s0, 5
.LBB102_32:                             ; =>This Inner Loop Header: Depth=1
	s_delay_alu instid0(VALU_DEP_1) | instskip(NEXT) | instid1(VALU_DEP_1)
	v_add_co_u32 v27, s0, s16, v0
	v_add_co_ci_u32_e64 v28, null, s17, 0, s0
	v_add_co_u32 v7, s0, s18, v0
	s_delay_alu instid0(VALU_DEP_1) | instskip(SKIP_1) | instid1(VALU_DEP_1)
	v_add_co_ci_u32_e64 v8, null, s19, 0, s0
	v_add_co_u32 v19, s0, s20, v0
	v_add_co_ci_u32_e64 v20, null, s21, 0, s0
	s_clause 0x1
	global_load_b128 v[3:6], v[7:8], off
	global_load_b128 v[7:10], v[7:8], off offset:16
	global_load_b128 v[11:14], v[19:20], off
	global_load_b128 v[15:18], v[27:28], off
	global_load_b128 v[19:22], v[19:20], off offset:16
	global_load_b128 v[23:26], v[27:28], off offset:16
	v_cmp_le_i64_e32 vcc_lo, s[8:9], v[1:2]
	v_cmp_lt_u64_e64 s0, 0xffff, v[1:2]
	v_add_co_u32 v1, s1, v1, s3
	s_delay_alu instid0(VALU_DEP_1) | instskip(NEXT) | instid1(VALU_DEP_3)
	v_add_co_ci_u32_e64 v2, s1, 0, v2, s1
	s_or_b32 s0, vcc_lo, s0
	s_add_u32 s16, s16, s4
	s_addc_u32 s17, s17, 0
	s_add_u32 s20, s20, s4
	s_addc_u32 s21, s21, 0
	;; [unrolled: 2-line block ×3, first 2 shown]
	s_and_b32 s0, exec_lo, s0
	s_delay_alu instid0(SALU_CYCLE_1)
	s_or_b32 s2, s0, s2
	s_waitcnt vmcnt(5)
	v_mul_lo_u32 v4, v4, s6
	v_mul_lo_u32 v37, v3, s7
	v_mad_u64_u32 v[29:30], null, v3, s6, 0
	v_mul_lo_u32 v6, v6, s6
	v_mul_lo_u32 v38, v5, s7
	v_mad_u64_u32 v[31:32], null, v5, s6, 0
	s_waitcnt vmcnt(4)
	v_mul_lo_u32 v8, v8, s6
	v_mul_lo_u32 v39, v7, s7
	v_mad_u64_u32 v[33:34], null, v7, s6, 0
	v_mul_lo_u32 v10, v10, s6
	v_mul_lo_u32 v40, v9, s7
	v_mad_u64_u32 v[35:36], null, v9, s6, 0
	v_add3_u32 v30, v30, v37, v4
	s_waitcnt vmcnt(2)
	v_mad_u64_u32 v[3:4], null, v29, v11, v[15:16]
	v_add3_u32 v15, v32, v38, v6
	v_mad_u64_u32 v[5:6], null, v31, v13, v[17:18]
	v_add3_u32 v16, v34, v39, v8
	v_add3_u32 v18, v36, v40, v10
	v_mul_lo_u32 v12, v29, v12
	v_mul_lo_u32 v14, v31, v14
	;; [unrolled: 1-line block ×4, first 2 shown]
	s_waitcnt vmcnt(1)
	v_mul_lo_u32 v17, v33, v20
	s_waitcnt vmcnt(0)
	v_mad_u64_u32 v[7:8], null, v33, v19, v[23:24]
	v_mul_lo_u32 v20, v35, v22
	v_mad_u64_u32 v[9:10], null, v35, v21, v[25:26]
	v_mul_lo_u32 v15, v16, v19
	v_mul_lo_u32 v16, v18, v21
	v_add3_u32 v4, v11, v4, v12
	v_add3_u32 v6, v13, v6, v14
	s_delay_alu instid0(VALU_DEP_4) | instskip(NEXT) | instid1(VALU_DEP_4)
	v_add3_u32 v8, v15, v8, v17
	v_add3_u32 v10, v16, v10, v20
	s_clause 0x1
	global_store_b128 v[27:28], v[3:6], off
	global_store_b128 v[27:28], v[7:10], off offset:16
	s_and_not1_b32 exec_lo, exec_lo, s2
	s_cbranch_execnz .LBB102_32
.LBB102_33:
	s_nop 0
	s_sendmsg sendmsg(MSG_DEALLOC_VGPRS)
	s_endpgm
	.section	.rodata,"a",@progbits
	.p2align	6, 0x0
	.amdhsa_kernel _ZN2at6native12_GLOBAL__N_125multi_tensor_apply_kernelINS1_28TensorListScalarListMetadataIlLi3EEENS1_28PointwiseOpScalarListFunctorIlLi3ELi3ELi0EEEJSt10multipliesIlEEEEvT_T0_DpT1_
		.amdhsa_group_segment_fixed_size 0
		.amdhsa_private_segment_fixed_size 0
		.amdhsa_kernarg_size 3784
		.amdhsa_user_sgpr_count 15
		.amdhsa_user_sgpr_dispatch_ptr 0
		.amdhsa_user_sgpr_queue_ptr 0
		.amdhsa_user_sgpr_kernarg_segment_ptr 1
		.amdhsa_user_sgpr_dispatch_id 0
		.amdhsa_user_sgpr_private_segment_size 0
		.amdhsa_wavefront_size32 1
		.amdhsa_uses_dynamic_stack 0
		.amdhsa_enable_private_segment 0
		.amdhsa_system_sgpr_workgroup_id_x 1
		.amdhsa_system_sgpr_workgroup_id_y 0
		.amdhsa_system_sgpr_workgroup_id_z 0
		.amdhsa_system_sgpr_workgroup_info 0
		.amdhsa_system_vgpr_workitem_id 0
		.amdhsa_next_free_vgpr 58
		.amdhsa_next_free_sgpr 26
		.amdhsa_reserve_vcc 1
		.amdhsa_float_round_mode_32 0
		.amdhsa_float_round_mode_16_64 0
		.amdhsa_float_denorm_mode_32 3
		.amdhsa_float_denorm_mode_16_64 3
		.amdhsa_dx10_clamp 1
		.amdhsa_ieee_mode 1
		.amdhsa_fp16_overflow 0
		.amdhsa_workgroup_processor_mode 1
		.amdhsa_memory_ordered 1
		.amdhsa_forward_progress 0
		.amdhsa_shared_vgpr_count 0
		.amdhsa_exception_fp_ieee_invalid_op 0
		.amdhsa_exception_fp_denorm_src 0
		.amdhsa_exception_fp_ieee_div_zero 0
		.amdhsa_exception_fp_ieee_overflow 0
		.amdhsa_exception_fp_ieee_underflow 0
		.amdhsa_exception_fp_ieee_inexact 0
		.amdhsa_exception_int_div_zero 0
	.end_amdhsa_kernel
	.section	.text._ZN2at6native12_GLOBAL__N_125multi_tensor_apply_kernelINS1_28TensorListScalarListMetadataIlLi3EEENS1_28PointwiseOpScalarListFunctorIlLi3ELi3ELi0EEEJSt10multipliesIlEEEEvT_T0_DpT1_,"axG",@progbits,_ZN2at6native12_GLOBAL__N_125multi_tensor_apply_kernelINS1_28TensorListScalarListMetadataIlLi3EEENS1_28PointwiseOpScalarListFunctorIlLi3ELi3ELi0EEEJSt10multipliesIlEEEEvT_T0_DpT1_,comdat
.Lfunc_end102:
	.size	_ZN2at6native12_GLOBAL__N_125multi_tensor_apply_kernelINS1_28TensorListScalarListMetadataIlLi3EEENS1_28PointwiseOpScalarListFunctorIlLi3ELi3ELi0EEEJSt10multipliesIlEEEEvT_T0_DpT1_, .Lfunc_end102-_ZN2at6native12_GLOBAL__N_125multi_tensor_apply_kernelINS1_28TensorListScalarListMetadataIlLi3EEENS1_28PointwiseOpScalarListFunctorIlLi3ELi3ELi0EEEJSt10multipliesIlEEEEvT_T0_DpT1_
                                        ; -- End function
	.section	.AMDGPU.csdata,"",@progbits
; Kernel info:
; codeLenInByte = 2532
; NumSgprs: 28
; NumVgprs: 58
; ScratchSize: 0
; MemoryBound: 0
; FloatMode: 240
; IeeeMode: 1
; LDSByteSize: 0 bytes/workgroup (compile time only)
; SGPRBlocks: 3
; VGPRBlocks: 7
; NumSGPRsForWavesPerEU: 28
; NumVGPRsForWavesPerEU: 58
; Occupancy: 16
; WaveLimiterHint : 1
; COMPUTE_PGM_RSRC2:SCRATCH_EN: 0
; COMPUTE_PGM_RSRC2:USER_SGPR: 15
; COMPUTE_PGM_RSRC2:TRAP_HANDLER: 0
; COMPUTE_PGM_RSRC2:TGID_X_EN: 1
; COMPUTE_PGM_RSRC2:TGID_Y_EN: 0
; COMPUTE_PGM_RSRC2:TGID_Z_EN: 0
; COMPUTE_PGM_RSRC2:TIDIG_COMP_CNT: 0
	.section	.text._ZN2at6native12_GLOBAL__N_125multi_tensor_apply_kernelINS1_28TensorListScalarListMetadataIsLi3EEENS1_28PointwiseOpScalarListFunctorIsLi3ELi3ELi0EEEJSt10multipliesIsEEEEvT_T0_DpT1_,"axG",@progbits,_ZN2at6native12_GLOBAL__N_125multi_tensor_apply_kernelINS1_28TensorListScalarListMetadataIsLi3EEENS1_28PointwiseOpScalarListFunctorIsLi3ELi3ELi0EEEJSt10multipliesIsEEEEvT_T0_DpT1_,comdat
	.globl	_ZN2at6native12_GLOBAL__N_125multi_tensor_apply_kernelINS1_28TensorListScalarListMetadataIsLi3EEENS1_28PointwiseOpScalarListFunctorIsLi3ELi3ELi0EEEJSt10multipliesIsEEEEvT_T0_DpT1_ ; -- Begin function _ZN2at6native12_GLOBAL__N_125multi_tensor_apply_kernelINS1_28TensorListScalarListMetadataIsLi3EEENS1_28PointwiseOpScalarListFunctorIsLi3ELi3ELi0EEEJSt10multipliesIsEEEEvT_T0_DpT1_
	.p2align	8
	.type	_ZN2at6native12_GLOBAL__N_125multi_tensor_apply_kernelINS1_28TensorListScalarListMetadataIsLi3EEENS1_28PointwiseOpScalarListFunctorIsLi3ELi3ELi0EEEJSt10multipliesIsEEEEvT_T0_DpT1_,@function
_ZN2at6native12_GLOBAL__N_125multi_tensor_apply_kernelINS1_28TensorListScalarListMetadataIsLi3EEENS1_28PointwiseOpScalarListFunctorIsLi3ELi3ELi0EEEJSt10multipliesIsEEEEvT_T0_DpT1_: ; @_ZN2at6native12_GLOBAL__N_125multi_tensor_apply_kernelINS1_28TensorListScalarListMetadataIsLi3EEENS1_28PointwiseOpScalarListFunctorIsLi3ELi3ELi0EEEJSt10multipliesIsEEEEvT_T0_DpT1_
; %bb.0:
	v_mov_b32_e32 v1, s15
	s_add_u32 s2, s0, s15
	s_mul_i32 s3, s15, 3
	s_mul_hi_u32 s4, s15, 3
	s_addc_u32 s5, s1, 0
	global_load_u8 v1, v1, s[0:1] offset:1632
	s_add_u32 s2, s2, s3
	s_addc_u32 s3, s5, s4
	s_load_b32 s2, s[2:3], 0x7a0
	s_waitcnt vmcnt(0)
	v_readfirstlane_b32 s3, v1
	v_mul_lo_u32 v2, v1, -6
	v_mul_hi_i32 v3, v1, -6
	s_delay_alu instid0(VALU_DEP_3) | instskip(SKIP_4) | instid1(VALU_DEP_2)
	s_lshl_b32 s4, s3, 3
	s_waitcnt lgkmcnt(0)
	s_ashr_i32 s3, s2, 31
	s_add_u32 s5, s0, s4
	s_addc_u32 s6, s1, 0
	v_add_co_u32 v1, vcc_lo, s5, v2
	s_delay_alu instid0(VALU_DEP_2)
	v_add_co_ci_u32_e32 v2, vcc_lo, s6, v3, vcc_lo
	s_lshl_b64 s[14:15], s[2:3], 17
	global_load_u16 v3, v[1:2], off offset:1536
	s_clause 0x3
	s_load_b64 s[6:7], s[0:1], s4 offset:0x180
	s_load_b64 s[8:9], s[0:1], s4 offset:0x300
	;; [unrolled: 1-line block ×4, first 2 shown]
	s_waitcnt lgkmcnt(0)
	s_add_u32 s12, s6, s14
	s_delay_alu instid0(SALU_CYCLE_1) | instskip(SKIP_2) | instid1(SALU_CYCLE_1)
	s_or_b32 s12, s8, s12
	s_and_b32 s16, s10, 7
	s_and_b32 s12, s12, 7
	s_cmp_eq_u32 s12, 0
	s_cselect_b32 s17, -1, 0
	s_lshl_b64 s[2:3], s[2:3], 16
	s_delay_alu instid0(SALU_CYCLE_1) | instskip(SKIP_4) | instid1(SALU_CYCLE_1)
	s_sub_u32 s12, s4, s2
	s_subb_u32 s13, s5, s3
	s_and_b32 s2, s4, 3
	s_mov_b32 s3, 0
	s_or_b32 s2, s16, s2
	s_cmp_eq_u64 s[2:3], 0
	s_cselect_b32 s2, -1, 0
	s_delay_alu instid0(SALU_CYCLE_1) | instskip(NEXT) | instid1(SALU_CYCLE_1)
	s_and_b32 s2, s17, s2
	s_and_b32 vcc_lo, exec_lo, s2
	s_mov_b32 s2, -1
	s_cbranch_vccnz .LBB103_29
; %bb.1:
	v_cmp_lt_i64_e64 s2, s[12:13], 1
	s_delay_alu instid0(VALU_DEP_1)
	s_and_b32 vcc_lo, exec_lo, s2
	s_cbranch_vccnz .LBB103_28
; %bb.2:
	s_load_b32 s2, s[0:1], 0xcb4
	v_dual_mov_b32 v15, 0 :: v_dual_lshlrev_b32 v14, 1, v0
	v_cmp_gt_u64_e64 s3, 0x10000, s[12:13]
	s_mov_b64 s[18:19], 0
	s_delay_alu instid0(VALU_DEP_2) | instskip(NEXT) | instid1(VALU_DEP_1)
	v_add_co_u32 v1, s4, s10, v14
	v_add_co_ci_u32_e64 v2, null, s11, 0, s4
	v_add_co_u32 v4, s4, s6, v14
	s_delay_alu instid0(VALU_DEP_1) | instskip(SKIP_1) | instid1(VALU_DEP_1)
	v_add_co_ci_u32_e64 v5, null, s7, 0, s4
	v_add_co_u32 v6, s4, s8, v14
	v_add_co_ci_u32_e64 v7, null, s9, 0, s4
	s_waitcnt lgkmcnt(0)
	s_and_b32 s2, s2, 0xffff
	s_and_b32 s3, s3, exec_lo
	v_mad_u64_u32 v[12:13], null, s2, 6, v[14:15]
	s_cselect_b32 s17, s13, 0
	s_cselect_b32 s16, s12, 0x10000
	s_mul_i32 s4, s2, 3
	s_lshl_b32 s20, s2, 2
	s_lshl_b32 s3, s2, 1
	v_add_co_u32 v21, s5, s20, v14
	v_add_co_u32 v14, s4, s4, v0
	v_add_co_u32 v8, vcc_lo, s10, v12
	v_add_co_ci_u32_e64 v15, null, 0, 0, s4
	v_add_co_u32 v20, s4, v0, s2
	v_add_co_ci_u32_e32 v9, vcc_lo, s11, v13, vcc_lo
	v_add_co_u32 v10, vcc_lo, s6, v12
	v_add_co_ci_u32_e32 v11, vcc_lo, s7, v13, vcc_lo
	v_add_co_u32 v12, vcc_lo, s8, v12
	v_add_co_ci_u32_e64 v22, null, 0, 0, s5
	v_lshlrev_b32_e32 v30, 1, v20
	v_add_co_ci_u32_e32 v13, vcc_lo, s9, v13, vcc_lo
	v_add_co_u32 v16, vcc_lo, s10, v21
	v_add_co_u32 v24, s3, s3, v0
	v_add_co_ci_u32_e32 v17, vcc_lo, s11, v22, vcc_lo
	v_add_co_ci_u32_e64 v25, null, 0, 0, s3
	v_add_co_u32 v26, s3, s10, v30
	v_add_co_u32 v18, vcc_lo, s6, v21
	v_add_co_ci_u32_e64 v27, null, s11, 0, s3
	v_add_co_u32 v28, s3, s6, v30
	v_add_co_ci_u32_e32 v19, vcc_lo, s7, v22, vcc_lo
	v_add_co_u32 v21, vcc_lo, s8, v21
	v_add_co_ci_u32_e64 v29, null, s7, 0, s3
	v_add_co_u32 v30, s3, s8, v30
	v_add_co_ci_u32_e32 v22, vcc_lo, s9, v22, vcc_lo
	v_add_co_ci_u32_e64 v23, null, 0, 0, s4
	v_add_co_ci_u32_e64 v31, null, s9, 0, s3
	s_lshl_b32 s21, s2, 3
	s_branch .LBB103_4
.LBB103_3:                              ;   in Loop: Header=BB103_4 Depth=1
	s_or_b32 exec_lo, exec_lo, s2
	v_add_co_u32 v1, vcc_lo, v1, s21
	v_add_co_ci_u32_e32 v2, vcc_lo, 0, v2, vcc_lo
	v_add_co_u32 v4, vcc_lo, v4, s21
	v_add_co_ci_u32_e32 v5, vcc_lo, 0, v5, vcc_lo
	;; [unrolled: 2-line block ×9, first 2 shown]
	s_add_u32 s18, s18, s20
	v_add_co_u32 v26, vcc_lo, v26, s21
	s_addc_u32 s19, s19, 0
	v_add_co_ci_u32_e32 v27, vcc_lo, 0, v27, vcc_lo
	v_cmp_lt_i64_e64 s2, s[18:19], s[12:13]
	v_cmp_gt_u64_e64 s3, 0x10000, s[18:19]
	v_add_co_u32 v28, vcc_lo, v28, s21
	v_add_co_ci_u32_e32 v29, vcc_lo, 0, v29, vcc_lo
	v_add_co_u32 v30, vcc_lo, v30, s21
	v_add_co_ci_u32_e32 v31, vcc_lo, 0, v31, vcc_lo
	s_and_b32 s2, s2, s3
	s_delay_alu instid0(SALU_CYCLE_1)
	s_and_b32 vcc_lo, exec_lo, s2
	s_cbranch_vccz .LBB103_28
.LBB103_4:                              ; =>This Inner Loop Header: Depth=1
	s_waitcnt vmcnt(1)
	v_add_co_u32 v32, s2, v0, s18
	s_waitcnt vmcnt(0)
	v_add_co_ci_u32_e64 v33, null, 0, s19, s2
	s_delay_alu instid0(VALU_DEP_1)
	v_cmp_gt_u64_e32 vcc_lo, s[16:17], v[32:33]
	v_dual_mov_b32 v32, 0 :: v_dual_mov_b32 v33, 0
	s_and_saveexec_b32 s3, vcc_lo
	s_cbranch_execz .LBB103_6
; %bb.5:                                ;   in Loop: Header=BB103_4 Depth=1
	v_add_co_u32 v32, s2, v1, s14
	s_delay_alu instid0(VALU_DEP_1) | instskip(SKIP_1) | instid1(VALU_DEP_1)
	v_add_co_ci_u32_e64 v33, s2, s15, v2, s2
	v_add_co_u32 v34, s2, v4, s14
	v_add_co_ci_u32_e64 v35, s2, s15, v5, s2
	global_load_u16 v32, v[32:33], off
	global_load_u16 v33, v[34:35], off
.LBB103_6:                              ;   in Loop: Header=BB103_4 Depth=1
	s_or_b32 exec_lo, exec_lo, s3
	v_dual_mov_b32 v34, 0 :: v_dual_mov_b32 v35, 0
	s_and_saveexec_b32 s3, vcc_lo
	s_cbranch_execz .LBB103_8
; %bb.7:                                ;   in Loop: Header=BB103_4 Depth=1
	v_add_co_u32 v35, s2, v6, s14
	s_delay_alu instid0(VALU_DEP_1)
	v_add_co_ci_u32_e64 v36, s2, s15, v7, s2
	global_load_u16 v35, v[35:36], off
.LBB103_8:                              ;   in Loop: Header=BB103_4 Depth=1
	s_or_b32 exec_lo, exec_lo, s3
	v_add_co_u32 v36, s2, v20, s18
	s_delay_alu instid0(VALU_DEP_1) | instskip(NEXT) | instid1(VALU_DEP_1)
	v_add_co_ci_u32_e64 v37, s2, s19, v23, s2
	v_cmp_gt_u64_e64 s2, s[16:17], v[36:37]
	v_mov_b32_e32 v36, 0
	s_delay_alu instid0(VALU_DEP_2)
	s_and_saveexec_b32 s4, s2
	s_cbranch_execz .LBB103_10
; %bb.9:                                ;   in Loop: Header=BB103_4 Depth=1
	v_add_co_u32 v36, s3, v26, s14
	s_delay_alu instid0(VALU_DEP_1) | instskip(SKIP_1) | instid1(VALU_DEP_1)
	v_add_co_ci_u32_e64 v37, s3, s15, v27, s3
	v_add_co_u32 v38, s3, v28, s14
	v_add_co_ci_u32_e64 v39, s3, s15, v29, s3
	global_load_u16 v34, v[36:37], off
	global_load_u16 v36, v[38:39], off
.LBB103_10:                             ;   in Loop: Header=BB103_4 Depth=1
	s_or_b32 exec_lo, exec_lo, s4
	v_dual_mov_b32 v37, 0 :: v_dual_mov_b32 v38, 0
	s_and_saveexec_b32 s4, s2
	s_cbranch_execz .LBB103_12
; %bb.11:                               ;   in Loop: Header=BB103_4 Depth=1
	v_add_co_u32 v38, s3, v30, s14
	s_delay_alu instid0(VALU_DEP_1)
	v_add_co_ci_u32_e64 v39, s3, s15, v31, s3
	global_load_u16 v38, v[38:39], off
.LBB103_12:                             ;   in Loop: Header=BB103_4 Depth=1
	s_or_b32 exec_lo, exec_lo, s4
	v_add_co_u32 v39, s3, v24, s18
	s_delay_alu instid0(VALU_DEP_1) | instskip(NEXT) | instid1(VALU_DEP_1)
	v_add_co_ci_u32_e64 v40, s3, s19, v25, s3
	v_cmp_gt_u64_e64 s3, s[16:17], v[39:40]
	v_mov_b32_e32 v39, 0
	s_delay_alu instid0(VALU_DEP_2)
	s_and_saveexec_b32 s5, s3
	s_cbranch_execz .LBB103_14
; %bb.13:                               ;   in Loop: Header=BB103_4 Depth=1
	v_add_co_u32 v39, s4, v16, s14
	s_delay_alu instid0(VALU_DEP_1) | instskip(SKIP_1) | instid1(VALU_DEP_1)
	v_add_co_ci_u32_e64 v40, s4, s15, v17, s4
	v_add_co_u32 v41, s4, v18, s14
	v_add_co_ci_u32_e64 v42, s4, s15, v19, s4
	global_load_u16 v37, v[39:40], off
	global_load_u16 v39, v[41:42], off
.LBB103_14:                             ;   in Loop: Header=BB103_4 Depth=1
	s_or_b32 exec_lo, exec_lo, s5
	v_dual_mov_b32 v40, 0 :: v_dual_mov_b32 v41, 0
	s_and_saveexec_b32 s5, s3
	s_cbranch_execz .LBB103_16
; %bb.15:                               ;   in Loop: Header=BB103_4 Depth=1
	v_add_co_u32 v41, s4, v21, s14
	s_delay_alu instid0(VALU_DEP_1)
	v_add_co_ci_u32_e64 v42, s4, s15, v22, s4
	global_load_u16 v41, v[41:42], off
.LBB103_16:                             ;   in Loop: Header=BB103_4 Depth=1
	s_or_b32 exec_lo, exec_lo, s5
	v_add_co_u32 v42, s4, v14, s18
	s_delay_alu instid0(VALU_DEP_1) | instskip(NEXT) | instid1(VALU_DEP_1)
	v_add_co_ci_u32_e64 v43, s4, s19, v15, s4
	v_cmp_gt_u64_e64 s4, s[16:17], v[42:43]
	v_mov_b32_e32 v42, 0
	s_delay_alu instid0(VALU_DEP_2)
	s_and_saveexec_b32 s22, s4
	s_cbranch_execnz .LBB103_22
; %bb.17:                               ;   in Loop: Header=BB103_4 Depth=1
	s_or_b32 exec_lo, exec_lo, s22
	v_mov_b32_e32 v43, 0
	s_and_saveexec_b32 s22, s4
	s_cbranch_execnz .LBB103_23
.LBB103_18:                             ;   in Loop: Header=BB103_4 Depth=1
	s_or_b32 exec_lo, exec_lo, s22
	s_and_saveexec_b32 s5, vcc_lo
	s_cbranch_execnz .LBB103_24
.LBB103_19:                             ;   in Loop: Header=BB103_4 Depth=1
	s_or_b32 exec_lo, exec_lo, s5
	s_and_saveexec_b32 s5, s2
	s_cbranch_execnz .LBB103_25
.LBB103_20:                             ;   in Loop: Header=BB103_4 Depth=1
	s_or_b32 exec_lo, exec_lo, s5
	s_and_saveexec_b32 s2, s3
	s_cbranch_execnz .LBB103_26
.LBB103_21:                             ;   in Loop: Header=BB103_4 Depth=1
	s_or_b32 exec_lo, exec_lo, s2
	s_and_saveexec_b32 s2, s4
	s_cbranch_execz .LBB103_3
	s_branch .LBB103_27
.LBB103_22:                             ;   in Loop: Header=BB103_4 Depth=1
	v_add_co_u32 v42, s5, v8, s14
	s_delay_alu instid0(VALU_DEP_1) | instskip(SKIP_1) | instid1(VALU_DEP_1)
	v_add_co_ci_u32_e64 v43, s5, s15, v9, s5
	v_add_co_u32 v44, s5, v10, s14
	v_add_co_ci_u32_e64 v45, s5, s15, v11, s5
	global_load_u16 v40, v[42:43], off
	global_load_u16 v42, v[44:45], off
	s_or_b32 exec_lo, exec_lo, s22
	v_mov_b32_e32 v43, 0
	s_and_saveexec_b32 s22, s4
	s_cbranch_execz .LBB103_18
.LBB103_23:                             ;   in Loop: Header=BB103_4 Depth=1
	v_add_co_u32 v43, s5, v12, s14
	s_delay_alu instid0(VALU_DEP_1)
	v_add_co_ci_u32_e64 v44, s5, s15, v13, s5
	global_load_u16 v43, v[43:44], off
	s_or_b32 exec_lo, exec_lo, s22
	s_and_saveexec_b32 s5, vcc_lo
	s_cbranch_execz .LBB103_19
.LBB103_24:                             ;   in Loop: Header=BB103_4 Depth=1
	s_waitcnt vmcnt(0)
	v_mul_lo_u16 v33, v33, v3
	s_delay_alu instid0(VALU_DEP_1)
	v_mad_u16 v35, v33, v35, v32
	v_add_co_u32 v32, vcc_lo, v1, s14
	v_add_co_ci_u32_e32 v33, vcc_lo, s15, v2, vcc_lo
	global_store_b16 v[32:33], v35, off
	s_or_b32 exec_lo, exec_lo, s5
	s_and_saveexec_b32 s5, s2
	s_cbranch_execz .LBB103_20
.LBB103_25:                             ;   in Loop: Header=BB103_4 Depth=1
	s_waitcnt vmcnt(0)
	v_mul_lo_u16 v32, v36, v3
	s_delay_alu instid0(VALU_DEP_1)
	v_mad_u16 v34, v32, v38, v34
	v_add_co_u32 v32, vcc_lo, v26, s14
	v_add_co_ci_u32_e32 v33, vcc_lo, s15, v27, vcc_lo
	global_store_b16 v[32:33], v34, off
	s_or_b32 exec_lo, exec_lo, s5
	s_and_saveexec_b32 s2, s3
	s_cbranch_execz .LBB103_21
.LBB103_26:                             ;   in Loop: Header=BB103_4 Depth=1
	s_waitcnt vmcnt(0)
	v_mul_lo_u16 v32, v39, v3
	s_delay_alu instid0(VALU_DEP_1)
	v_mad_u16 v34, v32, v41, v37
	v_add_co_u32 v32, vcc_lo, v16, s14
	v_add_co_ci_u32_e32 v33, vcc_lo, s15, v17, vcc_lo
	global_store_b16 v[32:33], v34, off
	s_or_b32 exec_lo, exec_lo, s2
	s_and_saveexec_b32 s2, s4
	s_cbranch_execz .LBB103_3
.LBB103_27:                             ;   in Loop: Header=BB103_4 Depth=1
	s_waitcnt vmcnt(0)
	v_mul_lo_u16 v32, v42, v3
	s_delay_alu instid0(VALU_DEP_1)
	v_mad_u16 v34, v32, v43, v40
	v_add_co_u32 v32, vcc_lo, v8, s14
	v_add_co_ci_u32_e32 v33, vcc_lo, s15, v9, vcc_lo
	global_store_b16 v[32:33], v34, off
	s_branch .LBB103_3
.LBB103_28:
	s_mov_b32 s2, 0
.LBB103_29:
	s_delay_alu instid0(SALU_CYCLE_1)
	s_and_not1_b32 vcc_lo, exec_lo, s2
	s_cbranch_vccnz .LBB103_33
; %bb.30:
	v_dual_mov_b32 v2, 0 :: v_dual_lshlrev_b32 v1, 2, v0
	s_mov_b32 s2, 0
	s_mov_b32 s3, exec_lo
	s_delay_alu instid0(VALU_DEP_1)
	v_cmpx_gt_i64_e64 s[12:13], v[1:2]
	s_cbranch_execz .LBB103_33
; %bb.31:
	s_load_b32 s0, s[0:1], 0xcb4
	v_lshlrev_b32_e32 v1, 3, v0
	s_delay_alu instid0(VALU_DEP_1) | instskip(NEXT) | instid1(VALU_DEP_1)
	v_add_co_u32 v4, s1, s14, v1
	v_add_co_ci_u32_e64 v5, null, s15, 0, s1
	s_waitcnt lgkmcnt(0)
	s_and_b32 s0, s0, 0xffff
	s_delay_alu instid0(SALU_CYCLE_1)
	v_add_lshl_u32 v1, v0, s0, 2
	s_lshl_b32 s3, s0, 3
	s_lshl_b32 s4, s0, 2
.LBB103_32:                             ; =>This Inner Loop Header: Depth=1
	v_add_co_u32 v6, vcc_lo, s10, v4
	v_add_co_ci_u32_e32 v7, vcc_lo, s11, v5, vcc_lo
	v_add_co_u32 v8, vcc_lo, s6, v4
	v_add_co_ci_u32_e32 v9, vcc_lo, s7, v5, vcc_lo
	v_add_co_u32 v10, vcc_lo, s8, v4
	v_add_co_ci_u32_e32 v11, vcc_lo, s9, v5, vcc_lo
	global_load_b64 v[8:9], v[8:9], off
	global_load_b64 v[12:13], v[6:7], off
	;; [unrolled: 1-line block ×3, first 2 shown]
	v_cmp_le_i64_e32 vcc_lo, s[12:13], v[1:2]
	v_cmp_lt_u64_e64 s0, 0xffff, v[1:2]
	v_add_co_u32 v4, s1, v4, s3
	s_delay_alu instid0(VALU_DEP_1) | instskip(SKIP_1) | instid1(VALU_DEP_4)
	v_add_co_ci_u32_e64 v5, s1, 0, v5, s1
	v_add_co_u32 v1, s1, v1, s4
	s_or_b32 s0, vcc_lo, s0
	v_add_co_ci_u32_e64 v2, s1, 0, v2, s1
	s_and_b32 s0, exec_lo, s0
	s_delay_alu instid0(SALU_CYCLE_1)
	s_or_b32 s2, s0, s2
	s_waitcnt vmcnt(2)
	v_mul_lo_u16 v0, v3, v8
	v_lshrrev_b32_e32 v8, 16, v8
	s_waitcnt vmcnt(1)
	v_lshrrev_b32_e32 v14, 16, v12
	s_waitcnt vmcnt(0)
	v_lshrrev_b32_e32 v15, 16, v10
	v_mul_lo_u16 v16, v3, v9
	v_lshrrev_b32_e32 v9, 16, v9
	v_mul_lo_u16 v8, v3, v8
	v_lshrrev_b32_e32 v17, 16, v13
	v_lshrrev_b32_e32 v18, 16, v11
	v_mad_u16 v0, v0, v10, v12
	v_mul_lo_u16 v9, v3, v9
	v_mad_u16 v8, v8, v15, v14
	v_mad_u16 v10, v16, v11, v13
	s_delay_alu instid0(VALU_DEP_4) | instskip(NEXT) | instid1(VALU_DEP_4)
	v_and_b32_e32 v0, 0xffff, v0
	v_mad_u16 v9, v9, v18, v17
	s_delay_alu instid0(VALU_DEP_4) | instskip(NEXT) | instid1(VALU_DEP_4)
	v_lshlrev_b32_e32 v8, 16, v8
	v_and_b32_e32 v10, 0xffff, v10
	s_delay_alu instid0(VALU_DEP_3) | instskip(NEXT) | instid1(VALU_DEP_3)
	v_lshlrev_b32_e32 v9, 16, v9
	v_or_b32_e32 v0, v8, v0
	s_delay_alu instid0(VALU_DEP_2) | instskip(NEXT) | instid1(VALU_DEP_2)
	v_or3_b32 v9, 0, v10, v9
	v_or3_b32 v8, v0, 0, 0
	global_store_b64 v[6:7], v[8:9], off
	s_and_not1_b32 exec_lo, exec_lo, s2
	s_cbranch_execnz .LBB103_32
.LBB103_33:
	s_nop 0
	s_sendmsg sendmsg(MSG_DEALLOC_VGPRS)
	s_endpgm
	.section	.rodata,"a",@progbits
	.p2align	6, 0x0
	.amdhsa_kernel _ZN2at6native12_GLOBAL__N_125multi_tensor_apply_kernelINS1_28TensorListScalarListMetadataIsLi3EEENS1_28PointwiseOpScalarListFunctorIsLi3ELi3ELi0EEEJSt10multipliesIsEEEEvT_T0_DpT1_
		.amdhsa_group_segment_fixed_size 0
		.amdhsa_private_segment_fixed_size 0
		.amdhsa_kernarg_size 3496
		.amdhsa_user_sgpr_count 15
		.amdhsa_user_sgpr_dispatch_ptr 0
		.amdhsa_user_sgpr_queue_ptr 0
		.amdhsa_user_sgpr_kernarg_segment_ptr 1
		.amdhsa_user_sgpr_dispatch_id 0
		.amdhsa_user_sgpr_private_segment_size 0
		.amdhsa_wavefront_size32 1
		.amdhsa_uses_dynamic_stack 0
		.amdhsa_enable_private_segment 0
		.amdhsa_system_sgpr_workgroup_id_x 1
		.amdhsa_system_sgpr_workgroup_id_y 0
		.amdhsa_system_sgpr_workgroup_id_z 0
		.amdhsa_system_sgpr_workgroup_info 0
		.amdhsa_system_vgpr_workitem_id 0
		.amdhsa_next_free_vgpr 46
		.amdhsa_next_free_sgpr 23
		.amdhsa_reserve_vcc 1
		.amdhsa_float_round_mode_32 0
		.amdhsa_float_round_mode_16_64 0
		.amdhsa_float_denorm_mode_32 3
		.amdhsa_float_denorm_mode_16_64 3
		.amdhsa_dx10_clamp 1
		.amdhsa_ieee_mode 1
		.amdhsa_fp16_overflow 0
		.amdhsa_workgroup_processor_mode 1
		.amdhsa_memory_ordered 1
		.amdhsa_forward_progress 0
		.amdhsa_shared_vgpr_count 0
		.amdhsa_exception_fp_ieee_invalid_op 0
		.amdhsa_exception_fp_denorm_src 0
		.amdhsa_exception_fp_ieee_div_zero 0
		.amdhsa_exception_fp_ieee_overflow 0
		.amdhsa_exception_fp_ieee_underflow 0
		.amdhsa_exception_fp_ieee_inexact 0
		.amdhsa_exception_int_div_zero 0
	.end_amdhsa_kernel
	.section	.text._ZN2at6native12_GLOBAL__N_125multi_tensor_apply_kernelINS1_28TensorListScalarListMetadataIsLi3EEENS1_28PointwiseOpScalarListFunctorIsLi3ELi3ELi0EEEJSt10multipliesIsEEEEvT_T0_DpT1_,"axG",@progbits,_ZN2at6native12_GLOBAL__N_125multi_tensor_apply_kernelINS1_28TensorListScalarListMetadataIsLi3EEENS1_28PointwiseOpScalarListFunctorIsLi3ELi3ELi0EEEJSt10multipliesIsEEEEvT_T0_DpT1_,comdat
.Lfunc_end103:
	.size	_ZN2at6native12_GLOBAL__N_125multi_tensor_apply_kernelINS1_28TensorListScalarListMetadataIsLi3EEENS1_28PointwiseOpScalarListFunctorIsLi3ELi3ELi0EEEJSt10multipliesIsEEEEvT_T0_DpT1_, .Lfunc_end103-_ZN2at6native12_GLOBAL__N_125multi_tensor_apply_kernelINS1_28TensorListScalarListMetadataIsLi3EEENS1_28PointwiseOpScalarListFunctorIsLi3ELi3ELi0EEEJSt10multipliesIsEEEEvT_T0_DpT1_
                                        ; -- End function
	.section	.AMDGPU.csdata,"",@progbits
; Kernel info:
; codeLenInByte = 2100
; NumSgprs: 25
; NumVgprs: 46
; ScratchSize: 0
; MemoryBound: 0
; FloatMode: 240
; IeeeMode: 1
; LDSByteSize: 0 bytes/workgroup (compile time only)
; SGPRBlocks: 3
; VGPRBlocks: 5
; NumSGPRsForWavesPerEU: 25
; NumVGPRsForWavesPerEU: 46
; Occupancy: 16
; WaveLimiterHint : 0
; COMPUTE_PGM_RSRC2:SCRATCH_EN: 0
; COMPUTE_PGM_RSRC2:USER_SGPR: 15
; COMPUTE_PGM_RSRC2:TRAP_HANDLER: 0
; COMPUTE_PGM_RSRC2:TGID_X_EN: 1
; COMPUTE_PGM_RSRC2:TGID_Y_EN: 0
; COMPUTE_PGM_RSRC2:TGID_Z_EN: 0
; COMPUTE_PGM_RSRC2:TIDIG_COMP_CNT: 0
	.section	.text._ZN2at6native12_GLOBAL__N_125multi_tensor_apply_kernelINS1_28TensorListScalarListMetadataIdLi3EEENS1_28PointwiseOpScalarListFunctorIdLi3ELi3ELi0EEEJSt10multipliesIdEEEEvT_T0_DpT1_,"axG",@progbits,_ZN2at6native12_GLOBAL__N_125multi_tensor_apply_kernelINS1_28TensorListScalarListMetadataIdLi3EEENS1_28PointwiseOpScalarListFunctorIdLi3ELi3ELi0EEEJSt10multipliesIdEEEEvT_T0_DpT1_,comdat
	.globl	_ZN2at6native12_GLOBAL__N_125multi_tensor_apply_kernelINS1_28TensorListScalarListMetadataIdLi3EEENS1_28PointwiseOpScalarListFunctorIdLi3ELi3ELi0EEEJSt10multipliesIdEEEEvT_T0_DpT1_ ; -- Begin function _ZN2at6native12_GLOBAL__N_125multi_tensor_apply_kernelINS1_28TensorListScalarListMetadataIdLi3EEENS1_28PointwiseOpScalarListFunctorIdLi3ELi3ELi0EEEJSt10multipliesIdEEEEvT_T0_DpT1_
	.p2align	8
	.type	_ZN2at6native12_GLOBAL__N_125multi_tensor_apply_kernelINS1_28TensorListScalarListMetadataIdLi3EEENS1_28PointwiseOpScalarListFunctorIdLi3ELi3ELi0EEEJSt10multipliesIdEEEEvT_T0_DpT1_,@function
_ZN2at6native12_GLOBAL__N_125multi_tensor_apply_kernelINS1_28TensorListScalarListMetadataIdLi3EEENS1_28PointwiseOpScalarListFunctorIdLi3ELi3ELi0EEEJSt10multipliesIdEEEEvT_T0_DpT1_: ; @_ZN2at6native12_GLOBAL__N_125multi_tensor_apply_kernelINS1_28TensorListScalarListMetadataIdLi3EEENS1_28PointwiseOpScalarListFunctorIdLi3ELi3ELi0EEEJSt10multipliesIdEEEEvT_T0_DpT1_
; %bb.0:
	v_mov_b32_e32 v1, s15
	s_add_u32 s2, s0, s15
	s_mul_hi_u32 s3, s15, 3
	s_mul_i32 s15, s15, 3
	s_addc_u32 s4, s1, 0
	global_load_u8 v1, v1, s[0:1] offset:1920
	s_add_u32 s2, s2, s15
	s_addc_u32 s3, s4, s3
	s_load_b32 s8, s[2:3], 0x8c0
	s_waitcnt lgkmcnt(0)
	s_ashr_i32 s9, s8, 31
	s_delay_alu instid0(SALU_CYCLE_1) | instskip(SKIP_2) | instid1(VALU_DEP_1)
	s_lshl_b64 s[10:11], s[8:9], 19
	s_waitcnt vmcnt(0)
	v_readfirstlane_b32 s5, v1
	s_lshl_b32 s6, s5, 3
	s_clause 0x4
	s_load_b64 s[2:3], s[0:1], s6 offset:0x0
	s_load_b64 s[4:5], s[0:1], s6 offset:0x180
	;; [unrolled: 1-line block ×5, first 2 shown]
	s_waitcnt lgkmcnt(0)
	s_add_u32 s16, s2, s10
	s_addc_u32 s17, s3, s11
	s_and_b32 s22, s16, 31
	s_add_u32 s18, s4, s10
	s_addc_u32 s19, s5, s11
	s_add_u32 s20, s14, s10
	s_addc_u32 s21, s15, s11
	s_or_b32 s23, s20, s18
	s_delay_alu instid0(SALU_CYCLE_1) | instskip(NEXT) | instid1(SALU_CYCLE_1)
	s_and_b32 s23, s23, 31
	s_cmp_eq_u32 s23, 0
	s_mov_b32 s23, 0
	s_cselect_b32 s24, -1, 0
	s_lshl_b64 s[8:9], s[8:9], 16
	s_delay_alu instid0(SALU_CYCLE_1) | instskip(SKIP_3) | instid1(SALU_CYCLE_1)
	s_sub_u32 s8, s12, s8
	s_subb_u32 s9, s13, s9
	s_and_b32 s12, s12, 3
	s_mov_b32 s13, s23
	s_or_b64 s[12:13], s[22:23], s[12:13]
	s_delay_alu instid0(SALU_CYCLE_1) | instskip(SKIP_1) | instid1(SALU_CYCLE_1)
	s_cmp_eq_u64 s[12:13], 0
	s_cselect_b32 s12, -1, 0
	s_and_b32 s12, s24, s12
	s_delay_alu instid0(SALU_CYCLE_1)
	s_and_b32 vcc_lo, exec_lo, s12
	s_mov_b32 s12, -1
	s_cbranch_vccnz .LBB104_45
; %bb.1:
	v_cmp_lt_i64_e64 s12, s[8:9], 1
	s_delay_alu instid0(VALU_DEP_1)
	s_and_b32 vcc_lo, exec_lo, s12
	s_cbranch_vccnz .LBB104_44
; %bb.2:
	s_load_b32 s12, s[0:1], 0xdd4
	v_dual_mov_b32 v2, 0 :: v_dual_lshlrev_b32 v1, 3, v0
	v_cmp_neq_f64_e64 s22, s[6:7], 1.0
	v_cmp_gt_u64_e64 s13, 0x10000, s[8:9]
	s_delay_alu instid0(VALU_DEP_3) | instskip(NEXT) | instid1(VALU_DEP_1)
	v_add_co_u32 v27, s23, s2, v1
	v_add_co_ci_u32_e64 v28, null, s3, 0, s23
	v_add_co_u32 v29, s23, s4, v1
	s_delay_alu instid0(VALU_DEP_1)
	v_add_co_ci_u32_e64 v30, null, s5, 0, s23
	s_waitcnt lgkmcnt(0)
	s_and_b32 s24, s12, 0xffff
	v_add_co_u32 v31, s12, s14, v1
	v_mad_u64_u32 v[3:4], null, s24, 24, v[1:2]
	v_add_co_ci_u32_e64 v32, null, s15, 0, s12
	s_and_b32 s12, s13, exec_lo
	s_cselect_b32 s13, s9, 0
	s_cselect_b32 s12, s8, 0x10000
	s_lshl_b32 s26, s24, 4
	s_delay_alu instid0(VALU_DEP_2) | instskip(NEXT) | instid1(VALU_DEP_3)
	v_add_co_u32 v33, vcc_lo, s2, v3
	v_add_co_ci_u32_e32 v34, vcc_lo, s3, v4, vcc_lo
	v_add_co_u32 v35, vcc_lo, s4, v3
	v_add_co_u32 v1, s26, s26, v1
	v_add_co_ci_u32_e32 v36, vcc_lo, s5, v4, vcc_lo
	s_mul_i32 s25, s24, 3
	v_add_co_u32 v37, vcc_lo, s14, v3
	v_add_co_ci_u32_e64 v2, null, 0, 0, s26
	v_add_co_ci_u32_e32 v38, vcc_lo, s15, v4, vcc_lo
	v_add_co_u32 v39, s25, s25, v0
	v_add_co_u32 v41, vcc_lo, s2, v1
	v_add_co_ci_u32_e64 v40, null, 0, 0, s25
	v_add_co_u32 v45, s25, v0, s24
	v_add_co_ci_u32_e32 v42, vcc_lo, s3, v2, vcc_lo
	v_add_co_u32 v43, vcc_lo, s4, v1
	v_add_co_ci_u32_e32 v44, vcc_lo, s5, v2, vcc_lo
	v_add_co_u32 v46, vcc_lo, s14, v1
	v_lshlrev_b32_e32 v1, 3, v45
	s_lshl_b32 s23, s24, 1
	v_add_co_ci_u32_e32 v47, vcc_lo, s15, v2, vcc_lo
	v_add_co_u32 v49, s23, s23, v0
	s_delay_alu instid0(VALU_DEP_3) | instskip(NEXT) | instid1(VALU_DEP_1)
	v_add_co_u32 v51, s2, s2, v1
	v_add_co_ci_u32_e64 v52, null, s3, 0, s2
	v_add_co_u32 v53, s2, s4, v1
	s_delay_alu instid0(VALU_DEP_1)
	v_add_co_ci_u32_e64 v54, null, s5, 0, s2
	v_add_co_u32 v55, s2, s14, v1
	v_add_co_ci_u32_e64 v48, null, 0, 0, s25
	v_add_co_ci_u32_e64 v50, null, 0, 0, s23
	;; [unrolled: 1-line block ×3, first 2 shown]
	s_lshl_b32 s23, s24, 2
	s_lshl_b32 s24, s24, 5
	s_mov_b64 s[14:15], 0
	s_branch .LBB104_4
.LBB104_3:                              ;   in Loop: Header=BB104_4 Depth=1
	s_or_b32 exec_lo, exec_lo, s2
	v_add_co_u32 v27, vcc_lo, v27, s24
	v_add_co_ci_u32_e32 v28, vcc_lo, 0, v28, vcc_lo
	v_add_co_u32 v29, vcc_lo, v29, s24
	v_add_co_ci_u32_e32 v30, vcc_lo, 0, v30, vcc_lo
	;; [unrolled: 2-line block ×9, first 2 shown]
	s_add_u32 s14, s14, s23
	v_add_co_u32 v51, vcc_lo, v51, s24
	s_addc_u32 s15, s15, 0
	v_add_co_ci_u32_e32 v52, vcc_lo, 0, v52, vcc_lo
	v_cmp_ge_i64_e64 s2, s[14:15], s[8:9]
	v_cmp_lt_u64_e64 s3, 0xffff, s[14:15]
	v_add_co_u32 v53, vcc_lo, v53, s24
	v_add_co_ci_u32_e32 v54, vcc_lo, 0, v54, vcc_lo
	v_add_co_u32 v55, vcc_lo, v55, s24
	v_add_co_ci_u32_e32 v56, vcc_lo, 0, v56, vcc_lo
	s_or_b32 s2, s2, s3
	s_delay_alu instid0(SALU_CYCLE_1)
	s_and_b32 vcc_lo, exec_lo, s2
	s_cbranch_vccnz .LBB104_44
.LBB104_4:                              ; =>This Inner Loop Header: Depth=1
	s_waitcnt vmcnt(1)
	v_add_co_u32 v3, s2, v0, s14
	s_delay_alu instid0(VALU_DEP_1) | instskip(SKIP_3) | instid1(VALU_DEP_3)
	v_add_co_ci_u32_e64 v4, null, 0, s15, s2
	s_waitcnt vmcnt(0)
	v_mov_b32_e32 v1, 0
	v_mov_b32_e32 v2, 0
	v_cmp_gt_u64_e64 s2, s[12:13], v[3:4]
	s_delay_alu instid0(VALU_DEP_2) | instskip(SKIP_1) | instid1(VALU_DEP_3)
	v_dual_mov_b32 v4, v2 :: v_dual_mov_b32 v3, v1
	v_dual_mov_b32 v6, v2 :: v_dual_mov_b32 v5, v1
	s_and_saveexec_b32 s3, s2
	s_cbranch_execz .LBB104_6
; %bb.5:                                ;   in Loop: Header=BB104_4 Depth=1
	v_add_co_u32 v3, vcc_lo, v27, s10
	v_add_co_ci_u32_e32 v4, vcc_lo, s11, v28, vcc_lo
	v_add_co_u32 v5, vcc_lo, v29, s10
	v_add_co_ci_u32_e32 v6, vcc_lo, s11, v30, vcc_lo
	global_load_b64 v[3:4], v[3:4], off
	global_load_b64 v[5:6], v[5:6], off
.LBB104_6:                              ;   in Loop: Header=BB104_4 Depth=1
	s_or_b32 exec_lo, exec_lo, s3
	s_and_saveexec_b32 s3, s2
	s_cbranch_execz .LBB104_8
; %bb.7:                                ;   in Loop: Header=BB104_4 Depth=1
	v_add_co_u32 v1, vcc_lo, v31, s10
	v_add_co_ci_u32_e32 v2, vcc_lo, s11, v32, vcc_lo
	global_load_b64 v[1:2], v[1:2], off
.LBB104_8:                              ;   in Loop: Header=BB104_4 Depth=1
	s_or_b32 exec_lo, exec_lo, s3
	v_add_co_u32 v9, vcc_lo, v45, s14
	v_add_co_ci_u32_e32 v10, vcc_lo, s15, v48, vcc_lo
	v_mov_b32_e32 v7, 0
	v_mov_b32_e32 v8, 0
	s_delay_alu instid0(VALU_DEP_3) | instskip(NEXT) | instid1(VALU_DEP_2)
	v_cmp_gt_u64_e64 s3, s[12:13], v[9:10]
	v_dual_mov_b32 v10, v8 :: v_dual_mov_b32 v9, v7
	v_dual_mov_b32 v12, v8 :: v_dual_mov_b32 v11, v7
	s_delay_alu instid0(VALU_DEP_3)
	s_and_saveexec_b32 s4, s3
	s_cbranch_execz .LBB104_10
; %bb.9:                                ;   in Loop: Header=BB104_4 Depth=1
	v_add_co_u32 v9, vcc_lo, v51, s10
	v_add_co_ci_u32_e32 v10, vcc_lo, s11, v52, vcc_lo
	v_add_co_u32 v11, vcc_lo, v53, s10
	v_add_co_ci_u32_e32 v12, vcc_lo, s11, v54, vcc_lo
	global_load_b64 v[9:10], v[9:10], off
	global_load_b64 v[11:12], v[11:12], off
.LBB104_10:                             ;   in Loop: Header=BB104_4 Depth=1
	s_or_b32 exec_lo, exec_lo, s4
	s_and_saveexec_b32 s4, s3
	s_cbranch_execz .LBB104_12
; %bb.11:                               ;   in Loop: Header=BB104_4 Depth=1
	v_add_co_u32 v7, vcc_lo, v55, s10
	v_add_co_ci_u32_e32 v8, vcc_lo, s11, v56, vcc_lo
	global_load_b64 v[7:8], v[7:8], off
.LBB104_12:                             ;   in Loop: Header=BB104_4 Depth=1
	s_or_b32 exec_lo, exec_lo, s4
	v_add_co_u32 v15, vcc_lo, v49, s14
	v_add_co_ci_u32_e32 v16, vcc_lo, s15, v50, vcc_lo
	v_mov_b32_e32 v13, 0
	v_mov_b32_e32 v14, 0
	s_delay_alu instid0(VALU_DEP_3) | instskip(NEXT) | instid1(VALU_DEP_2)
	v_cmp_gt_u64_e64 s4, s[12:13], v[15:16]
	v_dual_mov_b32 v16, v14 :: v_dual_mov_b32 v15, v13
	v_dual_mov_b32 v18, v14 :: v_dual_mov_b32 v17, v13
	s_delay_alu instid0(VALU_DEP_3)
	s_and_saveexec_b32 s5, s4
	s_cbranch_execz .LBB104_14
; %bb.13:                               ;   in Loop: Header=BB104_4 Depth=1
	v_add_co_u32 v15, vcc_lo, v41, s10
	v_add_co_ci_u32_e32 v16, vcc_lo, s11, v42, vcc_lo
	v_add_co_u32 v17, vcc_lo, v43, s10
	v_add_co_ci_u32_e32 v18, vcc_lo, s11, v44, vcc_lo
	global_load_b64 v[15:16], v[15:16], off
	global_load_b64 v[17:18], v[17:18], off
.LBB104_14:                             ;   in Loop: Header=BB104_4 Depth=1
	s_or_b32 exec_lo, exec_lo, s5
	s_and_saveexec_b32 s5, s4
	s_cbranch_execz .LBB104_16
; %bb.15:                               ;   in Loop: Header=BB104_4 Depth=1
	v_add_co_u32 v13, vcc_lo, v46, s10
	v_add_co_ci_u32_e32 v14, vcc_lo, s11, v47, vcc_lo
	global_load_b64 v[13:14], v[13:14], off
.LBB104_16:                             ;   in Loop: Header=BB104_4 Depth=1
	s_or_b32 exec_lo, exec_lo, s5
	v_add_co_u32 v21, vcc_lo, v39, s14
	v_add_co_ci_u32_e32 v22, vcc_lo, s15, v40, vcc_lo
	v_mov_b32_e32 v19, 0
	v_mov_b32_e32 v20, 0
	s_delay_alu instid0(VALU_DEP_3) | instskip(NEXT) | instid1(VALU_DEP_2)
	v_cmp_gt_u64_e64 s5, s[12:13], v[21:22]
	v_dual_mov_b32 v22, v20 :: v_dual_mov_b32 v21, v19
	v_dual_mov_b32 v24, v20 :: v_dual_mov_b32 v23, v19
	s_delay_alu instid0(VALU_DEP_3)
	s_and_saveexec_b32 s25, s5
	s_cbranch_execnz .LBB104_34
; %bb.17:                               ;   in Loop: Header=BB104_4 Depth=1
	s_or_b32 exec_lo, exec_lo, s25
	s_and_saveexec_b32 s25, s5
	s_cbranch_execnz .LBB104_35
.LBB104_18:                             ;   in Loop: Header=BB104_4 Depth=1
	s_or_b32 exec_lo, exec_lo, s25
	s_delay_alu instid0(SALU_CYCLE_1)
	s_and_b32 vcc_lo, exec_lo, s22
	s_cbranch_vccz .LBB104_36
.LBB104_19:                             ;   in Loop: Header=BB104_4 Depth=1
	s_waitcnt vmcnt(0)
	v_mul_f64 v[25:26], v[5:6], v[1:2]
	s_delay_alu instid0(VALU_DEP_1)
	v_fma_f64 v[25:26], s[6:7], v[25:26], v[3:4]
	s_cbranch_execnz .LBB104_21
.LBB104_20:                             ;   in Loop: Header=BB104_4 Depth=1
	s_waitcnt vmcnt(0)
	v_fma_f64 v[25:26], v[5:6], v[1:2], v[3:4]
.LBB104_21:                             ;   in Loop: Header=BB104_4 Depth=1
	s_and_not1_b32 vcc_lo, exec_lo, s22
	s_cbranch_vccnz .LBB104_41
; %bb.22:                               ;   in Loop: Header=BB104_4 Depth=1
	s_waitcnt vmcnt(0)
	v_mul_f64 v[1:2], v[11:12], v[7:8]
	s_delay_alu instid0(VALU_DEP_1)
	v_fma_f64 v[1:2], s[6:7], v[1:2], v[9:10]
	s_cbranch_execnz .LBB104_24
.LBB104_23:                             ;   in Loop: Header=BB104_4 Depth=1
	s_waitcnt vmcnt(0)
	v_fma_f64 v[1:2], v[11:12], v[7:8], v[9:10]
.LBB104_24:                             ;   in Loop: Header=BB104_4 Depth=1
	s_and_not1_b32 vcc_lo, exec_lo, s22
	s_cbranch_vccnz .LBB104_42
; %bb.25:                               ;   in Loop: Header=BB104_4 Depth=1
	s_waitcnt vmcnt(0)
	v_mul_f64 v[3:4], v[17:18], v[13:14]
	s_delay_alu instid0(VALU_DEP_1)
	v_fma_f64 v[3:4], s[6:7], v[3:4], v[15:16]
	s_cbranch_execnz .LBB104_27
.LBB104_26:                             ;   in Loop: Header=BB104_4 Depth=1
	s_waitcnt vmcnt(0)
	v_fma_f64 v[3:4], v[17:18], v[13:14], v[15:16]
.LBB104_27:                             ;   in Loop: Header=BB104_4 Depth=1
	s_and_not1_b32 vcc_lo, exec_lo, s22
	s_cbranch_vccnz .LBB104_43
; %bb.28:                               ;   in Loop: Header=BB104_4 Depth=1
	s_waitcnt vmcnt(0)
	v_mul_f64 v[5:6], v[23:24], v[19:20]
	s_delay_alu instid0(VALU_DEP_1)
	v_fma_f64 v[5:6], s[6:7], v[5:6], v[21:22]
	s_cbranch_execnz .LBB104_30
.LBB104_29:                             ;   in Loop: Header=BB104_4 Depth=1
	s_waitcnt vmcnt(0)
	v_fma_f64 v[5:6], v[23:24], v[19:20], v[21:22]
.LBB104_30:                             ;   in Loop: Header=BB104_4 Depth=1
	s_and_saveexec_b32 s25, s2
	s_delay_alu instid0(SALU_CYCLE_1)
	s_xor_b32 s2, exec_lo, s25
	s_cbranch_execnz .LBB104_37
; %bb.31:                               ;   in Loop: Header=BB104_4 Depth=1
	s_or_b32 exec_lo, exec_lo, s2
	s_and_saveexec_b32 s2, s3
	s_cbranch_execnz .LBB104_38
.LBB104_32:                             ;   in Loop: Header=BB104_4 Depth=1
	s_or_b32 exec_lo, exec_lo, s2
	s_and_saveexec_b32 s2, s4
	s_cbranch_execnz .LBB104_39
.LBB104_33:                             ;   in Loop: Header=BB104_4 Depth=1
	s_or_b32 exec_lo, exec_lo, s2
	s_and_saveexec_b32 s2, s5
	s_cbranch_execz .LBB104_3
	s_branch .LBB104_40
.LBB104_34:                             ;   in Loop: Header=BB104_4 Depth=1
	v_add_co_u32 v21, vcc_lo, v33, s10
	v_add_co_ci_u32_e32 v22, vcc_lo, s11, v34, vcc_lo
	v_add_co_u32 v23, vcc_lo, v35, s10
	v_add_co_ci_u32_e32 v24, vcc_lo, s11, v36, vcc_lo
	global_load_b64 v[21:22], v[21:22], off
	global_load_b64 v[23:24], v[23:24], off
	s_or_b32 exec_lo, exec_lo, s25
	s_and_saveexec_b32 s25, s5
	s_cbranch_execz .LBB104_18
.LBB104_35:                             ;   in Loop: Header=BB104_4 Depth=1
	v_add_co_u32 v19, vcc_lo, v37, s10
	v_add_co_ci_u32_e32 v20, vcc_lo, s11, v38, vcc_lo
	global_load_b64 v[19:20], v[19:20], off
	s_or_b32 exec_lo, exec_lo, s25
	s_delay_alu instid0(SALU_CYCLE_1)
	s_and_b32 vcc_lo, exec_lo, s22
	s_cbranch_vccnz .LBB104_19
.LBB104_36:                             ;   in Loop: Header=BB104_4 Depth=1
                                        ; implicit-def: $vgpr25_vgpr26
	s_branch .LBB104_20
.LBB104_37:                             ;   in Loop: Header=BB104_4 Depth=1
	s_waitcnt vmcnt(0)
	v_add_co_u32 v7, vcc_lo, v27, s10
	v_add_co_ci_u32_e32 v8, vcc_lo, s11, v28, vcc_lo
	global_store_b64 v[7:8], v[25:26], off
	s_or_b32 exec_lo, exec_lo, s2
	s_and_saveexec_b32 s2, s3
	s_cbranch_execz .LBB104_32
.LBB104_38:                             ;   in Loop: Header=BB104_4 Depth=1
	s_waitcnt vmcnt(0)
	v_add_co_u32 v7, vcc_lo, v51, s10
	v_add_co_ci_u32_e32 v8, vcc_lo, s11, v52, vcc_lo
	global_store_b64 v[7:8], v[1:2], off
	s_or_b32 exec_lo, exec_lo, s2
	s_and_saveexec_b32 s2, s4
	s_cbranch_execz .LBB104_33
.LBB104_39:                             ;   in Loop: Header=BB104_4 Depth=1
	s_waitcnt vmcnt(0)
	v_add_co_u32 v1, vcc_lo, v41, s10
	v_add_co_ci_u32_e32 v2, vcc_lo, s11, v42, vcc_lo
	global_store_b64 v[1:2], v[3:4], off
	s_or_b32 exec_lo, exec_lo, s2
	s_and_saveexec_b32 s2, s5
	s_cbranch_execz .LBB104_3
.LBB104_40:                             ;   in Loop: Header=BB104_4 Depth=1
	s_waitcnt vmcnt(0)
	v_add_co_u32 v1, vcc_lo, v33, s10
	v_add_co_ci_u32_e32 v2, vcc_lo, s11, v34, vcc_lo
	global_store_b64 v[1:2], v[5:6], off
	s_branch .LBB104_3
.LBB104_41:                             ;   in Loop: Header=BB104_4 Depth=1
                                        ; implicit-def: $vgpr1_vgpr2
	s_branch .LBB104_23
.LBB104_42:                             ;   in Loop: Header=BB104_4 Depth=1
                                        ; implicit-def: $vgpr3_vgpr4
	s_branch .LBB104_26
.LBB104_43:                             ;   in Loop: Header=BB104_4 Depth=1
                                        ; implicit-def: $vgpr5_vgpr6
	s_branch .LBB104_29
.LBB104_44:
	s_mov_b32 s12, 0
.LBB104_45:
	s_delay_alu instid0(SALU_CYCLE_1)
	s_and_not1_b32 vcc_lo, exec_lo, s12
	s_cbranch_vccnz .LBB104_65
; %bb.46:
	v_dual_mov_b32 v29, 0 :: v_dual_lshlrev_b32 v28, 2, v0
	s_mov_b32 s2, 0
	s_mov_b32 s3, exec_lo
	s_delay_alu instid0(VALU_DEP_1)
	v_cmpx_gt_i64_e64 s[8:9], v[28:29]
	s_cbranch_execz .LBB104_65
; %bb.47:
	s_load_b32 s0, s[0:1], 0xdd4
	v_cmp_neq_f64_e64 s1, s[6:7], 1.0
	v_lshlrev_b32_e32 v32, 5, v0
	s_waitcnt lgkmcnt(0)
	s_and_b32 s0, s0, 0xffff
	s_delay_alu instid0(SALU_CYCLE_1)
	v_add_lshl_u32 v28, v0, s0, 2
	s_lshl_b32 s3, s0, 2
	s_lshl_b32 s4, s0, 5
	s_branch .LBB104_49
.LBB104_48:                             ;   in Loop: Header=BB104_49 Depth=1
	v_cmp_le_i64_e32 vcc_lo, s[8:9], v[28:29]
	v_cmp_lt_u64_e64 s0, 0xffff, v[28:29]
	global_store_b128 v[30:31], v[0:3], off
	s_waitcnt vmcnt(4)
	global_store_b128 v[30:31], v[16:19], off offset:16
	s_or_b32 s0, vcc_lo, s0
	s_add_u32 s16, s16, s4
	s_addc_u32 s17, s17, 0
	s_add_u32 s20, s20, s4
	v_add_co_u32 v28, vcc_lo, v28, s3
	s_addc_u32 s21, s21, 0
	s_add_u32 s18, s18, s4
	v_add_co_ci_u32_e32 v29, vcc_lo, 0, v29, vcc_lo
	s_addc_u32 s19, s19, 0
	s_and_b32 s0, exec_lo, s0
	s_delay_alu instid0(SALU_CYCLE_1) | instskip(NEXT) | instid1(SALU_CYCLE_1)
	s_or_b32 s2, s0, s2
	s_and_not1_b32 exec_lo, exec_lo, s2
	s_cbranch_execz .LBB104_65
.LBB104_49:                             ; =>This Inner Loop Header: Depth=1
	v_add_co_u32 v30, s0, s16, v32
	s_delay_alu instid0(VALU_DEP_1) | instskip(SKIP_4) | instid1(VALU_DEP_1)
	v_add_co_ci_u32_e64 v31, null, s17, 0, s0
	v_add_co_u32 v0, s0, s18, v32
	s_waitcnt vmcnt(0)
	v_add_co_ci_u32_e64 v1, null, s19, 0, s0
	v_add_co_u32 v2, s0, s20, v32
	v_add_co_ci_u32_e64 v3, null, s21, 0, s0
	s_clause 0x1
	global_load_b128 v[4:7], v[30:31], off offset:16
	global_load_b128 v[16:19], v[30:31], off
	s_clause 0x1
	global_load_b128 v[8:11], v[0:1], off offset:16
	global_load_b128 v[20:23], v[0:1], off
	;; [unrolled: 3-line block ×3, first 2 shown]
	s_and_b32 vcc_lo, exec_lo, s1
	s_cbranch_vccz .LBB104_60
; %bb.50:                               ;   in Loop: Header=BB104_49 Depth=1
	s_waitcnt vmcnt(0)
	v_mul_f64 v[0:1], v[20:21], v[24:25]
	s_delay_alu instid0(VALU_DEP_1)
	v_fma_f64 v[0:1], s[6:7], v[0:1], v[16:17]
	s_cbranch_execnz .LBB104_52
.LBB104_51:                             ;   in Loop: Header=BB104_49 Depth=1
	s_waitcnt vmcnt(0)
	v_fma_f64 v[0:1], v[20:21], v[24:25], v[16:17]
.LBB104_52:                             ;   in Loop: Header=BB104_49 Depth=1
	s_and_not1_b32 vcc_lo, exec_lo, s1
	s_cbranch_vccnz .LBB104_61
; %bb.53:                               ;   in Loop: Header=BB104_49 Depth=1
	s_waitcnt vmcnt(0)
	v_mul_f64 v[2:3], v[22:23], v[26:27]
	s_delay_alu instid0(VALU_DEP_1)
	v_fma_f64 v[2:3], s[6:7], v[2:3], v[18:19]
	s_cbranch_execnz .LBB104_55
.LBB104_54:                             ;   in Loop: Header=BB104_49 Depth=1
	s_waitcnt vmcnt(0)
	v_fma_f64 v[2:3], v[22:23], v[26:27], v[18:19]
.LBB104_55:                             ;   in Loop: Header=BB104_49 Depth=1
	s_and_not1_b32 vcc_lo, exec_lo, s1
	s_cbranch_vccnz .LBB104_62
; %bb.56:                               ;   in Loop: Header=BB104_49 Depth=1
	s_waitcnt vmcnt(1)
	v_mul_f64 v[16:17], v[8:9], v[12:13]
	s_delay_alu instid0(VALU_DEP_1)
	v_fma_f64 v[16:17], s[6:7], v[16:17], v[4:5]
	s_cbranch_execnz .LBB104_58
.LBB104_57:                             ;   in Loop: Header=BB104_49 Depth=1
	s_waitcnt vmcnt(1)
	v_fma_f64 v[16:17], v[8:9], v[12:13], v[4:5]
.LBB104_58:                             ;   in Loop: Header=BB104_49 Depth=1
	s_and_not1_b32 vcc_lo, exec_lo, s1
	s_cbranch_vccnz .LBB104_63
; %bb.59:                               ;   in Loop: Header=BB104_49 Depth=1
	s_waitcnt vmcnt(1)
	v_mul_f64 v[4:5], v[10:11], v[14:15]
	s_delay_alu instid0(VALU_DEP_1)
	v_fma_f64 v[18:19], s[6:7], v[4:5], v[6:7]
	s_cbranch_execnz .LBB104_48
	s_branch .LBB104_64
.LBB104_60:                             ;   in Loop: Header=BB104_49 Depth=1
                                        ; implicit-def: $vgpr0_vgpr1
	s_branch .LBB104_51
.LBB104_61:                             ;   in Loop: Header=BB104_49 Depth=1
	s_branch .LBB104_54
.LBB104_62:                             ;   in Loop: Header=BB104_49 Depth=1
                                        ; implicit-def: $vgpr16_vgpr17
	s_branch .LBB104_57
.LBB104_63:                             ;   in Loop: Header=BB104_49 Depth=1
.LBB104_64:                             ;   in Loop: Header=BB104_49 Depth=1
	s_waitcnt vmcnt(1)
	v_fma_f64 v[18:19], v[10:11], v[14:15], v[6:7]
	s_branch .LBB104_48
.LBB104_65:
	s_nop 0
	s_sendmsg sendmsg(MSG_DEALLOC_VGPRS)
	s_endpgm
	.section	.rodata,"a",@progbits
	.p2align	6, 0x0
	.amdhsa_kernel _ZN2at6native12_GLOBAL__N_125multi_tensor_apply_kernelINS1_28TensorListScalarListMetadataIdLi3EEENS1_28PointwiseOpScalarListFunctorIdLi3ELi3ELi0EEEJSt10multipliesIdEEEEvT_T0_DpT1_
		.amdhsa_group_segment_fixed_size 0
		.amdhsa_private_segment_fixed_size 0
		.amdhsa_kernarg_size 3784
		.amdhsa_user_sgpr_count 15
		.amdhsa_user_sgpr_dispatch_ptr 0
		.amdhsa_user_sgpr_queue_ptr 0
		.amdhsa_user_sgpr_kernarg_segment_ptr 1
		.amdhsa_user_sgpr_dispatch_id 0
		.amdhsa_user_sgpr_private_segment_size 0
		.amdhsa_wavefront_size32 1
		.amdhsa_uses_dynamic_stack 0
		.amdhsa_enable_private_segment 0
		.amdhsa_system_sgpr_workgroup_id_x 1
		.amdhsa_system_sgpr_workgroup_id_y 0
		.amdhsa_system_sgpr_workgroup_id_z 0
		.amdhsa_system_sgpr_workgroup_info 0
		.amdhsa_system_vgpr_workitem_id 0
		.amdhsa_next_free_vgpr 57
		.amdhsa_next_free_sgpr 27
		.amdhsa_reserve_vcc 1
		.amdhsa_float_round_mode_32 0
		.amdhsa_float_round_mode_16_64 0
		.amdhsa_float_denorm_mode_32 3
		.amdhsa_float_denorm_mode_16_64 3
		.amdhsa_dx10_clamp 1
		.amdhsa_ieee_mode 1
		.amdhsa_fp16_overflow 0
		.amdhsa_workgroup_processor_mode 1
		.amdhsa_memory_ordered 1
		.amdhsa_forward_progress 0
		.amdhsa_shared_vgpr_count 0
		.amdhsa_exception_fp_ieee_invalid_op 0
		.amdhsa_exception_fp_denorm_src 0
		.amdhsa_exception_fp_ieee_div_zero 0
		.amdhsa_exception_fp_ieee_overflow 0
		.amdhsa_exception_fp_ieee_underflow 0
		.amdhsa_exception_fp_ieee_inexact 0
		.amdhsa_exception_int_div_zero 0
	.end_amdhsa_kernel
	.section	.text._ZN2at6native12_GLOBAL__N_125multi_tensor_apply_kernelINS1_28TensorListScalarListMetadataIdLi3EEENS1_28PointwiseOpScalarListFunctorIdLi3ELi3ELi0EEEJSt10multipliesIdEEEEvT_T0_DpT1_,"axG",@progbits,_ZN2at6native12_GLOBAL__N_125multi_tensor_apply_kernelINS1_28TensorListScalarListMetadataIdLi3EEENS1_28PointwiseOpScalarListFunctorIdLi3ELi3ELi0EEEJSt10multipliesIdEEEEvT_T0_DpT1_,comdat
.Lfunc_end104:
	.size	_ZN2at6native12_GLOBAL__N_125multi_tensor_apply_kernelINS1_28TensorListScalarListMetadataIdLi3EEENS1_28PointwiseOpScalarListFunctorIdLi3ELi3ELi0EEEJSt10multipliesIdEEEEvT_T0_DpT1_, .Lfunc_end104-_ZN2at6native12_GLOBAL__N_125multi_tensor_apply_kernelINS1_28TensorListScalarListMetadataIdLi3EEENS1_28PointwiseOpScalarListFunctorIdLi3ELi3ELi0EEEJSt10multipliesIdEEEEvT_T0_DpT1_
                                        ; -- End function
	.section	.AMDGPU.csdata,"",@progbits
; Kernel info:
; codeLenInByte = 2328
; NumSgprs: 29
; NumVgprs: 57
; ScratchSize: 0
; MemoryBound: 1
; FloatMode: 240
; IeeeMode: 1
; LDSByteSize: 0 bytes/workgroup (compile time only)
; SGPRBlocks: 3
; VGPRBlocks: 7
; NumSGPRsForWavesPerEU: 29
; NumVGPRsForWavesPerEU: 57
; Occupancy: 16
; WaveLimiterHint : 1
; COMPUTE_PGM_RSRC2:SCRATCH_EN: 0
; COMPUTE_PGM_RSRC2:USER_SGPR: 15
; COMPUTE_PGM_RSRC2:TRAP_HANDLER: 0
; COMPUTE_PGM_RSRC2:TGID_X_EN: 1
; COMPUTE_PGM_RSRC2:TGID_Y_EN: 0
; COMPUTE_PGM_RSRC2:TGID_Z_EN: 0
; COMPUTE_PGM_RSRC2:TIDIG_COMP_CNT: 0
	.section	.text._ZN2at6native12_GLOBAL__N_125multi_tensor_apply_kernelINS1_28TensorListScalarListMetadataIfLi3EEENS1_28PointwiseOpScalarListFunctorIfLi3ELi3ELi0EEEJSt10multipliesIfEEEEvT_T0_DpT1_,"axG",@progbits,_ZN2at6native12_GLOBAL__N_125multi_tensor_apply_kernelINS1_28TensorListScalarListMetadataIfLi3EEENS1_28PointwiseOpScalarListFunctorIfLi3ELi3ELi0EEEJSt10multipliesIfEEEEvT_T0_DpT1_,comdat
	.globl	_ZN2at6native12_GLOBAL__N_125multi_tensor_apply_kernelINS1_28TensorListScalarListMetadataIfLi3EEENS1_28PointwiseOpScalarListFunctorIfLi3ELi3ELi0EEEJSt10multipliesIfEEEEvT_T0_DpT1_ ; -- Begin function _ZN2at6native12_GLOBAL__N_125multi_tensor_apply_kernelINS1_28TensorListScalarListMetadataIfLi3EEENS1_28PointwiseOpScalarListFunctorIfLi3ELi3ELi0EEEJSt10multipliesIfEEEEvT_T0_DpT1_
	.p2align	8
	.type	_ZN2at6native12_GLOBAL__N_125multi_tensor_apply_kernelINS1_28TensorListScalarListMetadataIfLi3EEENS1_28PointwiseOpScalarListFunctorIfLi3ELi3ELi0EEEJSt10multipliesIfEEEEvT_T0_DpT1_,@function
_ZN2at6native12_GLOBAL__N_125multi_tensor_apply_kernelINS1_28TensorListScalarListMetadataIfLi3EEENS1_28PointwiseOpScalarListFunctorIfLi3ELi3ELi0EEEJSt10multipliesIfEEEEvT_T0_DpT1_: ; @_ZN2at6native12_GLOBAL__N_125multi_tensor_apply_kernelINS1_28TensorListScalarListMetadataIfLi3EEENS1_28PointwiseOpScalarListFunctorIfLi3ELi3ELi0EEEJSt10multipliesIfEEEEvT_T0_DpT1_
; %bb.0:
	v_mov_b32_e32 v1, s15
	s_add_u32 s2, s0, s15
	s_mul_i32 s3, s15, 3
	s_mul_hi_u32 s4, s15, 3
	s_addc_u32 s5, s1, 0
	global_load_u8 v1, v1, s[0:1] offset:1728
	s_add_u32 s2, s2, s3
	s_addc_u32 s3, s5, s4
	s_load_b32 s6, s[2:3], 0x800
	s_waitcnt lgkmcnt(0)
	s_ashr_i32 s7, s6, 31
	s_waitcnt vmcnt(0)
	v_readfirstlane_b32 s2, v1
	v_lshlrev_b32_e32 v1, 2, v1
	s_delay_alu instid0(VALU_DEP_2)
	s_lshl_b32 s8, s2, 3
	s_clause 0x2
	s_load_b64 s[2:3], s[0:1], s8 offset:0x0
	s_load_b64 s[4:5], s[0:1], s8 offset:0x180
	;; [unrolled: 1-line block ×3, first 2 shown]
	s_add_u32 s9, s0, s8
	s_addc_u32 s10, s1, 0
	v_sub_co_u32 v1, s9, s9, v1
	s_delay_alu instid0(VALU_DEP_1) | instskip(SKIP_1) | instid1(VALU_DEP_2)
	v_sub_co_ci_u32_e64 v2, null, s10, 0, s9
	s_load_b64 s[10:11], s[0:1], s8 offset:0x480
	v_readfirstlane_b32 s20, v1
	s_delay_alu instid0(VALU_DEP_2)
	v_readfirstlane_b32 s21, v2
	s_load_b32 s20, s[20:21], 0x600
	s_lshl_b64 s[8:9], s[6:7], 18
	s_waitcnt lgkmcnt(0)
	s_add_u32 s14, s2, s8
	s_addc_u32 s15, s3, s9
	s_and_b32 s22, s14, 15
	s_add_u32 s16, s4, s8
	s_addc_u32 s17, s5, s9
	s_add_u32 s18, s12, s8
	s_addc_u32 s19, s13, s9
	s_or_b32 s23, s18, s16
	s_delay_alu instid0(SALU_CYCLE_1) | instskip(NEXT) | instid1(SALU_CYCLE_1)
	s_and_b32 s23, s23, 15
	s_cmp_eq_u32 s23, 0
	s_cselect_b32 s21, -1, 0
	s_lshl_b64 s[6:7], s[6:7], 16
	s_delay_alu instid0(SALU_CYCLE_1) | instskip(SKIP_4) | instid1(SALU_CYCLE_1)
	s_sub_u32 s6, s10, s6
	s_subb_u32 s7, s11, s7
	s_and_b32 s10, s10, 3
	s_mov_b32 s11, 0
	s_or_b32 s10, s22, s10
	s_cmp_eq_u64 s[10:11], 0
	s_cselect_b32 s10, -1, 0
	s_delay_alu instid0(SALU_CYCLE_1) | instskip(NEXT) | instid1(SALU_CYCLE_1)
	s_and_b32 s10, s21, s10
	s_and_b32 vcc_lo, exec_lo, s10
	s_mov_b32 s10, -1
	s_cbranch_vccnz .LBB105_45
; %bb.1:
	v_cmp_lt_i64_e64 s10, s[6:7], 1
	s_delay_alu instid0(VALU_DEP_1)
	s_and_b32 vcc_lo, exec_lo, s10
	s_cbranch_vccnz .LBB105_44
; %bb.2:
	s_load_b32 s10, s[0:1], 0xd14
	v_dual_mov_b32 v14, 0 :: v_dual_lshlrev_b32 v13, 2, v0
	v_cmp_gt_u64_e64 s11, 0x10000, s[6:7]
	v_cmp_neq_f32_e64 s21, s20, 1.0
	s_delay_alu instid0(VALU_DEP_3) | instskip(NEXT) | instid1(VALU_DEP_1)
	v_add_co_u32 v1, s22, s2, v13
	v_add_co_ci_u32_e64 v2, null, s3, 0, s22
	v_add_co_u32 v3, s22, s4, v13
	s_delay_alu instid0(VALU_DEP_1)
	v_add_co_ci_u32_e64 v4, null, s5, 0, s22
	s_waitcnt lgkmcnt(0)
	s_and_b32 s23, s10, 0xffff
	v_add_co_u32 v5, s10, s12, v13
	v_mad_u64_u32 v[11:12], null, s23, 12, v[13:14]
	v_add_co_ci_u32_e64 v6, null, s13, 0, s10
	s_and_b32 s10, s11, exec_lo
	s_cselect_b32 s11, s7, 0
	s_cselect_b32 s10, s6, 0x10000
	s_mul_i32 s24, s23, 3
	s_lshl_b32 s25, s23, 3
	s_delay_alu instid0(VALU_DEP_2) | instskip(SKIP_2) | instid1(VALU_DEP_1)
	v_add_co_u32 v7, vcc_lo, s2, v11
	v_add_co_u32 v20, s25, s25, v13
	v_add_co_u32 v13, s24, s24, v0
	v_add_co_ci_u32_e64 v14, null, 0, 0, s24
	v_add_co_u32 v19, s24, v0, s23
	v_add_co_ci_u32_e32 v8, vcc_lo, s3, v12, vcc_lo
	v_add_co_u32 v9, vcc_lo, s4, v11
	v_add_co_ci_u32_e32 v10, vcc_lo, s5, v12, vcc_lo
	v_add_co_u32 v11, vcc_lo, s12, v11
	v_add_co_ci_u32_e64 v21, null, 0, 0, s25
	v_lshlrev_b32_e32 v29, 2, v19
	v_add_co_ci_u32_e32 v12, vcc_lo, s13, v12, vcc_lo
	v_add_co_u32 v15, vcc_lo, s2, v20
	s_delay_alu instid0(VALU_DEP_4) | instskip(NEXT) | instid1(VALU_DEP_4)
	v_add_co_ci_u32_e32 v16, vcc_lo, s3, v21, vcc_lo
	v_add_co_u32 v25, s2, s2, v29
	v_add_co_u32 v17, vcc_lo, s4, v20
	s_lshl_b32 s22, s23, 1
	v_add_co_ci_u32_e64 v26, null, s3, 0, s2
	v_add_co_u32 v27, s2, s4, v29
	v_add_co_ci_u32_e32 v18, vcc_lo, s5, v21, vcc_lo
	v_add_co_u32 v20, vcc_lo, s12, v20
	v_add_co_u32 v23, s22, s22, v0
	v_add_co_ci_u32_e64 v28, null, s5, 0, s2
	v_add_co_u32 v29, s2, s12, v29
	v_add_co_ci_u32_e32 v21, vcc_lo, s13, v21, vcc_lo
	v_add_co_ci_u32_e64 v22, null, 0, 0, s24
	v_add_co_ci_u32_e64 v24, null, 0, 0, s22
	;; [unrolled: 1-line block ×3, first 2 shown]
	s_lshl_b32 s22, s23, 2
	s_lshl_b32 s23, s23, 4
	s_mov_b64 s[12:13], 0
	s_branch .LBB105_4
.LBB105_3:                              ;   in Loop: Header=BB105_4 Depth=1
	s_or_b32 exec_lo, exec_lo, s2
	v_add_co_u32 v1, vcc_lo, v1, s23
	v_add_co_ci_u32_e32 v2, vcc_lo, 0, v2, vcc_lo
	v_add_co_u32 v3, vcc_lo, v3, s23
	v_add_co_ci_u32_e32 v4, vcc_lo, 0, v4, vcc_lo
	;; [unrolled: 2-line block ×9, first 2 shown]
	s_add_u32 s12, s12, s22
	v_add_co_u32 v25, vcc_lo, v25, s23
	s_addc_u32 s13, s13, 0
	v_add_co_ci_u32_e32 v26, vcc_lo, 0, v26, vcc_lo
	v_cmp_ge_i64_e64 s2, s[12:13], s[6:7]
	v_cmp_lt_u64_e64 s3, 0xffff, s[12:13]
	v_add_co_u32 v27, vcc_lo, v27, s23
	v_add_co_ci_u32_e32 v28, vcc_lo, 0, v28, vcc_lo
	v_add_co_u32 v29, vcc_lo, v29, s23
	v_add_co_ci_u32_e32 v30, vcc_lo, 0, v30, vcc_lo
	s_or_b32 s2, s2, s3
	s_delay_alu instid0(SALU_CYCLE_1)
	s_and_b32 vcc_lo, exec_lo, s2
	s_cbranch_vccnz .LBB105_44
.LBB105_4:                              ; =>This Inner Loop Header: Depth=1
	s_waitcnt vmcnt(1)
	v_add_co_u32 v31, s2, v0, s12
	s_delay_alu instid0(VALU_DEP_1) | instskip(SKIP_2) | instid1(VALU_DEP_2)
	v_add_co_ci_u32_e64 v32, null, 0, s13, s2
	s_waitcnt vmcnt(0)
	v_mov_b32_e32 v33, 0
	v_cmp_gt_u64_e64 s2, s[10:11], v[31:32]
	v_mov_b32_e32 v32, 0
	s_delay_alu instid0(VALU_DEP_2)
	s_and_saveexec_b32 s3, s2
	s_cbranch_execz .LBB105_6
; %bb.5:                                ;   in Loop: Header=BB105_4 Depth=1
	v_add_co_u32 v31, vcc_lo, v1, s8
	v_add_co_ci_u32_e32 v32, vcc_lo, s9, v2, vcc_lo
	v_add_co_u32 v33, vcc_lo, v3, s8
	v_add_co_ci_u32_e32 v34, vcc_lo, s9, v4, vcc_lo
	global_load_b32 v32, v[31:32], off
	global_load_b32 v33, v[33:34], off
.LBB105_6:                              ;   in Loop: Header=BB105_4 Depth=1
	s_or_b32 exec_lo, exec_lo, s3
	v_dual_mov_b32 v31, 0 :: v_dual_mov_b32 v36, 0
	s_and_saveexec_b32 s3, s2
	s_cbranch_execz .LBB105_8
; %bb.7:                                ;   in Loop: Header=BB105_4 Depth=1
	v_add_co_u32 v34, vcc_lo, v5, s8
	v_add_co_ci_u32_e32 v35, vcc_lo, s9, v6, vcc_lo
	global_load_b32 v36, v[34:35], off
.LBB105_8:                              ;   in Loop: Header=BB105_4 Depth=1
	s_or_b32 exec_lo, exec_lo, s3
	v_add_co_u32 v34, vcc_lo, v19, s12
	v_add_co_ci_u32_e32 v35, vcc_lo, s13, v22, vcc_lo
	s_delay_alu instid0(VALU_DEP_1) | instskip(SKIP_1) | instid1(VALU_DEP_2)
	v_cmp_gt_u64_e64 s3, s[10:11], v[34:35]
	v_mov_b32_e32 v35, 0
	s_and_saveexec_b32 s4, s3
	s_cbranch_execz .LBB105_10
; %bb.9:                                ;   in Loop: Header=BB105_4 Depth=1
	v_add_co_u32 v34, vcc_lo, v25, s8
	v_add_co_ci_u32_e32 v35, vcc_lo, s9, v26, vcc_lo
	v_add_co_u32 v37, vcc_lo, v27, s8
	v_add_co_ci_u32_e32 v38, vcc_lo, s9, v28, vcc_lo
	global_load_b32 v31, v[34:35], off
	global_load_b32 v35, v[37:38], off
.LBB105_10:                             ;   in Loop: Header=BB105_4 Depth=1
	s_or_b32 exec_lo, exec_lo, s4
	v_dual_mov_b32 v34, 0 :: v_dual_mov_b32 v39, 0
	s_and_saveexec_b32 s4, s3
	s_cbranch_execz .LBB105_12
; %bb.11:                               ;   in Loop: Header=BB105_4 Depth=1
	v_add_co_u32 v37, vcc_lo, v29, s8
	v_add_co_ci_u32_e32 v38, vcc_lo, s9, v30, vcc_lo
	global_load_b32 v39, v[37:38], off
.LBB105_12:                             ;   in Loop: Header=BB105_4 Depth=1
	s_or_b32 exec_lo, exec_lo, s4
	v_add_co_u32 v37, vcc_lo, v23, s12
	v_add_co_ci_u32_e32 v38, vcc_lo, s13, v24, vcc_lo
	s_delay_alu instid0(VALU_DEP_1) | instskip(SKIP_1) | instid1(VALU_DEP_2)
	v_cmp_gt_u64_e64 s4, s[10:11], v[37:38]
	v_mov_b32_e32 v38, 0
	s_and_saveexec_b32 s5, s4
	s_cbranch_execz .LBB105_14
; %bb.13:                               ;   in Loop: Header=BB105_4 Depth=1
	v_add_co_u32 v37, vcc_lo, v15, s8
	v_add_co_ci_u32_e32 v38, vcc_lo, s9, v16, vcc_lo
	v_add_co_u32 v40, vcc_lo, v17, s8
	v_add_co_ci_u32_e32 v41, vcc_lo, s9, v18, vcc_lo
	global_load_b32 v34, v[37:38], off
	global_load_b32 v38, v[40:41], off
.LBB105_14:                             ;   in Loop: Header=BB105_4 Depth=1
	s_or_b32 exec_lo, exec_lo, s5
	v_mov_b32_e32 v37, 0
	v_mov_b32_e32 v41, 0
	s_and_saveexec_b32 s5, s4
	s_cbranch_execz .LBB105_16
; %bb.15:                               ;   in Loop: Header=BB105_4 Depth=1
	v_add_co_u32 v40, vcc_lo, v20, s8
	v_add_co_ci_u32_e32 v41, vcc_lo, s9, v21, vcc_lo
	global_load_b32 v41, v[40:41], off
.LBB105_16:                             ;   in Loop: Header=BB105_4 Depth=1
	s_or_b32 exec_lo, exec_lo, s5
	v_add_co_u32 v42, vcc_lo, v13, s12
	v_add_co_ci_u32_e32 v43, vcc_lo, s13, v14, vcc_lo
	v_mov_b32_e32 v40, 0
	s_delay_alu instid0(VALU_DEP_2) | instskip(NEXT) | instid1(VALU_DEP_1)
	v_cmp_gt_u64_e64 s5, s[10:11], v[42:43]
	s_and_saveexec_b32 s24, s5
	s_cbranch_execnz .LBB105_34
; %bb.17:                               ;   in Loop: Header=BB105_4 Depth=1
	s_or_b32 exec_lo, exec_lo, s24
	v_mov_b32_e32 v42, 0
	s_and_saveexec_b32 s24, s5
	s_cbranch_execnz .LBB105_35
.LBB105_18:                             ;   in Loop: Header=BB105_4 Depth=1
	s_or_b32 exec_lo, exec_lo, s24
	s_delay_alu instid0(SALU_CYCLE_1)
	s_and_b32 vcc_lo, exec_lo, s21
	s_cbranch_vccz .LBB105_36
.LBB105_19:                             ;   in Loop: Header=BB105_4 Depth=1
	s_waitcnt vmcnt(0)
	v_mul_f32_e32 v43, v33, v36
	s_delay_alu instid0(VALU_DEP_1)
	v_fma_f32 v43, s20, v43, v32
	s_cbranch_execnz .LBB105_21
.LBB105_20:                             ;   in Loop: Header=BB105_4 Depth=1
	s_waitcnt vmcnt(0)
	v_fmac_f32_e32 v32, v33, v36
	s_delay_alu instid0(VALU_DEP_1)
	v_mov_b32_e32 v43, v32
.LBB105_21:                             ;   in Loop: Header=BB105_4 Depth=1
	s_and_not1_b32 vcc_lo, exec_lo, s21
	s_cbranch_vccnz .LBB105_41
; %bb.22:                               ;   in Loop: Header=BB105_4 Depth=1
	s_waitcnt vmcnt(0)
	v_mul_f32_e32 v32, v35, v39
	s_delay_alu instid0(VALU_DEP_1)
	v_fma_f32 v32, s20, v32, v31
	s_cbranch_execnz .LBB105_24
.LBB105_23:                             ;   in Loop: Header=BB105_4 Depth=1
	s_waitcnt vmcnt(0)
	v_fmac_f32_e32 v31, v35, v39
	s_delay_alu instid0(VALU_DEP_1)
	v_mov_b32_e32 v32, v31
.LBB105_24:                             ;   in Loop: Header=BB105_4 Depth=1
	s_and_not1_b32 vcc_lo, exec_lo, s21
	s_cbranch_vccnz .LBB105_42
; %bb.25:                               ;   in Loop: Header=BB105_4 Depth=1
	s_waitcnt vmcnt(0)
	v_mul_f32_e32 v31, v38, v41
	s_delay_alu instid0(VALU_DEP_1)
	v_fma_f32 v31, s20, v31, v34
	s_cbranch_execnz .LBB105_27
.LBB105_26:                             ;   in Loop: Header=BB105_4 Depth=1
	s_waitcnt vmcnt(0)
	v_fmac_f32_e32 v34, v38, v41
	s_delay_alu instid0(VALU_DEP_1)
	v_mov_b32_e32 v31, v34
.LBB105_27:                             ;   in Loop: Header=BB105_4 Depth=1
	s_and_not1_b32 vcc_lo, exec_lo, s21
	s_cbranch_vccnz .LBB105_43
; %bb.28:                               ;   in Loop: Header=BB105_4 Depth=1
	s_waitcnt vmcnt(0)
	v_mul_f32_e32 v33, v40, v42
	s_delay_alu instid0(VALU_DEP_1)
	v_fma_f32 v33, s20, v33, v37
	s_cbranch_execnz .LBB105_30
.LBB105_29:                             ;   in Loop: Header=BB105_4 Depth=1
	s_waitcnt vmcnt(0)
	v_fmac_f32_e32 v37, v40, v42
	s_delay_alu instid0(VALU_DEP_1)
	v_mov_b32_e32 v33, v37
.LBB105_30:                             ;   in Loop: Header=BB105_4 Depth=1
	s_and_saveexec_b32 s24, s2
	s_delay_alu instid0(SALU_CYCLE_1)
	s_xor_b32 s2, exec_lo, s24
	s_cbranch_execnz .LBB105_37
; %bb.31:                               ;   in Loop: Header=BB105_4 Depth=1
	s_or_b32 exec_lo, exec_lo, s2
	s_and_saveexec_b32 s2, s3
	s_cbranch_execnz .LBB105_38
.LBB105_32:                             ;   in Loop: Header=BB105_4 Depth=1
	s_or_b32 exec_lo, exec_lo, s2
	s_and_saveexec_b32 s2, s4
	s_cbranch_execnz .LBB105_39
.LBB105_33:                             ;   in Loop: Header=BB105_4 Depth=1
	s_or_b32 exec_lo, exec_lo, s2
	s_and_saveexec_b32 s2, s5
	s_cbranch_execz .LBB105_3
	s_branch .LBB105_40
.LBB105_34:                             ;   in Loop: Header=BB105_4 Depth=1
	v_add_co_u32 v42, vcc_lo, v7, s8
	v_add_co_ci_u32_e32 v43, vcc_lo, s9, v8, vcc_lo
	v_add_co_u32 v44, vcc_lo, v9, s8
	v_add_co_ci_u32_e32 v45, vcc_lo, s9, v10, vcc_lo
	global_load_b32 v37, v[42:43], off
	global_load_b32 v40, v[44:45], off
	s_or_b32 exec_lo, exec_lo, s24
	v_mov_b32_e32 v42, 0
	s_and_saveexec_b32 s24, s5
	s_cbranch_execz .LBB105_18
.LBB105_35:                             ;   in Loop: Header=BB105_4 Depth=1
	v_add_co_u32 v42, vcc_lo, v11, s8
	v_add_co_ci_u32_e32 v43, vcc_lo, s9, v12, vcc_lo
	global_load_b32 v42, v[42:43], off
	s_or_b32 exec_lo, exec_lo, s24
	s_delay_alu instid0(SALU_CYCLE_1)
	s_and_b32 vcc_lo, exec_lo, s21
	s_cbranch_vccnz .LBB105_19
.LBB105_36:                             ;   in Loop: Header=BB105_4 Depth=1
                                        ; implicit-def: $vgpr43
	s_branch .LBB105_20
.LBB105_37:                             ;   in Loop: Header=BB105_4 Depth=1
	s_waitcnt vmcnt(1)
	v_add_co_u32 v34, vcc_lo, v1, s8
	s_waitcnt vmcnt(0)
	v_add_co_ci_u32_e32 v35, vcc_lo, s9, v2, vcc_lo
	global_store_b32 v[34:35], v43, off
	s_or_b32 exec_lo, exec_lo, s2
	s_and_saveexec_b32 s2, s3
	s_cbranch_execz .LBB105_32
.LBB105_38:                             ;   in Loop: Header=BB105_4 Depth=1
	s_waitcnt vmcnt(1)
	v_add_co_u32 v34, vcc_lo, v25, s8
	s_waitcnt vmcnt(0)
	v_add_co_ci_u32_e32 v35, vcc_lo, s9, v26, vcc_lo
	global_store_b32 v[34:35], v32, off
	s_or_b32 exec_lo, exec_lo, s2
	s_and_saveexec_b32 s2, s4
	s_cbranch_execz .LBB105_33
.LBB105_39:                             ;   in Loop: Header=BB105_4 Depth=1
	s_waitcnt vmcnt(1)
	v_add_co_u32 v34, vcc_lo, v15, s8
	s_waitcnt vmcnt(0)
	v_add_co_ci_u32_e32 v35, vcc_lo, s9, v16, vcc_lo
	global_store_b32 v[34:35], v31, off
	s_or_b32 exec_lo, exec_lo, s2
	s_and_saveexec_b32 s2, s5
	s_cbranch_execz .LBB105_3
.LBB105_40:                             ;   in Loop: Header=BB105_4 Depth=1
	s_waitcnt vmcnt(1)
	v_add_co_u32 v31, vcc_lo, v7, s8
	v_add_co_ci_u32_e32 v32, vcc_lo, s9, v8, vcc_lo
	s_waitcnt vmcnt(0)
	global_store_b32 v[31:32], v33, off
	s_branch .LBB105_3
.LBB105_41:                             ;   in Loop: Header=BB105_4 Depth=1
                                        ; implicit-def: $vgpr32
	s_branch .LBB105_23
.LBB105_42:                             ;   in Loop: Header=BB105_4 Depth=1
                                        ; implicit-def: $vgpr31
	s_branch .LBB105_26
.LBB105_43:                             ;   in Loop: Header=BB105_4 Depth=1
                                        ; implicit-def: $vgpr33
	s_branch .LBB105_29
.LBB105_44:
	s_mov_b32 s10, 0
.LBB105_45:
	s_delay_alu instid0(SALU_CYCLE_1)
	s_and_not1_b32 vcc_lo, exec_lo, s10
	s_cbranch_vccnz .LBB105_65
; %bb.46:
	v_dual_mov_b32 v14, 0 :: v_dual_lshlrev_b32 v13, 2, v0
	s_mov_b32 s2, 0
	s_mov_b32 s3, exec_lo
	s_delay_alu instid0(VALU_DEP_1)
	v_cmpx_gt_i64_e64 s[6:7], v[13:14]
	s_cbranch_execz .LBB105_65
; %bb.47:
	s_load_b32 s0, s[0:1], 0xd14
	v_lshlrev_b32_e32 v17, 4, v0
	v_cmp_neq_f32_e64 s1, s20, 1.0
	s_waitcnt lgkmcnt(0)
	s_and_b32 s0, s0, 0xffff
	s_delay_alu instid0(SALU_CYCLE_1)
	v_add_lshl_u32 v13, v0, s0, 2
	s_lshl_b32 s3, s0, 2
	s_lshl_b32 s4, s0, 4
	s_branch .LBB105_49
.LBB105_48:                             ;   in Loop: Header=BB105_49 Depth=1
	v_cmp_le_i64_e32 vcc_lo, s[6:7], v[13:14]
	v_cmp_lt_u64_e64 s0, 0xffff, v[13:14]
	s_waitcnt vmcnt(2)
	global_store_b128 v[15:16], v[0:3], off
	s_or_b32 s0, vcc_lo, s0
	s_add_u32 s14, s14, s4
	s_addc_u32 s15, s15, 0
	s_add_u32 s18, s18, s4
	v_add_co_u32 v13, vcc_lo, v13, s3
	s_addc_u32 s19, s19, 0
	s_add_u32 s16, s16, s4
	v_add_co_ci_u32_e32 v14, vcc_lo, 0, v14, vcc_lo
	s_addc_u32 s17, s17, 0
	s_and_b32 s0, exec_lo, s0
	s_delay_alu instid0(SALU_CYCLE_1) | instskip(NEXT) | instid1(SALU_CYCLE_1)
	s_or_b32 s2, s0, s2
	s_and_not1_b32 exec_lo, exec_lo, s2
	s_cbranch_execz .LBB105_65
.LBB105_49:                             ; =>This Inner Loop Header: Depth=1
	v_add_co_u32 v15, s0, s14, v17
	s_delay_alu instid0(VALU_DEP_1) | instskip(SKIP_2) | instid1(VALU_DEP_1)
	v_add_co_ci_u32_e64 v16, null, s15, 0, s0
	s_waitcnt vmcnt(1)
	v_add_co_u32 v5, s0, s16, v17
	v_add_co_ci_u32_e64 v6, null, s17, 0, s0
	s_waitcnt vmcnt(0)
	v_add_co_u32 v9, s0, s18, v17
	s_delay_alu instid0(VALU_DEP_1)
	v_add_co_ci_u32_e64 v10, null, s19, 0, s0
	global_load_b128 v[1:4], v[15:16], off
	global_load_b128 v[5:8], v[5:6], off
	;; [unrolled: 1-line block ×3, first 2 shown]
	s_and_b32 vcc_lo, exec_lo, s1
	s_cbranch_vccz .LBB105_60
; %bb.50:                               ;   in Loop: Header=BB105_49 Depth=1
	s_waitcnt vmcnt(0)
	v_mul_f32_e32 v0, v5, v9
	s_delay_alu instid0(VALU_DEP_1)
	v_fma_f32 v0, s20, v0, v1
	s_cbranch_execnz .LBB105_52
.LBB105_51:                             ;   in Loop: Header=BB105_49 Depth=1
	s_waitcnt vmcnt(0)
	v_fma_f32 v0, v5, v9, v1
.LBB105_52:                             ;   in Loop: Header=BB105_49 Depth=1
	s_and_not1_b32 vcc_lo, exec_lo, s1
	s_cbranch_vccnz .LBB105_61
; %bb.53:                               ;   in Loop: Header=BB105_49 Depth=1
	s_waitcnt vmcnt(0)
	v_mul_f32_e32 v1, v6, v10
	s_delay_alu instid0(VALU_DEP_1)
	v_fma_f32 v1, s20, v1, v2
	s_cbranch_execnz .LBB105_55
.LBB105_54:                             ;   in Loop: Header=BB105_49 Depth=1
	s_waitcnt vmcnt(0)
	v_fma_f32 v1, v6, v10, v2
.LBB105_55:                             ;   in Loop: Header=BB105_49 Depth=1
	s_and_not1_b32 vcc_lo, exec_lo, s1
	s_cbranch_vccnz .LBB105_62
; %bb.56:                               ;   in Loop: Header=BB105_49 Depth=1
	s_waitcnt vmcnt(0)
	v_mul_f32_e32 v2, v7, v11
	s_delay_alu instid0(VALU_DEP_1)
	v_fma_f32 v2, s20, v2, v3
	s_cbranch_execnz .LBB105_58
.LBB105_57:                             ;   in Loop: Header=BB105_49 Depth=1
	s_waitcnt vmcnt(0)
	v_fma_f32 v2, v7, v11, v3
.LBB105_58:                             ;   in Loop: Header=BB105_49 Depth=1
	s_and_not1_b32 vcc_lo, exec_lo, s1
	s_cbranch_vccnz .LBB105_63
; %bb.59:                               ;   in Loop: Header=BB105_49 Depth=1
	s_waitcnt vmcnt(0)
	v_mul_f32_e32 v3, v8, v12
	s_delay_alu instid0(VALU_DEP_1)
	v_fma_f32 v3, s20, v3, v4
	s_cbranch_execnz .LBB105_48
	s_branch .LBB105_64
.LBB105_60:                             ;   in Loop: Header=BB105_49 Depth=1
                                        ; implicit-def: $vgpr0
	s_branch .LBB105_51
.LBB105_61:                             ;   in Loop: Header=BB105_49 Depth=1
	s_branch .LBB105_54
.LBB105_62:                             ;   in Loop: Header=BB105_49 Depth=1
	s_branch .LBB105_57
.LBB105_63:                             ;   in Loop: Header=BB105_49 Depth=1
.LBB105_64:                             ;   in Loop: Header=BB105_49 Depth=1
	s_waitcnt vmcnt(0)
	v_fmac_f32_e32 v4, v8, v12
	s_delay_alu instid0(VALU_DEP_1)
	v_mov_b32_e32 v3, v4
	s_branch .LBB105_48
.LBB105_65:
	s_nop 0
	s_sendmsg sendmsg(MSG_DEALLOC_VGPRS)
	s_endpgm
	.section	.rodata,"a",@progbits
	.p2align	6, 0x0
	.amdhsa_kernel _ZN2at6native12_GLOBAL__N_125multi_tensor_apply_kernelINS1_28TensorListScalarListMetadataIfLi3EEENS1_28PointwiseOpScalarListFunctorIfLi3ELi3ELi0EEEJSt10multipliesIfEEEEvT_T0_DpT1_
		.amdhsa_group_segment_fixed_size 0
		.amdhsa_private_segment_fixed_size 0
		.amdhsa_kernarg_size 3592
		.amdhsa_user_sgpr_count 15
		.amdhsa_user_sgpr_dispatch_ptr 0
		.amdhsa_user_sgpr_queue_ptr 0
		.amdhsa_user_sgpr_kernarg_segment_ptr 1
		.amdhsa_user_sgpr_dispatch_id 0
		.amdhsa_user_sgpr_private_segment_size 0
		.amdhsa_wavefront_size32 1
		.amdhsa_uses_dynamic_stack 0
		.amdhsa_enable_private_segment 0
		.amdhsa_system_sgpr_workgroup_id_x 1
		.amdhsa_system_sgpr_workgroup_id_y 0
		.amdhsa_system_sgpr_workgroup_id_z 0
		.amdhsa_system_sgpr_workgroup_info 0
		.amdhsa_system_vgpr_workitem_id 0
		.amdhsa_next_free_vgpr 46
		.amdhsa_next_free_sgpr 26
		.amdhsa_reserve_vcc 1
		.amdhsa_float_round_mode_32 0
		.amdhsa_float_round_mode_16_64 0
		.amdhsa_float_denorm_mode_32 3
		.amdhsa_float_denorm_mode_16_64 3
		.amdhsa_dx10_clamp 1
		.amdhsa_ieee_mode 1
		.amdhsa_fp16_overflow 0
		.amdhsa_workgroup_processor_mode 1
		.amdhsa_memory_ordered 1
		.amdhsa_forward_progress 0
		.amdhsa_shared_vgpr_count 0
		.amdhsa_exception_fp_ieee_invalid_op 0
		.amdhsa_exception_fp_denorm_src 0
		.amdhsa_exception_fp_ieee_div_zero 0
		.amdhsa_exception_fp_ieee_overflow 0
		.amdhsa_exception_fp_ieee_underflow 0
		.amdhsa_exception_fp_ieee_inexact 0
		.amdhsa_exception_int_div_zero 0
	.end_amdhsa_kernel
	.section	.text._ZN2at6native12_GLOBAL__N_125multi_tensor_apply_kernelINS1_28TensorListScalarListMetadataIfLi3EEENS1_28PointwiseOpScalarListFunctorIfLi3ELi3ELi0EEEJSt10multipliesIfEEEEvT_T0_DpT1_,"axG",@progbits,_ZN2at6native12_GLOBAL__N_125multi_tensor_apply_kernelINS1_28TensorListScalarListMetadataIfLi3EEENS1_28PointwiseOpScalarListFunctorIfLi3ELi3ELi0EEEJSt10multipliesIfEEEEvT_T0_DpT1_,comdat
.Lfunc_end105:
	.size	_ZN2at6native12_GLOBAL__N_125multi_tensor_apply_kernelINS1_28TensorListScalarListMetadataIfLi3EEENS1_28PointwiseOpScalarListFunctorIfLi3ELi3ELi0EEEJSt10multipliesIfEEEEvT_T0_DpT1_, .Lfunc_end105-_ZN2at6native12_GLOBAL__N_125multi_tensor_apply_kernelINS1_28TensorListScalarListMetadataIfLi3EEENS1_28PointwiseOpScalarListFunctorIfLi3ELi3ELi0EEEJSt10multipliesIfEEEEvT_T0_DpT1_
                                        ; -- End function
	.section	.AMDGPU.csdata,"",@progbits
; Kernel info:
; codeLenInByte = 2272
; NumSgprs: 28
; NumVgprs: 46
; ScratchSize: 0
; MemoryBound: 1
; FloatMode: 240
; IeeeMode: 1
; LDSByteSize: 0 bytes/workgroup (compile time only)
; SGPRBlocks: 3
; VGPRBlocks: 5
; NumSGPRsForWavesPerEU: 28
; NumVGPRsForWavesPerEU: 46
; Occupancy: 16
; WaveLimiterHint : 0
; COMPUTE_PGM_RSRC2:SCRATCH_EN: 0
; COMPUTE_PGM_RSRC2:USER_SGPR: 15
; COMPUTE_PGM_RSRC2:TRAP_HANDLER: 0
; COMPUTE_PGM_RSRC2:TGID_X_EN: 1
; COMPUTE_PGM_RSRC2:TGID_Y_EN: 0
; COMPUTE_PGM_RSRC2:TGID_Z_EN: 0
; COMPUTE_PGM_RSRC2:TIDIG_COMP_CNT: 0
	.section	.text._ZN2at6native12_GLOBAL__N_125multi_tensor_apply_kernelINS1_28TensorListScalarListMetadataIN3c107complexIdEELi3EEENS1_28PointwiseOpScalarListFunctorIS6_Li3ELi3ELi0EEEJSt10multipliesIS6_EEEEvT_T0_DpT1_,"axG",@progbits,_ZN2at6native12_GLOBAL__N_125multi_tensor_apply_kernelINS1_28TensorListScalarListMetadataIN3c107complexIdEELi3EEENS1_28PointwiseOpScalarListFunctorIS6_Li3ELi3ELi0EEEJSt10multipliesIS6_EEEEvT_T0_DpT1_,comdat
	.globl	_ZN2at6native12_GLOBAL__N_125multi_tensor_apply_kernelINS1_28TensorListScalarListMetadataIN3c107complexIdEELi3EEENS1_28PointwiseOpScalarListFunctorIS6_Li3ELi3ELi0EEEJSt10multipliesIS6_EEEEvT_T0_DpT1_ ; -- Begin function _ZN2at6native12_GLOBAL__N_125multi_tensor_apply_kernelINS1_28TensorListScalarListMetadataIN3c107complexIdEELi3EEENS1_28PointwiseOpScalarListFunctorIS6_Li3ELi3ELi0EEEJSt10multipliesIS6_EEEEvT_T0_DpT1_
	.p2align	8
	.type	_ZN2at6native12_GLOBAL__N_125multi_tensor_apply_kernelINS1_28TensorListScalarListMetadataIN3c107complexIdEELi3EEENS1_28PointwiseOpScalarListFunctorIS6_Li3ELi3ELi0EEEJSt10multipliesIS6_EEEEvT_T0_DpT1_,@function
_ZN2at6native12_GLOBAL__N_125multi_tensor_apply_kernelINS1_28TensorListScalarListMetadataIN3c107complexIdEELi3EEENS1_28PointwiseOpScalarListFunctorIS6_Li3ELi3ELi0EEEJSt10multipliesIS6_EEEEvT_T0_DpT1_: ; @_ZN2at6native12_GLOBAL__N_125multi_tensor_apply_kernelINS1_28TensorListScalarListMetadataIN3c107complexIdEELi3EEENS1_28PointwiseOpScalarListFunctorIS6_Li3ELi3ELi0EEEJSt10multipliesIS6_EEEEvT_T0_DpT1_
; %bb.0:
	v_mov_b32_e32 v1, s15
	s_add_u32 s2, s0, s15
	s_mul_i32 s3, s15, 3
	s_mul_hi_u32 s4, s15, 3
	s_addc_u32 s5, s1, 0
	global_load_u8 v1, v1, s[0:1] offset:2304
	s_add_u32 s2, s2, s3
	s_addc_u32 s3, s5, s4
	s_load_b32 s6, s[2:3], 0xa40
	s_waitcnt lgkmcnt(0)
	s_ashr_i32 s7, s6, 31
	s_waitcnt vmcnt(0)
	v_readfirstlane_b32 s4, v1
	s_delay_alu instid0(VALU_DEP_1)
	s_lshl_b32 s10, s4, 3
	s_clause 0x3
	s_load_b64 s[2:3], s[0:1], s10 offset:0x0
	s_load_b64 s[4:5], s[0:1], s10 offset:0x180
	;; [unrolled: 1-line block ×4, first 2 shown]
	s_add_u32 s8, s0, s10
	s_addc_u32 s9, s1, 0
	s_lshl_b64 s[12:13], s[6:7], 20
	s_waitcnt lgkmcnt(0)
	s_add_u32 s20, s2, s12
	s_addc_u32 s21, s3, s13
	s_add_u32 s22, s4, s12
	s_addc_u32 s23, s5, s13
	;; [unrolled: 2-line block ×3, first 2 shown]
	s_or_b32 s11, s24, s22
	s_and_b32 s16, s20, 63
	s_and_b32 s11, s11, 63
	s_delay_alu instid0(SALU_CYCLE_1) | instskip(SKIP_3) | instid1(SALU_CYCLE_1)
	s_cmp_eq_u32 s11, 0
	s_load_b128 s[8:11], s[8:9], s10 offset:0x600
	s_cselect_b32 s17, -1, 0
	s_lshl_b64 s[6:7], s[6:7], 16
	s_sub_u32 s6, s14, s6
	s_subb_u32 s7, s15, s7
	s_and_b32 s14, s14, 3
	s_mov_b32 s15, 0
	s_or_b32 s14, s16, s14
	s_delay_alu instid0(SALU_CYCLE_1) | instskip(SKIP_1) | instid1(SALU_CYCLE_1)
	s_cmp_eq_u64 s[14:15], 0
	s_cselect_b32 s14, -1, 0
	s_and_b32 s14, s17, s14
	s_delay_alu instid0(SALU_CYCLE_1)
	s_and_b32 vcc_lo, exec_lo, s14
	s_mov_b32 s14, -1
	s_cbranch_vccnz .LBB106_37
; %bb.1:
	v_cmp_lt_i64_e64 s14, s[6:7], 1
	s_delay_alu instid0(VALU_DEP_1)
	s_and_b32 vcc_lo, exec_lo, s14
	s_cbranch_vccnz .LBB106_36
; %bb.2:
	s_waitcnt lgkmcnt(0)
	v_cmp_neq_f64_e64 s14, s[8:9], 1.0
	v_cmp_neq_f64_e64 s29, s[10:11], 0
	s_load_b32 s16, s[0:1], 0xf54
	v_dual_mov_b32 v1, 0 :: v_dual_lshlrev_b32 v6, 4, v0
	v_cmp_gt_u64_e64 s17, 0x10000, s[6:7]
	s_delay_alu instid0(VALU_DEP_2) | instskip(NEXT) | instid1(VALU_DEP_3)
	v_or_b32_e32 v2, 8, v6
	v_mov_b32_e32 v3, v1
	v_dual_mov_b32 v50, v1 :: v_dual_mov_b32 v49, v0
	s_delay_alu instid0(VALU_DEP_3) | instskip(NEXT) | instid1(VALU_DEP_1)
	v_add_co_u32 v53, s26, s4, v2
	v_add_co_ci_u32_e64 v54, null, s5, 0, s26
	v_add_co_u32 v55, s26, s2, v2
	s_delay_alu instid0(VALU_DEP_1) | instskip(SKIP_1) | instid1(VALU_DEP_1)
	v_add_co_ci_u32_e64 v56, null, s3, 0, s26
	v_add_co_u32 v57, s26, s18, v2
	v_add_co_ci_u32_e64 v58, null, s19, 0, s26
	s_waitcnt lgkmcnt(0)
	s_and_b32 s26, s16, 0xffff
	s_and_b32 s16, s17, exec_lo
	v_mad_u64_u32 v[4:5], null, s26, 48, v[2:3]
	v_add_lshl_u32 v7, v0, s26, 4
	s_cselect_b32 s17, s7, 0
	s_cselect_b32 s16, s6, 0x10000
	s_lshl_b32 s27, s26, 1
	s_mul_i32 s28, s26, 3
	v_add_co_u32 v59, s30, s18, v7
	s_delay_alu instid0(VALU_DEP_3) | instskip(SKIP_3) | instid1(VALU_DEP_1)
	v_add_co_u32 v63, vcc_lo, s4, v4
	v_add_co_ci_u32_e32 v64, vcc_lo, s5, v5, vcc_lo
	s_or_b32 s29, s14, s29
	v_add_co_u32 v65, s14, s4, v7
	v_add_co_ci_u32_e64 v66, null, s5, 0, s14
	s_lshl_b32 s14, s26, 5
	v_add_co_u32 v67, vcc_lo, s2, v4
	v_add_co_u32 v2, s14, s14, v6
	v_add_co_ci_u32_e32 v68, vcc_lo, s3, v5, vcc_lo
	v_add_co_u32 v69, vcc_lo, s18, v4
	v_add_co_ci_u32_e64 v3, null, 0, 0, s14
	s_delay_alu instid0(VALU_DEP_4) | instskip(SKIP_2) | instid1(VALU_DEP_4)
	v_or_b32_e32 v4, 8, v2
	v_add_co_ci_u32_e32 v70, vcc_lo, s19, v5, vcc_lo
	v_add_co_u32 v71, vcc_lo, s18, v2
	v_add_co_ci_u32_e32 v72, vcc_lo, s19, v3, vcc_lo
	s_delay_alu instid0(VALU_DEP_4)
	v_add_co_u32 v73, vcc_lo, s4, v4
	v_add_co_ci_u32_e32 v74, vcc_lo, s5, v3, vcc_lo
	v_add_co_ci_u32_e64 v60, null, s19, 0, s30
	v_add_co_u32 v61, s30, s2, v7
	v_add_co_u32 v75, vcc_lo, s2, v4
	v_add_co_ci_u32_e64 v62, null, s3, 0, s30
	v_add_co_ci_u32_e32 v76, vcc_lo, s3, v3, vcc_lo
	s_lshl_b32 s14, s26, 2
	s_lshl_b32 s30, s26, 6
	s_mov_b64 s[18:19], s[14:15]
	s_branch .LBB106_4
.LBB106_3:                              ;   in Loop: Header=BB106_4 Depth=1
	s_or_b32 exec_lo, exec_lo, s2
	v_add_co_u32 v49, vcc_lo, v49, s14
	v_add_co_ci_u32_e32 v50, vcc_lo, 0, v50, vcc_lo
	v_add_co_u32 v53, vcc_lo, v53, s30
	v_add_co_ci_u32_e32 v54, vcc_lo, 0, v54, vcc_lo
	;; [unrolled: 2-line block ×11, first 2 shown]
	v_cmp_ge_i64_e64 s2, s[18:19], s[6:7]
	v_cmp_lt_u64_e64 s3, 0xffff, s[18:19]
	v_add_co_u32 v73, vcc_lo, v73, s30
	v_add_co_ci_u32_e32 v74, vcc_lo, 0, v74, vcc_lo
	v_add_co_u32 v75, vcc_lo, v75, s30
	v_add_co_ci_u32_e32 v76, vcc_lo, 0, v76, vcc_lo
	s_or_b32 s2, s2, s3
	s_add_u32 s18, s18, s14
	s_addc_u32 s19, s19, 0
	s_and_b32 vcc_lo, exec_lo, s2
	s_cbranch_vccnz .LBB106_36
.LBB106_4:                              ; =>This Inner Loop Header: Depth=1
	v_mov_b32_e32 v11, 0
	v_mov_b32_e32 v12, 0
	v_cmp_gt_u64_e64 s2, s[16:17], v[49:50]
	s_delay_alu instid0(VALU_DEP_3) | instskip(NEXT) | instid1(VALU_DEP_3)
	v_mov_b32_e32 v3, v11
	v_dual_mov_b32 v1, v11 :: v_dual_mov_b32 v2, v12
	v_dual_mov_b32 v16, v12 :: v_dual_mov_b32 v15, v11
	;; [unrolled: 1-line block ×3, first 2 shown]
	v_mov_b32_e32 v4, v12
	s_and_saveexec_b32 s3, s2
	s_cbranch_execz .LBB106_6
; %bb.5:                                ;   in Loop: Header=BB106_4 Depth=1
	v_add_co_u32 v1, vcc_lo, v55, s12
	v_add_co_ci_u32_e32 v2, vcc_lo, s13, v56, vcc_lo
	v_add_co_u32 v5, vcc_lo, v53, s12
	v_add_co_ci_u32_e32 v6, vcc_lo, s13, v54, vcc_lo
	global_load_b128 v[1:4], v[1:2], off offset:-8
	global_load_b128 v[13:16], v[5:6], off offset:-8
.LBB106_6:                              ;   in Loop: Header=BB106_4 Depth=1
	s_or_b32 exec_lo, exec_lo, s3
	v_dual_mov_b32 v9, v11 :: v_dual_mov_b32 v10, v12
	s_and_saveexec_b32 s3, s2
	s_cbranch_execz .LBB106_8
; %bb.7:                                ;   in Loop: Header=BB106_4 Depth=1
	v_add_co_u32 v5, vcc_lo, v57, s12
	v_add_co_ci_u32_e32 v6, vcc_lo, s13, v58, vcc_lo
	global_load_b128 v[9:12], v[5:6], off offset:-8
.LBB106_8:                              ;   in Loop: Header=BB106_4 Depth=1
	s_or_b32 exec_lo, exec_lo, s3
	v_add_co_u32 v5, vcc_lo, s26, v49
	v_add_co_ci_u32_e32 v6, vcc_lo, 0, v50, vcc_lo
	v_mov_b32_e32 v23, 0
	v_mov_b32_e32 v24, 0
	s_delay_alu instid0(VALU_DEP_2) | instskip(NEXT) | instid1(VALU_DEP_4)
	v_mov_b32_e32 v7, v23
	v_cmp_gt_u64_e64 s3, s[16:17], v[5:6]
	s_delay_alu instid0(VALU_DEP_3)
	v_dual_mov_b32 v5, v23 :: v_dual_mov_b32 v6, v24
	v_dual_mov_b32 v28, v24 :: v_dual_mov_b32 v27, v23
	;; [unrolled: 1-line block ×3, first 2 shown]
	v_mov_b32_e32 v8, v24
	s_and_saveexec_b32 s4, s3
	s_cbranch_execz .LBB106_10
; %bb.9:                                ;   in Loop: Header=BB106_4 Depth=1
	v_add_co_u32 v5, vcc_lo, v61, s12
	v_add_co_ci_u32_e32 v6, vcc_lo, s13, v62, vcc_lo
	v_add_co_u32 v17, vcc_lo, v65, s12
	v_add_co_ci_u32_e32 v18, vcc_lo, s13, v66, vcc_lo
	global_load_b128 v[5:8], v[5:6], off
	global_load_b128 v[25:28], v[17:18], off
.LBB106_10:                             ;   in Loop: Header=BB106_4 Depth=1
	s_or_b32 exec_lo, exec_lo, s4
	v_dual_mov_b32 v21, v23 :: v_dual_mov_b32 v22, v24
	s_and_saveexec_b32 s4, s3
	s_cbranch_execz .LBB106_12
; %bb.11:                               ;   in Loop: Header=BB106_4 Depth=1
	v_add_co_u32 v17, vcc_lo, v59, s12
	v_add_co_ci_u32_e32 v18, vcc_lo, s13, v60, vcc_lo
	global_load_b128 v[21:24], v[17:18], off
.LBB106_12:                             ;   in Loop: Header=BB106_4 Depth=1
	s_or_b32 exec_lo, exec_lo, s4
	v_add_co_u32 v17, vcc_lo, s27, v49
	v_add_co_ci_u32_e32 v18, vcc_lo, 0, v50, vcc_lo
	v_mov_b32_e32 v35, 0
	v_mov_b32_e32 v36, 0
	s_delay_alu instid0(VALU_DEP_2) | instskip(NEXT) | instid1(VALU_DEP_4)
	v_mov_b32_e32 v19, v35
	v_cmp_gt_u64_e64 s4, s[16:17], v[17:18]
	s_delay_alu instid0(VALU_DEP_3)
	v_dual_mov_b32 v17, v35 :: v_dual_mov_b32 v18, v36
	v_dual_mov_b32 v40, v36 :: v_dual_mov_b32 v39, v35
	;; [unrolled: 1-line block ×3, first 2 shown]
	v_mov_b32_e32 v20, v36
	s_and_saveexec_b32 s5, s4
	s_cbranch_execz .LBB106_14
; %bb.13:                               ;   in Loop: Header=BB106_4 Depth=1
	v_add_co_u32 v17, vcc_lo, v75, s12
	v_add_co_ci_u32_e32 v18, vcc_lo, s13, v76, vcc_lo
	v_add_co_u32 v29, vcc_lo, v73, s12
	v_add_co_ci_u32_e32 v30, vcc_lo, s13, v74, vcc_lo
	global_load_b128 v[17:20], v[17:18], off offset:-8
	global_load_b128 v[37:40], v[29:30], off offset:-8
.LBB106_14:                             ;   in Loop: Header=BB106_4 Depth=1
	s_or_b32 exec_lo, exec_lo, s5
	v_dual_mov_b32 v33, v35 :: v_dual_mov_b32 v34, v36
	s_and_saveexec_b32 s5, s4
	s_cbranch_execz .LBB106_16
; %bb.15:                               ;   in Loop: Header=BB106_4 Depth=1
	v_add_co_u32 v29, vcc_lo, v71, s12
	v_add_co_ci_u32_e32 v30, vcc_lo, s13, v72, vcc_lo
	global_load_b128 v[33:36], v[29:30], off
.LBB106_16:                             ;   in Loop: Header=BB106_4 Depth=1
	s_or_b32 exec_lo, exec_lo, s5
	v_add_co_u32 v29, vcc_lo, s28, v49
	v_add_co_ci_u32_e32 v30, vcc_lo, 0, v50, vcc_lo
	v_mov_b32_e32 v43, 0
	v_mov_b32_e32 v44, 0
	s_delay_alu instid0(VALU_DEP_2) | instskip(NEXT) | instid1(VALU_DEP_4)
	v_mov_b32_e32 v31, v43
	v_cmp_gt_u64_e64 s5, s[16:17], v[29:30]
	s_delay_alu instid0(VALU_DEP_3)
	v_dual_mov_b32 v29, v43 :: v_dual_mov_b32 v30, v44
	v_dual_mov_b32 v48, v44 :: v_dual_mov_b32 v47, v43
	;; [unrolled: 1-line block ×3, first 2 shown]
	v_mov_b32_e32 v32, v44
	s_and_saveexec_b32 s15, s5
	s_cbranch_execz .LBB106_18
; %bb.17:                               ;   in Loop: Header=BB106_4 Depth=1
	v_add_co_u32 v29, vcc_lo, v67, s12
	v_add_co_ci_u32_e32 v30, vcc_lo, s13, v68, vcc_lo
	v_add_co_u32 v41, vcc_lo, v63, s12
	v_add_co_ci_u32_e32 v42, vcc_lo, s13, v64, vcc_lo
	global_load_b128 v[29:32], v[29:30], off offset:-8
	global_load_b128 v[45:48], v[41:42], off offset:-8
.LBB106_18:                             ;   in Loop: Header=BB106_4 Depth=1
	s_or_b32 exec_lo, exec_lo, s15
	v_dual_mov_b32 v41, v43 :: v_dual_mov_b32 v42, v44
	s_and_saveexec_b32 s15, s5
	s_cbranch_execz .LBB106_20
; %bb.19:                               ;   in Loop: Header=BB106_4 Depth=1
	v_add_co_u32 v41, vcc_lo, v69, s12
	v_add_co_ci_u32_e32 v42, vcc_lo, s13, v70, vcc_lo
	global_load_b128 v[41:44], v[41:42], off offset:-8
.LBB106_20:                             ;   in Loop: Header=BB106_4 Depth=1
	s_or_b32 exec_lo, exec_lo, s15
	s_waitcnt vmcnt(0)
	v_mul_f64 v[51:52], v[15:16], v[11:12]
	v_mul_f64 v[15:16], v[15:16], v[9:10]
	s_and_b32 vcc_lo, exec_lo, s29
	s_delay_alu instid0(VALU_DEP_2) | instskip(NEXT) | instid1(VALU_DEP_2)
	v_fma_f64 v[9:10], v[13:14], v[9:10], -v[51:52]
	v_fma_f64 v[51:52], v[13:14], v[11:12], v[15:16]
	s_cbranch_vccz .LBB106_22
; %bb.21:                               ;   in Loop: Header=BB106_4 Depth=1
	s_delay_alu instid0(VALU_DEP_1) | instskip(NEXT) | instid1(VALU_DEP_3)
	v_mul_f64 v[11:12], s[10:11], v[51:52]
	v_mul_f64 v[13:14], s[10:11], v[9:10]
	s_delay_alu instid0(VALU_DEP_2) | instskip(NEXT) | instid1(VALU_DEP_2)
	v_fma_f64 v[9:10], s[8:9], v[9:10], -v[11:12]
	v_fma_f64 v[51:52], s[8:9], v[51:52], v[13:14]
.LBB106_22:                             ;   in Loop: Header=BB106_4 Depth=1
	v_mul_f64 v[11:12], v[27:28], v[23:24]
	v_mul_f64 v[13:14], v[27:28], v[21:22]
	s_and_not1_b32 vcc_lo, exec_lo, s29
	s_delay_alu instid0(VALU_DEP_2) | instskip(NEXT) | instid1(VALU_DEP_2)
	v_fma_f64 v[11:12], v[25:26], v[21:22], -v[11:12]
	v_fma_f64 v[21:22], v[25:26], v[23:24], v[13:14]
	s_cbranch_vccnz .LBB106_24
; %bb.23:                               ;   in Loop: Header=BB106_4 Depth=1
	s_delay_alu instid0(VALU_DEP_1) | instskip(NEXT) | instid1(VALU_DEP_3)
	v_mul_f64 v[13:14], s[10:11], v[21:22]
	v_mul_f64 v[15:16], s[10:11], v[11:12]
	s_delay_alu instid0(VALU_DEP_2) | instskip(NEXT) | instid1(VALU_DEP_2)
	v_fma_f64 v[11:12], s[8:9], v[11:12], -v[13:14]
	v_fma_f64 v[21:22], s[8:9], v[21:22], v[15:16]
.LBB106_24:                             ;   in Loop: Header=BB106_4 Depth=1
	v_mul_f64 v[13:14], v[39:40], v[35:36]
	v_mul_f64 v[15:16], v[39:40], v[33:34]
	s_and_not1_b32 vcc_lo, exec_lo, s29
	s_delay_alu instid0(VALU_DEP_2) | instskip(NEXT) | instid1(VALU_DEP_2)
	v_fma_f64 v[13:14], v[37:38], v[33:34], -v[13:14]
	v_fma_f64 v[23:24], v[37:38], v[35:36], v[15:16]
	s_cbranch_vccnz .LBB106_26
; %bb.25:                               ;   in Loop: Header=BB106_4 Depth=1
	s_delay_alu instid0(VALU_DEP_1) | instskip(NEXT) | instid1(VALU_DEP_3)
	v_mul_f64 v[15:16], s[10:11], v[23:24]
	v_mul_f64 v[25:26], s[10:11], v[13:14]
	s_delay_alu instid0(VALU_DEP_2) | instskip(NEXT) | instid1(VALU_DEP_2)
	v_fma_f64 v[13:14], s[8:9], v[13:14], -v[15:16]
	v_fma_f64 v[23:24], s[8:9], v[23:24], v[25:26]
.LBB106_26:                             ;   in Loop: Header=BB106_4 Depth=1
	v_mul_f64 v[15:16], v[47:48], v[43:44]
	v_mul_f64 v[25:26], v[47:48], v[41:42]
	s_and_not1_b32 vcc_lo, exec_lo, s29
	s_delay_alu instid0(VALU_DEP_2) | instskip(NEXT) | instid1(VALU_DEP_2)
	v_fma_f64 v[15:16], v[45:46], v[41:42], -v[15:16]
	v_fma_f64 v[25:26], v[45:46], v[43:44], v[25:26]
	s_cbranch_vccz .LBB106_31
; %bb.27:                               ;   in Loop: Header=BB106_4 Depth=1
	s_and_saveexec_b32 s15, s2
	s_delay_alu instid0(SALU_CYCLE_1)
	s_xor_b32 s2, exec_lo, s15
	s_cbranch_execnz .LBB106_32
.LBB106_28:                             ;   in Loop: Header=BB106_4 Depth=1
	s_or_b32 exec_lo, exec_lo, s2
	s_and_saveexec_b32 s2, s3
	s_cbranch_execnz .LBB106_33
.LBB106_29:                             ;   in Loop: Header=BB106_4 Depth=1
	s_or_b32 exec_lo, exec_lo, s2
	s_and_saveexec_b32 s2, s4
	s_cbranch_execnz .LBB106_34
.LBB106_30:                             ;   in Loop: Header=BB106_4 Depth=1
	s_or_b32 exec_lo, exec_lo, s2
	s_and_saveexec_b32 s2, s5
	s_cbranch_execz .LBB106_3
	s_branch .LBB106_35
.LBB106_31:                             ;   in Loop: Header=BB106_4 Depth=1
	s_delay_alu instid0(VALU_DEP_1) | instskip(NEXT) | instid1(VALU_DEP_3)
	v_mul_f64 v[27:28], s[10:11], v[25:26]
	v_mul_f64 v[33:34], s[10:11], v[15:16]
	s_delay_alu instid0(VALU_DEP_2) | instskip(NEXT) | instid1(VALU_DEP_2)
	v_fma_f64 v[15:16], s[8:9], v[15:16], -v[27:28]
	v_fma_f64 v[25:26], s[8:9], v[25:26], v[33:34]
	s_and_saveexec_b32 s15, s2
	s_delay_alu instid0(SALU_CYCLE_1)
	s_xor_b32 s2, exec_lo, s15
	s_cbranch_execz .LBB106_28
.LBB106_32:                             ;   in Loop: Header=BB106_4 Depth=1
	v_add_f64 v[3:4], v[3:4], v[51:52]
	v_add_f64 v[1:2], v[1:2], v[9:10]
	v_add_co_u32 v9, vcc_lo, v55, s12
	v_add_co_ci_u32_e32 v10, vcc_lo, s13, v56, vcc_lo
	global_store_b128 v[9:10], v[1:4], off offset:-8
	s_or_b32 exec_lo, exec_lo, s2
	s_and_saveexec_b32 s2, s3
	s_cbranch_execz .LBB106_29
.LBB106_33:                             ;   in Loop: Header=BB106_4 Depth=1
	v_add_f64 v[3:4], v[7:8], v[21:22]
	v_add_f64 v[1:2], v[5:6], v[11:12]
	v_add_co_u32 v5, vcc_lo, v61, s12
	v_add_co_ci_u32_e32 v6, vcc_lo, s13, v62, vcc_lo
	global_store_b128 v[5:6], v[1:4], off
	s_or_b32 exec_lo, exec_lo, s2
	s_and_saveexec_b32 s2, s4
	s_cbranch_execz .LBB106_30
.LBB106_34:                             ;   in Loop: Header=BB106_4 Depth=1
	v_add_f64 v[3:4], v[19:20], v[23:24]
	v_add_f64 v[1:2], v[17:18], v[13:14]
	v_add_co_u32 v5, vcc_lo, v75, s12
	v_add_co_ci_u32_e32 v6, vcc_lo, s13, v76, vcc_lo
	global_store_b128 v[5:6], v[1:4], off offset:-8
	s_or_b32 exec_lo, exec_lo, s2
	s_and_saveexec_b32 s2, s5
	s_cbranch_execz .LBB106_3
.LBB106_35:                             ;   in Loop: Header=BB106_4 Depth=1
	s_delay_alu instid0(VALU_DEP_1) | instskip(NEXT) | instid1(VALU_DEP_3)
	v_add_f64 v[3:4], v[31:32], v[25:26]
	v_add_f64 v[1:2], v[29:30], v[15:16]
	v_add_co_u32 v5, vcc_lo, v67, s12
	v_add_co_ci_u32_e32 v6, vcc_lo, s13, v68, vcc_lo
	global_store_b128 v[5:6], v[1:4], off offset:-8
	s_branch .LBB106_3
.LBB106_36:
	s_mov_b32 s14, 0
.LBB106_37:
	s_delay_alu instid0(SALU_CYCLE_1)
	s_and_not1_b32 vcc_lo, exec_lo, s14
	s_cbranch_vccnz .LBB106_49
; %bb.38:
	v_dual_mov_b32 v41, 0 :: v_dual_lshlrev_b32 v40, 2, v0
	s_mov_b32 s2, 0
	s_mov_b32 s3, exec_lo
	s_delay_alu instid0(VALU_DEP_1)
	v_cmpx_gt_i64_e64 s[6:7], v[40:41]
	s_cbranch_execz .LBB106_49
; %bb.39:
	s_waitcnt lgkmcnt(0)
	v_cmp_neq_f64_e64 s3, s[8:9], 1.0
	v_cmp_neq_f64_e64 s4, s[10:11], 0
	s_load_b32 s0, s[0:1], 0xf54
	v_lshlrev_b32_e32 v48, 6, v0
	s_waitcnt lgkmcnt(0)
	s_and_b32 s0, s0, 0xffff
	s_delay_alu instid0(SALU_CYCLE_1) | instskip(NEXT) | instid1(VALU_DEP_3)
	v_add_lshl_u32 v40, v0, s0, 2
	s_or_b32 s1, s3, s4
	s_lshl_b32 s3, s0, 2
	s_lshl_b32 s4, s0, 6
	s_branch .LBB106_41
.LBB106_40:                             ;   in Loop: Header=BB106_41 Depth=1
	v_add_f64 v[10:11], v[10:11], v[46:47]
	v_add_f64 v[8:9], v[8:9], v[44:45]
	;; [unrolled: 1-line block ×8, first 2 shown]
	v_cmp_le_i64_e32 vcc_lo, s[6:7], v[40:41]
	v_cmp_lt_u64_e64 s0, 0xffff, v[40:41]
	s_clause 0x3
	global_store_b128 v[42:43], v[8:11], off
	global_store_b128 v[42:43], v[4:7], off offset:16
	global_store_b128 v[42:43], v[12:15], off offset:32
	global_store_b128 v[42:43], v[0:3], off offset:48
	s_or_b32 s0, vcc_lo, s0
	s_add_u32 s20, s20, s4
	s_addc_u32 s21, s21, 0
	s_add_u32 s24, s24, s4
	s_addc_u32 s25, s25, 0
	v_add_co_u32 v40, vcc_lo, v40, s3
	s_add_u32 s22, s22, s4
	s_addc_u32 s23, s23, 0
	v_add_co_ci_u32_e32 v41, vcc_lo, 0, v41, vcc_lo
	s_and_b32 s0, exec_lo, s0
	s_delay_alu instid0(SALU_CYCLE_1) | instskip(NEXT) | instid1(SALU_CYCLE_1)
	s_or_b32 s2, s0, s2
	s_and_not1_b32 exec_lo, exec_lo, s2
	s_cbranch_execz .LBB106_49
.LBB106_41:                             ; =>This Inner Loop Header: Depth=1
	v_add_co_u32 v20, s0, s22, v48
	s_delay_alu instid0(VALU_DEP_1) | instskip(SKIP_1) | instid1(VALU_DEP_1)
	v_add_co_ci_u32_e64 v21, null, s23, 0, s0
	v_add_co_u32 v28, s0, s24, v48
	v_add_co_ci_u32_e64 v29, null, s25, 0, s0
	global_load_b128 v[44:47], v[20:21], off
	global_load_b128 v[49:52], v[28:29], off
	v_add_co_u32 v42, s0, s20, v48
	s_delay_alu instid0(VALU_DEP_1)
	v_add_co_ci_u32_e64 v43, null, s21, 0, s0
	global_load_b128 v[32:35], v[20:21], off offset:16
	global_load_b128 v[36:39], v[28:29], off offset:16
	s_clause 0x3
	global_load_b128 v[0:3], v[42:43], off offset:48
	global_load_b128 v[12:15], v[42:43], off offset:32
	;; [unrolled: 1-line block ×3, first 2 shown]
	global_load_b128 v[8:11], v[42:43], off
	s_clause 0x1
	global_load_b128 v[16:19], v[20:21], off offset:48
	global_load_b128 v[24:27], v[20:21], off offset:32
	s_clause 0x1
	global_load_b128 v[20:23], v[28:29], off offset:48
	global_load_b128 v[28:31], v[28:29], off offset:32
	s_and_not1_b32 vcc_lo, exec_lo, s1
	s_waitcnt vmcnt(10)
	v_mul_f64 v[53:54], v[46:47], v[51:52]
	v_mul_f64 v[51:52], v[44:45], v[51:52]
	s_delay_alu instid0(VALU_DEP_2) | instskip(NEXT) | instid1(VALU_DEP_2)
	v_fma_f64 v[44:45], v[44:45], v[49:50], -v[53:54]
	v_fma_f64 v[46:47], v[46:47], v[49:50], v[51:52]
	s_cbranch_vccnz .LBB106_43
; %bb.42:                               ;   in Loop: Header=BB106_41 Depth=1
	s_delay_alu instid0(VALU_DEP_1) | instskip(NEXT) | instid1(VALU_DEP_3)
	v_mul_f64 v[49:50], s[10:11], v[46:47]
	v_mul_f64 v[51:52], s[10:11], v[44:45]
	s_delay_alu instid0(VALU_DEP_2) | instskip(NEXT) | instid1(VALU_DEP_2)
	v_fma_f64 v[44:45], s[8:9], v[44:45], -v[49:50]
	v_fma_f64 v[46:47], s[8:9], v[46:47], v[51:52]
.LBB106_43:                             ;   in Loop: Header=BB106_41 Depth=1
	s_waitcnt vmcnt(8)
	v_mul_f64 v[49:50], v[34:35], v[38:39]
	v_mul_f64 v[38:39], v[32:33], v[38:39]
	s_and_not1_b32 vcc_lo, exec_lo, s1
	s_delay_alu instid0(VALU_DEP_2) | instskip(NEXT) | instid1(VALU_DEP_2)
	v_fma_f64 v[32:33], v[32:33], v[36:37], -v[49:50]
	v_fma_f64 v[34:35], v[34:35], v[36:37], v[38:39]
	s_cbranch_vccnz .LBB106_45
; %bb.44:                               ;   in Loop: Header=BB106_41 Depth=1
	s_delay_alu instid0(VALU_DEP_1) | instskip(NEXT) | instid1(VALU_DEP_3)
	v_mul_f64 v[36:37], s[10:11], v[34:35]
	v_mul_f64 v[38:39], s[10:11], v[32:33]
	s_delay_alu instid0(VALU_DEP_2) | instskip(NEXT) | instid1(VALU_DEP_2)
	v_fma_f64 v[32:33], s[8:9], v[32:33], -v[36:37]
	v_fma_f64 v[34:35], s[8:9], v[34:35], v[38:39]
.LBB106_45:                             ;   in Loop: Header=BB106_41 Depth=1
	s_waitcnt vmcnt(0)
	v_mul_f64 v[36:37], v[26:27], v[30:31]
	v_mul_f64 v[30:31], v[24:25], v[30:31]
	s_and_not1_b32 vcc_lo, exec_lo, s1
	s_delay_alu instid0(VALU_DEP_2) | instskip(NEXT) | instid1(VALU_DEP_2)
	v_fma_f64 v[24:25], v[24:25], v[28:29], -v[36:37]
	v_fma_f64 v[26:27], v[26:27], v[28:29], v[30:31]
	s_cbranch_vccnz .LBB106_47
; %bb.46:                               ;   in Loop: Header=BB106_41 Depth=1
	s_delay_alu instid0(VALU_DEP_1) | instskip(NEXT) | instid1(VALU_DEP_3)
	v_mul_f64 v[28:29], s[10:11], v[26:27]
	v_mul_f64 v[30:31], s[10:11], v[24:25]
	s_delay_alu instid0(VALU_DEP_2) | instskip(NEXT) | instid1(VALU_DEP_2)
	v_fma_f64 v[24:25], s[8:9], v[24:25], -v[28:29]
	v_fma_f64 v[26:27], s[8:9], v[26:27], v[30:31]
.LBB106_47:                             ;   in Loop: Header=BB106_41 Depth=1
	v_mul_f64 v[28:29], v[18:19], v[22:23]
	v_mul_f64 v[22:23], v[16:17], v[22:23]
	s_and_not1_b32 vcc_lo, exec_lo, s1
	s_delay_alu instid0(VALU_DEP_2) | instskip(NEXT) | instid1(VALU_DEP_2)
	v_fma_f64 v[16:17], v[16:17], v[20:21], -v[28:29]
	v_fma_f64 v[18:19], v[18:19], v[20:21], v[22:23]
	s_cbranch_vccnz .LBB106_40
; %bb.48:                               ;   in Loop: Header=BB106_41 Depth=1
	s_delay_alu instid0(VALU_DEP_1) | instskip(NEXT) | instid1(VALU_DEP_3)
	v_mul_f64 v[20:21], s[10:11], v[18:19]
	v_mul_f64 v[22:23], s[10:11], v[16:17]
	s_delay_alu instid0(VALU_DEP_2) | instskip(NEXT) | instid1(VALU_DEP_2)
	v_fma_f64 v[16:17], s[8:9], v[16:17], -v[20:21]
	v_fma_f64 v[18:19], s[8:9], v[18:19], v[22:23]
	s_branch .LBB106_40
.LBB106_49:
	s_nop 0
	s_sendmsg sendmsg(MSG_DEALLOC_VGPRS)
	s_endpgm
	.section	.rodata,"a",@progbits
	.p2align	6, 0x0
	.amdhsa_kernel _ZN2at6native12_GLOBAL__N_125multi_tensor_apply_kernelINS1_28TensorListScalarListMetadataIN3c107complexIdEELi3EEENS1_28PointwiseOpScalarListFunctorIS6_Li3ELi3ELi0EEEJSt10multipliesIS6_EEEEvT_T0_DpT1_
		.amdhsa_group_segment_fixed_size 0
		.amdhsa_private_segment_fixed_size 0
		.amdhsa_kernarg_size 4168
		.amdhsa_user_sgpr_count 15
		.amdhsa_user_sgpr_dispatch_ptr 0
		.amdhsa_user_sgpr_queue_ptr 0
		.amdhsa_user_sgpr_kernarg_segment_ptr 1
		.amdhsa_user_sgpr_dispatch_id 0
		.amdhsa_user_sgpr_private_segment_size 0
		.amdhsa_wavefront_size32 1
		.amdhsa_uses_dynamic_stack 0
		.amdhsa_enable_private_segment 0
		.amdhsa_system_sgpr_workgroup_id_x 1
		.amdhsa_system_sgpr_workgroup_id_y 0
		.amdhsa_system_sgpr_workgroup_id_z 0
		.amdhsa_system_sgpr_workgroup_info 0
		.amdhsa_system_vgpr_workitem_id 0
		.amdhsa_next_free_vgpr 77
		.amdhsa_next_free_sgpr 31
		.amdhsa_reserve_vcc 1
		.amdhsa_float_round_mode_32 0
		.amdhsa_float_round_mode_16_64 0
		.amdhsa_float_denorm_mode_32 3
		.amdhsa_float_denorm_mode_16_64 3
		.amdhsa_dx10_clamp 1
		.amdhsa_ieee_mode 1
		.amdhsa_fp16_overflow 0
		.amdhsa_workgroup_processor_mode 1
		.amdhsa_memory_ordered 1
		.amdhsa_forward_progress 0
		.amdhsa_shared_vgpr_count 0
		.amdhsa_exception_fp_ieee_invalid_op 0
		.amdhsa_exception_fp_denorm_src 0
		.amdhsa_exception_fp_ieee_div_zero 0
		.amdhsa_exception_fp_ieee_overflow 0
		.amdhsa_exception_fp_ieee_underflow 0
		.amdhsa_exception_fp_ieee_inexact 0
		.amdhsa_exception_int_div_zero 0
	.end_amdhsa_kernel
	.section	.text._ZN2at6native12_GLOBAL__N_125multi_tensor_apply_kernelINS1_28TensorListScalarListMetadataIN3c107complexIdEELi3EEENS1_28PointwiseOpScalarListFunctorIS6_Li3ELi3ELi0EEEJSt10multipliesIS6_EEEEvT_T0_DpT1_,"axG",@progbits,_ZN2at6native12_GLOBAL__N_125multi_tensor_apply_kernelINS1_28TensorListScalarListMetadataIN3c107complexIdEELi3EEENS1_28PointwiseOpScalarListFunctorIS6_Li3ELi3ELi0EEEJSt10multipliesIS6_EEEEvT_T0_DpT1_,comdat
.Lfunc_end106:
	.size	_ZN2at6native12_GLOBAL__N_125multi_tensor_apply_kernelINS1_28TensorListScalarListMetadataIN3c107complexIdEELi3EEENS1_28PointwiseOpScalarListFunctorIS6_Li3ELi3ELi0EEEJSt10multipliesIS6_EEEEvT_T0_DpT1_, .Lfunc_end106-_ZN2at6native12_GLOBAL__N_125multi_tensor_apply_kernelINS1_28TensorListScalarListMetadataIN3c107complexIdEELi3EEENS1_28PointwiseOpScalarListFunctorIS6_Li3ELi3ELi0EEEJSt10multipliesIS6_EEEEvT_T0_DpT1_
                                        ; -- End function
	.section	.AMDGPU.csdata,"",@progbits
; Kernel info:
; codeLenInByte = 2852
; NumSgprs: 33
; NumVgprs: 77
; ScratchSize: 0
; MemoryBound: 1
; FloatMode: 240
; IeeeMode: 1
; LDSByteSize: 0 bytes/workgroup (compile time only)
; SGPRBlocks: 4
; VGPRBlocks: 9
; NumSGPRsForWavesPerEU: 33
; NumVGPRsForWavesPerEU: 77
; Occupancy: 16
; WaveLimiterHint : 0
; COMPUTE_PGM_RSRC2:SCRATCH_EN: 0
; COMPUTE_PGM_RSRC2:USER_SGPR: 15
; COMPUTE_PGM_RSRC2:TRAP_HANDLER: 0
; COMPUTE_PGM_RSRC2:TGID_X_EN: 1
; COMPUTE_PGM_RSRC2:TGID_Y_EN: 0
; COMPUTE_PGM_RSRC2:TGID_Z_EN: 0
; COMPUTE_PGM_RSRC2:TIDIG_COMP_CNT: 0
	.section	.text._ZN2at6native12_GLOBAL__N_125multi_tensor_apply_kernelINS1_28TensorListScalarListMetadataIN3c107complexIfEELi3EEENS1_28PointwiseOpScalarListFunctorIS6_Li3ELi3ELi0EEEJSt10multipliesIS6_EEEEvT_T0_DpT1_,"axG",@progbits,_ZN2at6native12_GLOBAL__N_125multi_tensor_apply_kernelINS1_28TensorListScalarListMetadataIN3c107complexIfEELi3EEENS1_28PointwiseOpScalarListFunctorIS6_Li3ELi3ELi0EEEJSt10multipliesIS6_EEEEvT_T0_DpT1_,comdat
	.globl	_ZN2at6native12_GLOBAL__N_125multi_tensor_apply_kernelINS1_28TensorListScalarListMetadataIN3c107complexIfEELi3EEENS1_28PointwiseOpScalarListFunctorIS6_Li3ELi3ELi0EEEJSt10multipliesIS6_EEEEvT_T0_DpT1_ ; -- Begin function _ZN2at6native12_GLOBAL__N_125multi_tensor_apply_kernelINS1_28TensorListScalarListMetadataIN3c107complexIfEELi3EEENS1_28PointwiseOpScalarListFunctorIS6_Li3ELi3ELi0EEEJSt10multipliesIS6_EEEEvT_T0_DpT1_
	.p2align	8
	.type	_ZN2at6native12_GLOBAL__N_125multi_tensor_apply_kernelINS1_28TensorListScalarListMetadataIN3c107complexIfEELi3EEENS1_28PointwiseOpScalarListFunctorIS6_Li3ELi3ELi0EEEJSt10multipliesIS6_EEEEvT_T0_DpT1_,@function
_ZN2at6native12_GLOBAL__N_125multi_tensor_apply_kernelINS1_28TensorListScalarListMetadataIN3c107complexIfEELi3EEENS1_28PointwiseOpScalarListFunctorIS6_Li3ELi3ELi0EEEJSt10multipliesIS6_EEEEvT_T0_DpT1_: ; @_ZN2at6native12_GLOBAL__N_125multi_tensor_apply_kernelINS1_28TensorListScalarListMetadataIN3c107complexIfEELi3EEENS1_28PointwiseOpScalarListFunctorIS6_Li3ELi3ELi0EEEJSt10multipliesIS6_EEEEvT_T0_DpT1_
; %bb.0:
	v_mov_b32_e32 v1, s15
	s_add_u32 s2, s0, s15
	s_mul_hi_u32 s3, s15, 3
	s_mul_i32 s15, s15, 3
	s_addc_u32 s4, s1, 0
	global_load_u8 v1, v1, s[0:1] offset:1920
	s_add_u32 s2, s2, s15
	s_addc_u32 s3, s4, s3
	s_mov_b32 s25, 0
	s_load_b32 s2, s[2:3], 0x8c0
	s_waitcnt vmcnt(0)
	v_readfirstlane_b32 s5, v1
	s_delay_alu instid0(VALU_DEP_1)
	s_lshl_b32 s3, s5, 3
	s_clause 0x4
	s_load_b64 s[4:5], s[0:1], s3 offset:0x0
	s_load_b64 s[6:7], s[0:1], s3 offset:0x180
	;; [unrolled: 1-line block ×5, first 2 shown]
	s_waitcnt lgkmcnt(0)
	s_ashr_i32 s3, s2, 31
	s_delay_alu instid0(SALU_CYCLE_1) | instskip(NEXT) | instid1(SALU_CYCLE_1)
	s_lshl_b64 s[12:13], s[2:3], 19
	s_add_u32 s18, s4, s12
	s_addc_u32 s19, s5, s13
	s_add_u32 s20, s6, s12
	s_addc_u32 s21, s7, s13
	s_add_u32 s22, s16, s12
	s_addc_u32 s23, s17, s13
	s_or_b32 s10, s22, s20
	s_and_b32 s24, s18, 31
	s_and_b32 s10, s10, 31
	s_delay_alu instid0(SALU_CYCLE_1) | instskip(SKIP_2) | instid1(SALU_CYCLE_1)
	s_cmp_eq_u32 s10, 0
	s_cselect_b32 s26, -1, 0
	s_lshl_b64 s[2:3], s[2:3], 16
	s_sub_u32 s10, s14, s2
	s_subb_u32 s11, s15, s3
	s_and_b32 s2, s14, 3
	s_mov_b32 s3, s25
	s_delay_alu instid0(SALU_CYCLE_1) | instskip(NEXT) | instid1(SALU_CYCLE_1)
	s_or_b64 s[2:3], s[24:25], s[2:3]
	s_cmp_eq_u64 s[2:3], 0
	s_cselect_b32 s2, -1, 0
	s_delay_alu instid0(SALU_CYCLE_1) | instskip(NEXT) | instid1(SALU_CYCLE_1)
	s_and_b32 s2, s26, s2
	s_and_b32 vcc_lo, exec_lo, s2
	s_mov_b32 s2, -1
	s_cbranch_vccnz .LBB107_29
; %bb.1:
	v_cmp_lt_i64_e64 s2, s[10:11], 1
	s_delay_alu instid0(VALU_DEP_1)
	s_and_b32 vcc_lo, exec_lo, s2
	s_cbranch_vccnz .LBB107_28
; %bb.2:
	s_load_b32 s2, s[0:1], 0xdd4
	v_dual_mov_b32 v2, 0 :: v_dual_lshlrev_b32 v1, 3, v0
	v_cmp_gt_u64_e64 s3, 0x10000, s[10:11]
	v_cmp_eq_f32_e64 s24, s8, 1.0
	s_delay_alu instid0(VALU_DEP_3) | instskip(NEXT) | instid1(VALU_DEP_1)
	v_add_co_u32 v25, s14, s4, v1
	v_add_co_ci_u32_e64 v26, null, s5, 0, s14
	v_add_co_u32 v27, s14, s6, v1
	s_delay_alu instid0(VALU_DEP_1)
	v_add_co_ci_u32_e64 v28, null, s7, 0, s14
	s_waitcnt lgkmcnt(0)
	s_and_b32 s25, s2, 0xffff
	s_and_b32 s2, s3, exec_lo
	v_mad_u64_u32 v[3:4], null, s25, 24, v[1:2]
	s_cselect_b32 s15, s11, 0
	s_cselect_b32 s14, s10, 0x10000
	s_and_b32 s2, s9, 0x7fffffff
	s_lshl_b32 s3, s25, 1
	s_cmp_eq_u32 s2, 0
	v_add_co_u32 v29, s2, s16, v1
	s_delay_alu instid0(VALU_DEP_1)
	v_add_co_ci_u32_e64 v30, null, s17, 0, s2
	s_cselect_b32 s2, -1, 0
	v_add_co_u32 v31, vcc_lo, s4, v3
	s_and_b32 s2, s24, s2
	v_add_co_ci_u32_e32 v32, vcc_lo, s5, v4, vcc_lo
	s_lshl_b32 s24, s25, 4
	v_add_co_u32 v33, vcc_lo, s6, v3
	v_add_co_u32 v1, s24, s24, v1
	v_add_co_ci_u32_e32 v34, vcc_lo, s7, v4, vcc_lo
	s_mul_i32 s26, s25, 3
	v_add_co_u32 v35, vcc_lo, s16, v3
	v_add_co_ci_u32_e64 v2, null, 0, 0, s24
	v_add_co_ci_u32_e32 v36, vcc_lo, s17, v4, vcc_lo
	v_add_co_u32 v37, s24, s26, v0
	v_add_co_u32 v39, vcc_lo, s4, v1
	v_add_co_ci_u32_e64 v38, null, 0, 0, s24
	v_add_co_u32 v43, s24, v0, s25
	v_add_co_ci_u32_e32 v40, vcc_lo, s5, v2, vcc_lo
	v_add_co_u32 v41, vcc_lo, s6, v1
	v_add_co_ci_u32_e32 v42, vcc_lo, s7, v2, vcc_lo
	v_add_co_u32 v44, vcc_lo, s16, v1
	v_lshlrev_b32_e32 v1, 3, v43
	v_add_co_u32 v47, s3, s3, v0
	s_delay_alu instid0(VALU_DEP_1) | instskip(NEXT) | instid1(VALU_DEP_3)
	v_add_co_ci_u32_e64 v48, null, 0, 0, s3
	v_add_co_u32 v49, s3, s4, v1
	s_delay_alu instid0(VALU_DEP_1) | instskip(SKIP_1) | instid1(VALU_DEP_1)
	v_add_co_ci_u32_e64 v50, null, s5, 0, s3
	v_add_co_u32 v51, s3, s6, v1
	v_add_co_ci_u32_e64 v52, null, s7, 0, s3
	v_add_co_u32 v53, s3, s16, v1
	v_add_co_ci_u32_e32 v45, vcc_lo, s17, v2, vcc_lo
	v_add_co_ci_u32_e64 v46, null, 0, 0, s24
	v_add_co_ci_u32_e64 v54, null, s17, 0, s3
	s_lshl_b32 s7, s25, 2
	s_lshl_b32 s24, s25, 5
	s_mov_b64 s[16:17], 0
	s_branch .LBB107_4
.LBB107_3:                              ;   in Loop: Header=BB107_4 Depth=1
	s_or_b32 exec_lo, exec_lo, s3
	v_add_co_u32 v25, vcc_lo, v25, s24
	v_add_co_ci_u32_e32 v26, vcc_lo, 0, v26, vcc_lo
	v_add_co_u32 v27, vcc_lo, v27, s24
	v_add_co_ci_u32_e32 v28, vcc_lo, 0, v28, vcc_lo
	;; [unrolled: 2-line block ×9, first 2 shown]
	s_add_u32 s16, s16, s7
	v_add_co_u32 v49, vcc_lo, v49, s24
	s_addc_u32 s17, s17, 0
	v_add_co_ci_u32_e32 v50, vcc_lo, 0, v50, vcc_lo
	v_cmp_lt_i64_e64 s3, s[16:17], s[10:11]
	v_cmp_gt_u64_e64 s4, 0x10000, s[16:17]
	v_add_co_u32 v51, vcc_lo, v51, s24
	v_add_co_ci_u32_e32 v52, vcc_lo, 0, v52, vcc_lo
	v_add_co_u32 v53, vcc_lo, v53, s24
	v_add_co_ci_u32_e32 v54, vcc_lo, 0, v54, vcc_lo
	s_and_b32 s3, s3, s4
	s_delay_alu instid0(SALU_CYCLE_1)
	s_and_b32 vcc_lo, exec_lo, s3
	s_cbranch_vccz .LBB107_28
.LBB107_4:                              ; =>This Inner Loop Header: Depth=1
	s_waitcnt vmcnt(1)
	v_add_co_u32 v1, s3, v0, s16
	s_delay_alu instid0(VALU_DEP_1) | instskip(SKIP_2) | instid1(VALU_DEP_2)
	v_add_co_ci_u32_e64 v2, null, 0, s17, s3
	s_waitcnt vmcnt(0)
	v_dual_mov_b32 v4, 0 :: v_dual_mov_b32 v3, 0
	v_cmp_gt_u64_e32 vcc_lo, s[14:15], v[1:2]
	v_dual_mov_b32 v2, 0 :: v_dual_mov_b32 v1, 0
	s_and_saveexec_b32 s4, vcc_lo
	s_cbranch_execz .LBB107_6
; %bb.5:                                ;   in Loop: Header=BB107_4 Depth=1
	v_add_co_u32 v1, s3, v25, s12
	s_delay_alu instid0(VALU_DEP_1) | instskip(SKIP_1) | instid1(VALU_DEP_1)
	v_add_co_ci_u32_e64 v2, s3, s13, v26, s3
	v_add_co_u32 v3, s3, v27, s12
	v_add_co_ci_u32_e64 v4, s3, s13, v28, s3
	global_load_b64 v[1:2], v[1:2], off
	global_load_b64 v[3:4], v[3:4], off
.LBB107_6:                              ;   in Loop: Header=BB107_4 Depth=1
	s_or_b32 exec_lo, exec_lo, s4
	v_dual_mov_b32 v6, 0 :: v_dual_mov_b32 v9, 0
	v_mov_b32_e32 v10, 0
	s_and_saveexec_b32 s4, vcc_lo
	s_cbranch_execz .LBB107_8
; %bb.7:                                ;   in Loop: Header=BB107_4 Depth=1
	v_add_co_u32 v7, s3, v29, s12
	s_delay_alu instid0(VALU_DEP_1)
	v_add_co_ci_u32_e64 v8, s3, s13, v30, s3
	global_load_b64 v[9:10], v[7:8], off
.LBB107_8:                              ;   in Loop: Header=BB107_4 Depth=1
	s_or_b32 exec_lo, exec_lo, s4
	v_add_co_u32 v7, s3, v43, s16
	s_delay_alu instid0(VALU_DEP_1) | instskip(SKIP_1) | instid1(VALU_DEP_2)
	v_add_co_ci_u32_e64 v8, s3, s17, v46, s3
	v_mov_b32_e32 v5, 0
	v_cmp_gt_u64_e64 s3, s[14:15], v[7:8]
	v_dual_mov_b32 v8, 0 :: v_dual_mov_b32 v7, 0
	s_delay_alu instid0(VALU_DEP_2)
	s_and_saveexec_b32 s5, s3
	s_cbranch_execz .LBB107_10
; %bb.9:                                ;   in Loop: Header=BB107_4 Depth=1
	v_add_co_u32 v5, s4, v49, s12
	s_delay_alu instid0(VALU_DEP_1) | instskip(SKIP_1) | instid1(VALU_DEP_1)
	v_add_co_ci_u32_e64 v6, s4, s13, v50, s4
	v_add_co_u32 v11, s4, v51, s12
	v_add_co_ci_u32_e64 v12, s4, s13, v52, s4
	global_load_b64 v[7:8], v[5:6], off
	global_load_b64 v[5:6], v[11:12], off
.LBB107_10:                             ;   in Loop: Header=BB107_4 Depth=1
	s_or_b32 exec_lo, exec_lo, s5
	v_dual_mov_b32 v12, 0 :: v_dual_mov_b32 v15, 0
	v_mov_b32_e32 v16, 0
	s_and_saveexec_b32 s5, s3
	s_cbranch_execz .LBB107_12
; %bb.11:                               ;   in Loop: Header=BB107_4 Depth=1
	v_add_co_u32 v13, s4, v53, s12
	s_delay_alu instid0(VALU_DEP_1)
	v_add_co_ci_u32_e64 v14, s4, s13, v54, s4
	global_load_b64 v[15:16], v[13:14], off
.LBB107_12:                             ;   in Loop: Header=BB107_4 Depth=1
	s_or_b32 exec_lo, exec_lo, s5
	v_add_co_u32 v13, s4, v47, s16
	s_delay_alu instid0(VALU_DEP_1) | instskip(SKIP_1) | instid1(VALU_DEP_2)
	v_add_co_ci_u32_e64 v14, s4, s17, v48, s4
	v_mov_b32_e32 v11, 0
	v_cmp_gt_u64_e64 s4, s[14:15], v[13:14]
	v_dual_mov_b32 v14, 0 :: v_dual_mov_b32 v13, 0
	s_delay_alu instid0(VALU_DEP_2)
	s_and_saveexec_b32 s6, s4
	s_cbranch_execz .LBB107_14
; %bb.13:                               ;   in Loop: Header=BB107_4 Depth=1
	v_add_co_u32 v11, s5, v39, s12
	s_delay_alu instid0(VALU_DEP_1) | instskip(SKIP_1) | instid1(VALU_DEP_1)
	v_add_co_ci_u32_e64 v12, s5, s13, v40, s5
	v_add_co_u32 v17, s5, v41, s12
	v_add_co_ci_u32_e64 v18, s5, s13, v42, s5
	global_load_b64 v[13:14], v[11:12], off
	global_load_b64 v[11:12], v[17:18], off
.LBB107_14:                             ;   in Loop: Header=BB107_4 Depth=1
	s_or_b32 exec_lo, exec_lo, s6
	v_dual_mov_b32 v18, 0 :: v_dual_mov_b32 v21, 0
	v_mov_b32_e32 v22, 0
	s_and_saveexec_b32 s6, s4
	s_cbranch_execz .LBB107_16
; %bb.15:                               ;   in Loop: Header=BB107_4 Depth=1
	v_add_co_u32 v19, s5, v44, s12
	s_delay_alu instid0(VALU_DEP_1)
	v_add_co_ci_u32_e64 v20, s5, s13, v45, s5
	global_load_b64 v[21:22], v[19:20], off
.LBB107_16:                             ;   in Loop: Header=BB107_4 Depth=1
	s_or_b32 exec_lo, exec_lo, s6
	v_add_co_u32 v19, s5, v37, s16
	s_delay_alu instid0(VALU_DEP_1) | instskip(SKIP_1) | instid1(VALU_DEP_2)
	v_add_co_ci_u32_e64 v20, s5, s17, v38, s5
	v_mov_b32_e32 v17, 0
	v_cmp_gt_u64_e64 s5, s[14:15], v[19:20]
	v_dual_mov_b32 v20, 0 :: v_dual_mov_b32 v19, 0
	s_delay_alu instid0(VALU_DEP_2)
	s_and_saveexec_b32 s25, s5
	s_cbranch_execz .LBB107_18
; %bb.17:                               ;   in Loop: Header=BB107_4 Depth=1
	v_add_co_u32 v17, s6, v31, s12
	s_delay_alu instid0(VALU_DEP_1) | instskip(SKIP_1) | instid1(VALU_DEP_1)
	v_add_co_ci_u32_e64 v18, s6, s13, v32, s6
	v_add_co_u32 v23, s6, v33, s12
	v_add_co_ci_u32_e64 v24, s6, s13, v34, s6
	global_load_b64 v[19:20], v[17:18], off
	global_load_b64 v[17:18], v[23:24], off
.LBB107_18:                             ;   in Loop: Header=BB107_4 Depth=1
	s_or_b32 exec_lo, exec_lo, s25
	v_dual_mov_b32 v24, 0 :: v_dual_mov_b32 v23, 0
	s_and_saveexec_b32 s25, s5
	s_cbranch_execnz .LBB107_23
; %bb.19:                               ;   in Loop: Header=BB107_4 Depth=1
	s_or_b32 exec_lo, exec_lo, s25
	s_and_saveexec_b32 s6, vcc_lo
	s_cbranch_execnz .LBB107_24
.LBB107_20:                             ;   in Loop: Header=BB107_4 Depth=1
	s_or_b32 exec_lo, exec_lo, s6
	s_and_saveexec_b32 s6, s3
	s_cbranch_execnz .LBB107_25
.LBB107_21:                             ;   in Loop: Header=BB107_4 Depth=1
	s_or_b32 exec_lo, exec_lo, s6
	s_and_saveexec_b32 s3, s4
	s_cbranch_execnz .LBB107_26
.LBB107_22:                             ;   in Loop: Header=BB107_4 Depth=1
	s_or_b32 exec_lo, exec_lo, s3
	s_and_saveexec_b32 s3, s5
	s_cbranch_execz .LBB107_3
	s_branch .LBB107_27
.LBB107_23:                             ;   in Loop: Header=BB107_4 Depth=1
	v_add_co_u32 v23, s6, v35, s12
	s_delay_alu instid0(VALU_DEP_1)
	v_add_co_ci_u32_e64 v24, s6, s13, v36, s6
	global_load_b64 v[23:24], v[23:24], off
	s_or_b32 exec_lo, exec_lo, s25
	s_and_saveexec_b32 s6, vcc_lo
	s_cbranch_execz .LBB107_20
.LBB107_24:                             ;   in Loop: Header=BB107_4 Depth=1
	s_waitcnt vmcnt(0)
	v_mul_f32_e32 v55, v4, v10
	v_mul_f32_e32 v4, v4, v9
	s_delay_alu instid0(VALU_DEP_1) | instskip(NEXT) | instid1(VALU_DEP_1)
	v_fmac_f32_e32 v4, v3, v10
	v_mul_f32_e32 v10, s9, v4
	s_delay_alu instid0(VALU_DEP_4) | instskip(NEXT) | instid1(VALU_DEP_1)
	v_fma_f32 v9, v3, v9, -v55
	v_mul_f32_e32 v3, s9, v9
	s_delay_alu instid0(VALU_DEP_3) | instskip(NEXT) | instid1(VALU_DEP_2)
	v_fma_f32 v10, v9, s8, -v10
	v_fmac_f32_e32 v3, s8, v4
	s_delay_alu instid0(VALU_DEP_1) | instskip(NEXT) | instid1(VALU_DEP_3)
	v_cndmask_b32_e64 v3, v3, v4, s2
	v_cndmask_b32_e64 v4, v10, v9, s2
	s_delay_alu instid0(VALU_DEP_1)
	v_dual_add_f32 v2, v2, v3 :: v_dual_add_f32 v1, v1, v4
	v_add_co_u32 v3, vcc_lo, v25, s12
	v_add_co_ci_u32_e32 v4, vcc_lo, s13, v26, vcc_lo
	global_store_b64 v[3:4], v[1:2], off
	s_or_b32 exec_lo, exec_lo, s6
	s_and_saveexec_b32 s6, s3
	s_cbranch_execz .LBB107_21
.LBB107_25:                             ;   in Loop: Header=BB107_4 Depth=1
	s_waitcnt vmcnt(0)
	v_mul_f32_e32 v2, v6, v16
	s_delay_alu instid0(VALU_DEP_1) | instskip(NEXT) | instid1(VALU_DEP_1)
	v_fma_f32 v2, v5, v15, -v2
	v_dual_mul_f32 v1, v6, v15 :: v_dual_mul_f32 v4, s9, v2
	s_delay_alu instid0(VALU_DEP_1) | instskip(NEXT) | instid1(VALU_DEP_1)
	v_fmac_f32_e32 v1, v5, v16
	v_mul_f32_e32 v3, s9, v1
	s_delay_alu instid0(VALU_DEP_1) | instskip(NEXT) | instid1(VALU_DEP_1)
	v_fma_f32 v3, v2, s8, -v3
	v_cndmask_b32_e64 v2, v3, v2, s2
	v_fmac_f32_e32 v4, s8, v1
	s_delay_alu instid0(VALU_DEP_1) | instskip(NEXT) | instid1(VALU_DEP_1)
	v_cndmask_b32_e64 v3, v4, v1, s2
	v_dual_add_f32 v1, v7, v2 :: v_dual_add_f32 v2, v8, v3
	v_add_co_u32 v3, vcc_lo, v49, s12
	v_add_co_ci_u32_e32 v4, vcc_lo, s13, v50, vcc_lo
	global_store_b64 v[3:4], v[1:2], off
	s_or_b32 exec_lo, exec_lo, s6
	s_and_saveexec_b32 s3, s4
	s_cbranch_execz .LBB107_22
.LBB107_26:                             ;   in Loop: Header=BB107_4 Depth=1
	s_waitcnt vmcnt(0)
	v_mul_f32_e32 v2, v12, v22
	s_delay_alu instid0(VALU_DEP_1) | instskip(NEXT) | instid1(VALU_DEP_1)
	v_fma_f32 v2, v11, v21, -v2
	v_dual_mul_f32 v1, v12, v21 :: v_dual_mul_f32 v4, s9, v2
	s_delay_alu instid0(VALU_DEP_1) | instskip(NEXT) | instid1(VALU_DEP_1)
	v_fmac_f32_e32 v1, v11, v22
	v_mul_f32_e32 v3, s9, v1
	s_delay_alu instid0(VALU_DEP_1) | instskip(NEXT) | instid1(VALU_DEP_1)
	v_fma_f32 v3, v2, s8, -v3
	v_cndmask_b32_e64 v2, v3, v2, s2
	v_fmac_f32_e32 v4, s8, v1
	s_delay_alu instid0(VALU_DEP_1) | instskip(NEXT) | instid1(VALU_DEP_1)
	v_cndmask_b32_e64 v3, v4, v1, s2
	v_dual_add_f32 v1, v13, v2 :: v_dual_add_f32 v2, v14, v3
	v_add_co_u32 v3, vcc_lo, v39, s12
	v_add_co_ci_u32_e32 v4, vcc_lo, s13, v40, vcc_lo
	global_store_b64 v[3:4], v[1:2], off
	s_or_b32 exec_lo, exec_lo, s3
	s_and_saveexec_b32 s3, s5
	s_cbranch_execz .LBB107_3
.LBB107_27:                             ;   in Loop: Header=BB107_4 Depth=1
	s_waitcnt vmcnt(0)
	v_mul_f32_e32 v2, v18, v24
	s_delay_alu instid0(VALU_DEP_1) | instskip(NEXT) | instid1(VALU_DEP_1)
	v_fma_f32 v2, v17, v23, -v2
	v_dual_mul_f32 v1, v18, v23 :: v_dual_mul_f32 v4, s9, v2
	s_delay_alu instid0(VALU_DEP_1) | instskip(NEXT) | instid1(VALU_DEP_1)
	v_fmac_f32_e32 v1, v17, v24
	v_mul_f32_e32 v3, s9, v1
	s_delay_alu instid0(VALU_DEP_1) | instskip(NEXT) | instid1(VALU_DEP_1)
	v_fma_f32 v3, v2, s8, -v3
	v_cndmask_b32_e64 v2, v3, v2, s2
	v_fmac_f32_e32 v4, s8, v1
	s_delay_alu instid0(VALU_DEP_1) | instskip(NEXT) | instid1(VALU_DEP_1)
	v_cndmask_b32_e64 v3, v4, v1, s2
	v_dual_add_f32 v1, v19, v2 :: v_dual_add_f32 v2, v20, v3
	v_add_co_u32 v3, vcc_lo, v31, s12
	v_add_co_ci_u32_e32 v4, vcc_lo, s13, v32, vcc_lo
	global_store_b64 v[3:4], v[1:2], off
	s_branch .LBB107_3
.LBB107_28:
	s_mov_b32 s2, 0
.LBB107_29:
	s_delay_alu instid0(SALU_CYCLE_1)
	s_and_not1_b32 vcc_lo, exec_lo, s2
	s_cbranch_vccnz .LBB107_33
; %bb.30:
	s_waitcnt vmcnt(1)
	v_dual_mov_b32 v2, 0 :: v_dual_lshlrev_b32 v1, 2, v0
	s_mov_b32 s3, 0
	s_mov_b32 s2, exec_lo
	s_delay_alu instid0(VALU_DEP_1)
	v_cmpx_gt_i64_e64 s[10:11], v[1:2]
	s_cbranch_execz .LBB107_33
; %bb.31:
	s_load_b32 s0, s[0:1], 0xdd4
	s_and_b32 s1, s9, 0x7fffffff
	s_delay_alu instid0(SALU_CYCLE_1)
	s_cmp_eq_u32 s1, 0
	v_cmp_eq_f32_e64 s1, s8, 1.0
	s_cselect_b32 s2, -1, 0
	s_delay_alu instid0(VALU_DEP_1) | instid1(SALU_CYCLE_1)
	s_and_b32 vcc_lo, s1, s2
	s_waitcnt lgkmcnt(0)
	s_and_b32 s0, s0, 0xffff
	s_delay_alu instid0(SALU_CYCLE_1)
	v_add_lshl_u32 v1, v0, s0, 2
	v_lshlrev_b32_e32 v0, 5, v0
	s_lshl_b32 s4, s0, 2
	s_lshl_b32 s5, s0, 5
.LBB107_32:                             ; =>This Inner Loop Header: Depth=1
	s_waitcnt vmcnt(0)
	s_delay_alu instid0(VALU_DEP_1) | instskip(NEXT) | instid1(VALU_DEP_1)
	v_add_co_u32 v11, s0, s20, v0
	v_add_co_ci_u32_e64 v12, null, s21, 0, s0
	v_add_co_u32 v15, s0, s22, v0
	s_delay_alu instid0(VALU_DEP_1)
	v_add_co_ci_u32_e64 v16, null, s23, 0, s0
	global_load_b128 v[3:6], v[11:12], off
	global_load_b128 v[7:10], v[15:16], off
	global_load_b128 v[11:14], v[11:12], off offset:16
	global_load_b128 v[15:18], v[15:16], off offset:16
	v_add_co_u32 v27, s0, s18, v0
	s_delay_alu instid0(VALU_DEP_1)
	v_add_co_ci_u32_e64 v28, null, s19, 0, s0
	s_clause 0x1
	global_load_b128 v[19:22], v[27:28], off
	global_load_b128 v[23:26], v[27:28], off offset:16
	v_cmp_le_i64_e64 s0, s[10:11], v[1:2]
	v_cmp_lt_u64_e64 s1, 0xffff, v[1:2]
	v_add_co_u32 v1, s2, v1, s4
	s_delay_alu instid0(VALU_DEP_1) | instskip(NEXT) | instid1(VALU_DEP_3)
	v_add_co_ci_u32_e64 v2, s2, 0, v2, s2
	s_or_b32 s0, s0, s1
	s_add_u32 s18, s18, s5
	s_addc_u32 s19, s19, 0
	s_add_u32 s22, s22, s5
	s_addc_u32 s23, s23, 0
	;; [unrolled: 2-line block ×3, first 2 shown]
	s_and_b32 s0, exec_lo, s0
	s_delay_alu instid0(SALU_CYCLE_1)
	s_or_b32 s3, s0, s3
	s_waitcnt vmcnt(4)
	v_dual_mul_f32 v29, v4, v8 :: v_dual_mul_f32 v30, v6, v10
	v_mul_f32_e32 v8, v3, v8
	s_waitcnt vmcnt(2)
	v_dual_mul_f32 v10, v5, v10 :: v_dual_mul_f32 v31, v12, v16
	s_delay_alu instid0(VALU_DEP_3) | instskip(NEXT) | instid1(VALU_DEP_3)
	v_fma_f32 v3, v3, v7, -v29
	v_fmac_f32_e32 v8, v4, v7
	s_delay_alu instid0(VALU_DEP_3)
	v_fmac_f32_e32 v10, v6, v9
	v_mul_f32_e32 v16, v11, v16
	v_mul_f32_e32 v32, v14, v18
	v_fma_f32 v4, v5, v9, -v30
	v_mul_f32_e32 v7, s9, v8
	v_fma_f32 v5, v11, v15, -v31
	v_mul_f32_e32 v9, s9, v3
	v_dual_mul_f32 v11, s9, v10 :: v_dual_fmac_f32 v16, v12, v15
	v_mul_f32_e32 v18, v13, v18
	v_fma_f32 v6, v13, v17, -v32
	v_fma_f32 v7, v3, s8, -v7
	s_delay_alu instid0(VALU_DEP_4) | instskip(NEXT) | instid1(VALU_DEP_4)
	v_fma_f32 v11, v4, s8, -v11
	v_dual_mul_f32 v13, s9, v16 :: v_dual_fmac_f32 v18, v14, v17
	s_delay_alu instid0(VALU_DEP_4) | instskip(NEXT) | instid1(VALU_DEP_4)
	v_mul_f32_e32 v17, s9, v6
	v_dual_cndmask_b32 v3, v7, v3 :: v_dual_mul_f32 v12, s9, v4
	s_delay_alu instid0(VALU_DEP_3) | instskip(NEXT) | instid1(VALU_DEP_4)
	v_fma_f32 v13, v5, s8, -v13
	v_mul_f32_e32 v15, s9, v18
	s_delay_alu instid0(VALU_DEP_4) | instskip(SKIP_4) | instid1(VALU_DEP_3)
	v_fmac_f32_e32 v17, s8, v18
	v_dual_fmac_f32 v9, s8, v8 :: v_dual_mul_f32 v14, s9, v5
	s_waitcnt vmcnt(1)
	v_add_f32_e32 v3, v19, v3
	v_fma_f32 v15, v6, s8, -v15
	v_cndmask_b32_e32 v7, v9, v8, vcc_lo
	v_fmac_f32_e32 v14, s8, v16
	v_fmac_f32_e32 v12, s8, v10
	v_cndmask_b32_e32 v8, v11, v4, vcc_lo
	s_delay_alu instid0(VALU_DEP_3) | instskip(NEXT) | instid1(VALU_DEP_3)
	v_cndmask_b32_e32 v11, v14, v16, vcc_lo
	v_dual_cndmask_b32 v9, v12, v10 :: v_dual_cndmask_b32 v10, v13, v5
	v_cndmask_b32_e32 v13, v17, v18, vcc_lo
	s_delay_alu instid0(VALU_DEP_4) | instskip(SKIP_1) | instid1(VALU_DEP_3)
	v_dual_cndmask_b32 v12, v15, v6 :: v_dual_add_f32 v5, v21, v8
	s_waitcnt vmcnt(0)
	v_dual_add_f32 v4, v20, v7 :: v_dual_add_f32 v7, v23, v10
	s_delay_alu instid0(VALU_DEP_2)
	v_dual_add_f32 v6, v22, v9 :: v_dual_add_f32 v9, v25, v12
	v_add_f32_e32 v8, v24, v11
	v_add_f32_e32 v10, v26, v13
	s_clause 0x1
	global_store_b128 v[27:28], v[3:6], off
	global_store_b128 v[27:28], v[7:10], off offset:16
	s_and_not1_b32 exec_lo, exec_lo, s3
	s_cbranch_execnz .LBB107_32
.LBB107_33:
	s_nop 0
	s_sendmsg sendmsg(MSG_DEALLOC_VGPRS)
	s_endpgm
	.section	.rodata,"a",@progbits
	.p2align	6, 0x0
	.amdhsa_kernel _ZN2at6native12_GLOBAL__N_125multi_tensor_apply_kernelINS1_28TensorListScalarListMetadataIN3c107complexIfEELi3EEENS1_28PointwiseOpScalarListFunctorIS6_Li3ELi3ELi0EEEJSt10multipliesIS6_EEEEvT_T0_DpT1_
		.amdhsa_group_segment_fixed_size 0
		.amdhsa_private_segment_fixed_size 0
		.amdhsa_kernarg_size 3784
		.amdhsa_user_sgpr_count 15
		.amdhsa_user_sgpr_dispatch_ptr 0
		.amdhsa_user_sgpr_queue_ptr 0
		.amdhsa_user_sgpr_kernarg_segment_ptr 1
		.amdhsa_user_sgpr_dispatch_id 0
		.amdhsa_user_sgpr_private_segment_size 0
		.amdhsa_wavefront_size32 1
		.amdhsa_uses_dynamic_stack 0
		.amdhsa_enable_private_segment 0
		.amdhsa_system_sgpr_workgroup_id_x 1
		.amdhsa_system_sgpr_workgroup_id_y 0
		.amdhsa_system_sgpr_workgroup_id_z 0
		.amdhsa_system_sgpr_workgroup_info 0
		.amdhsa_system_vgpr_workitem_id 0
		.amdhsa_next_free_vgpr 56
		.amdhsa_next_free_sgpr 27
		.amdhsa_reserve_vcc 1
		.amdhsa_float_round_mode_32 0
		.amdhsa_float_round_mode_16_64 0
		.amdhsa_float_denorm_mode_32 3
		.amdhsa_float_denorm_mode_16_64 3
		.amdhsa_dx10_clamp 1
		.amdhsa_ieee_mode 1
		.amdhsa_fp16_overflow 0
		.amdhsa_workgroup_processor_mode 1
		.amdhsa_memory_ordered 1
		.amdhsa_forward_progress 0
		.amdhsa_shared_vgpr_count 0
		.amdhsa_exception_fp_ieee_invalid_op 0
		.amdhsa_exception_fp_denorm_src 0
		.amdhsa_exception_fp_ieee_div_zero 0
		.amdhsa_exception_fp_ieee_overflow 0
		.amdhsa_exception_fp_ieee_underflow 0
		.amdhsa_exception_fp_ieee_inexact 0
		.amdhsa_exception_int_div_zero 0
	.end_amdhsa_kernel
	.section	.text._ZN2at6native12_GLOBAL__N_125multi_tensor_apply_kernelINS1_28TensorListScalarListMetadataIN3c107complexIfEELi3EEENS1_28PointwiseOpScalarListFunctorIS6_Li3ELi3ELi0EEEJSt10multipliesIS6_EEEEvT_T0_DpT1_,"axG",@progbits,_ZN2at6native12_GLOBAL__N_125multi_tensor_apply_kernelINS1_28TensorListScalarListMetadataIN3c107complexIfEELi3EEENS1_28PointwiseOpScalarListFunctorIS6_Li3ELi3ELi0EEEJSt10multipliesIS6_EEEEvT_T0_DpT1_,comdat
.Lfunc_end107:
	.size	_ZN2at6native12_GLOBAL__N_125multi_tensor_apply_kernelINS1_28TensorListScalarListMetadataIN3c107complexIfEELi3EEENS1_28PointwiseOpScalarListFunctorIS6_Li3ELi3ELi0EEEJSt10multipliesIS6_EEEEvT_T0_DpT1_, .Lfunc_end107-_ZN2at6native12_GLOBAL__N_125multi_tensor_apply_kernelINS1_28TensorListScalarListMetadataIN3c107complexIfEELi3EEENS1_28PointwiseOpScalarListFunctorIS6_Li3ELi3ELi0EEEJSt10multipliesIS6_EEEEvT_T0_DpT1_
                                        ; -- End function
	.section	.AMDGPU.csdata,"",@progbits
; Kernel info:
; codeLenInByte = 2620
; NumSgprs: 29
; NumVgprs: 56
; ScratchSize: 0
; MemoryBound: 0
; FloatMode: 240
; IeeeMode: 1
; LDSByteSize: 0 bytes/workgroup (compile time only)
; SGPRBlocks: 3
; VGPRBlocks: 6
; NumSGPRsForWavesPerEU: 29
; NumVGPRsForWavesPerEU: 56
; Occupancy: 16
; WaveLimiterHint : 1
; COMPUTE_PGM_RSRC2:SCRATCH_EN: 0
; COMPUTE_PGM_RSRC2:USER_SGPR: 15
; COMPUTE_PGM_RSRC2:TRAP_HANDLER: 0
; COMPUTE_PGM_RSRC2:TGID_X_EN: 1
; COMPUTE_PGM_RSRC2:TGID_Y_EN: 0
; COMPUTE_PGM_RSRC2:TGID_Z_EN: 0
; COMPUTE_PGM_RSRC2:TIDIG_COMP_CNT: 0
	.section	.text._ZN2at6native12_GLOBAL__N_125multi_tensor_apply_kernelINS1_28TensorListScalarListMetadataIfLi3EEENS1_28PointwiseOpScalarListFunctorIN3c104HalfELi3ELi3ELi0EEEJSt10multipliesIfEEEEvT_T0_DpT1_,"axG",@progbits,_ZN2at6native12_GLOBAL__N_125multi_tensor_apply_kernelINS1_28TensorListScalarListMetadataIfLi3EEENS1_28PointwiseOpScalarListFunctorIN3c104HalfELi3ELi3ELi0EEEJSt10multipliesIfEEEEvT_T0_DpT1_,comdat
	.globl	_ZN2at6native12_GLOBAL__N_125multi_tensor_apply_kernelINS1_28TensorListScalarListMetadataIfLi3EEENS1_28PointwiseOpScalarListFunctorIN3c104HalfELi3ELi3ELi0EEEJSt10multipliesIfEEEEvT_T0_DpT1_ ; -- Begin function _ZN2at6native12_GLOBAL__N_125multi_tensor_apply_kernelINS1_28TensorListScalarListMetadataIfLi3EEENS1_28PointwiseOpScalarListFunctorIN3c104HalfELi3ELi3ELi0EEEJSt10multipliesIfEEEEvT_T0_DpT1_
	.p2align	8
	.type	_ZN2at6native12_GLOBAL__N_125multi_tensor_apply_kernelINS1_28TensorListScalarListMetadataIfLi3EEENS1_28PointwiseOpScalarListFunctorIN3c104HalfELi3ELi3ELi0EEEJSt10multipliesIfEEEEvT_T0_DpT1_,@function
_ZN2at6native12_GLOBAL__N_125multi_tensor_apply_kernelINS1_28TensorListScalarListMetadataIfLi3EEENS1_28PointwiseOpScalarListFunctorIN3c104HalfELi3ELi3ELi0EEEJSt10multipliesIfEEEEvT_T0_DpT1_: ; @_ZN2at6native12_GLOBAL__N_125multi_tensor_apply_kernelINS1_28TensorListScalarListMetadataIfLi3EEENS1_28PointwiseOpScalarListFunctorIN3c104HalfELi3ELi3ELi0EEEJSt10multipliesIfEEEEvT_T0_DpT1_
; %bb.0:
	v_mov_b32_e32 v1, s15
	s_add_u32 s2, s0, s15
	s_mul_i32 s3, s15, 3
	s_mul_hi_u32 s4, s15, 3
	s_addc_u32 s5, s1, 0
	global_load_u8 v1, v1, s[0:1] offset:1728
	s_add_u32 s2, s2, s3
	s_addc_u32 s3, s5, s4
	s_load_b32 s6, s[2:3], 0x800
	s_waitcnt lgkmcnt(0)
	s_ashr_i32 s7, s6, 31
	s_waitcnt vmcnt(0)
	v_readfirstlane_b32 s2, v1
	v_lshlrev_b32_e32 v1, 2, v1
	s_delay_alu instid0(VALU_DEP_2)
	s_lshl_b32 s8, s2, 3
	s_clause 0x2
	s_load_b64 s[2:3], s[0:1], s8 offset:0x0
	s_load_b64 s[4:5], s[0:1], s8 offset:0x180
	;; [unrolled: 1-line block ×3, first 2 shown]
	s_add_u32 s9, s0, s8
	s_addc_u32 s10, s1, 0
	v_sub_co_u32 v1, s9, s9, v1
	s_delay_alu instid0(VALU_DEP_1) | instskip(SKIP_1) | instid1(VALU_DEP_2)
	v_sub_co_ci_u32_e64 v2, null, s10, 0, s9
	s_load_b64 s[10:11], s[0:1], s8 offset:0x480
	v_readfirstlane_b32 s20, v1
	s_delay_alu instid0(VALU_DEP_2)
	v_readfirstlane_b32 s21, v2
	s_load_b32 s20, s[20:21], 0x600
	s_lshl_b64 s[8:9], s[6:7], 17
	s_waitcnt lgkmcnt(0)
	s_add_u32 s14, s2, s8
	s_addc_u32 s15, s3, s9
	s_and_b32 s22, s14, 7
	s_add_u32 s16, s4, s8
	s_addc_u32 s17, s5, s9
	s_add_u32 s18, s12, s8
	s_addc_u32 s19, s13, s9
	s_or_b32 s23, s18, s16
	s_delay_alu instid0(SALU_CYCLE_1) | instskip(NEXT) | instid1(SALU_CYCLE_1)
	s_and_b32 s23, s23, 7
	s_cmp_eq_u32 s23, 0
	s_cselect_b32 s21, -1, 0
	s_lshl_b64 s[6:7], s[6:7], 16
	s_delay_alu instid0(SALU_CYCLE_1) | instskip(SKIP_4) | instid1(SALU_CYCLE_1)
	s_sub_u32 s6, s10, s6
	s_subb_u32 s7, s11, s7
	s_and_b32 s10, s10, 3
	s_mov_b32 s11, 0
	s_or_b32 s10, s22, s10
	s_cmp_eq_u64 s[10:11], 0
	s_cselect_b32 s10, -1, 0
	s_delay_alu instid0(SALU_CYCLE_1) | instskip(NEXT) | instid1(SALU_CYCLE_1)
	s_and_b32 s10, s21, s10
	s_and_b32 vcc_lo, exec_lo, s10
	s_mov_b32 s10, -1
	s_cbranch_vccnz .LBB108_45
; %bb.1:
	v_cmp_lt_i64_e64 s10, s[6:7], 1
	s_delay_alu instid0(VALU_DEP_1)
	s_and_b32 vcc_lo, exec_lo, s10
	s_cbranch_vccnz .LBB108_44
; %bb.2:
	s_load_b32 s10, s[0:1], 0xd14
	v_dual_mov_b32 v14, 0 :: v_dual_lshlrev_b32 v13, 1, v0
	v_cmp_gt_u64_e64 s11, 0x10000, s[6:7]
	v_cmp_neq_f32_e64 s21, s20, 1.0
	s_delay_alu instid0(VALU_DEP_3) | instskip(NEXT) | instid1(VALU_DEP_1)
	v_add_co_u32 v1, s22, s2, v13
	v_add_co_ci_u32_e64 v2, null, s3, 0, s22
	v_add_co_u32 v3, s22, s4, v13
	s_delay_alu instid0(VALU_DEP_1) | instskip(SKIP_1) | instid1(VALU_DEP_1)
	v_add_co_ci_u32_e64 v4, null, s5, 0, s22
	v_add_co_u32 v5, s22, s12, v13
	v_add_co_ci_u32_e64 v6, null, s13, 0, s22
	s_waitcnt lgkmcnt(0)
	s_and_b32 s23, s10, 0xffff
	s_and_b32 s10, s11, exec_lo
	v_mad_u64_u32 v[11:12], null, s23, 6, v[13:14]
	s_cselect_b32 s11, s7, 0
	s_cselect_b32 s10, s6, 0x10000
	s_mul_i32 s25, s23, 3
	s_lshl_b32 s22, s23, 2
	s_lshl_b32 s24, s23, 1
	v_add_co_u32 v20, s26, s22, v13
	v_add_co_u32 v13, s25, s25, v0
	v_add_co_u32 v7, vcc_lo, s2, v11
	v_add_co_ci_u32_e64 v14, null, 0, 0, s25
	v_add_co_u32 v19, s25, v0, s23
	v_add_co_ci_u32_e32 v8, vcc_lo, s3, v12, vcc_lo
	v_add_co_u32 v9, vcc_lo, s4, v11
	v_add_co_ci_u32_e32 v10, vcc_lo, s5, v12, vcc_lo
	v_add_co_u32 v11, vcc_lo, s12, v11
	v_add_co_ci_u32_e64 v21, null, 0, 0, s26
	v_lshlrev_b32_e32 v29, 1, v19
	v_add_co_ci_u32_e32 v12, vcc_lo, s13, v12, vcc_lo
	v_add_co_u32 v15, vcc_lo, s2, v20
	s_delay_alu instid0(VALU_DEP_4) | instskip(NEXT) | instid1(VALU_DEP_4)
	v_add_co_ci_u32_e32 v16, vcc_lo, s3, v21, vcc_lo
	v_add_co_u32 v25, s2, s2, v29
	v_add_co_u32 v17, vcc_lo, s4, v20
	v_add_co_ci_u32_e64 v26, null, s3, 0, s2
	v_add_co_u32 v27, s2, s4, v29
	v_add_co_ci_u32_e32 v18, vcc_lo, s5, v21, vcc_lo
	v_add_co_u32 v20, vcc_lo, s12, v20
	v_add_co_u32 v23, s24, s24, v0
	v_add_co_ci_u32_e64 v28, null, s5, 0, s2
	v_add_co_u32 v29, s2, s12, v29
	v_add_co_ci_u32_e32 v21, vcc_lo, s13, v21, vcc_lo
	v_add_co_ci_u32_e64 v22, null, 0, 0, s25
	v_add_co_ci_u32_e64 v24, null, 0, 0, s24
	;; [unrolled: 1-line block ×3, first 2 shown]
	s_lshl_b32 s23, s23, 3
	s_mov_b64 s[12:13], 0
	s_branch .LBB108_4
.LBB108_3:                              ;   in Loop: Header=BB108_4 Depth=1
	s_or_b32 exec_lo, exec_lo, s2
	v_add_co_u32 v1, vcc_lo, v1, s23
	v_add_co_ci_u32_e32 v2, vcc_lo, 0, v2, vcc_lo
	v_add_co_u32 v3, vcc_lo, v3, s23
	v_add_co_ci_u32_e32 v4, vcc_lo, 0, v4, vcc_lo
	;; [unrolled: 2-line block ×9, first 2 shown]
	s_add_u32 s12, s12, s22
	v_add_co_u32 v25, vcc_lo, v25, s23
	s_addc_u32 s13, s13, 0
	v_add_co_ci_u32_e32 v26, vcc_lo, 0, v26, vcc_lo
	v_cmp_ge_i64_e64 s2, s[12:13], s[6:7]
	v_cmp_lt_u64_e64 s3, 0xffff, s[12:13]
	v_add_co_u32 v27, vcc_lo, v27, s23
	v_add_co_ci_u32_e32 v28, vcc_lo, 0, v28, vcc_lo
	v_add_co_u32 v29, vcc_lo, v29, s23
	v_add_co_ci_u32_e32 v30, vcc_lo, 0, v30, vcc_lo
	s_or_b32 s2, s2, s3
	s_delay_alu instid0(SALU_CYCLE_1)
	s_and_b32 vcc_lo, exec_lo, s2
	s_cbranch_vccnz .LBB108_44
.LBB108_4:                              ; =>This Inner Loop Header: Depth=1
	v_add_co_u32 v31, s2, v0, s12
	s_delay_alu instid0(VALU_DEP_1) | instskip(SKIP_1) | instid1(VALU_DEP_2)
	v_add_co_ci_u32_e64 v32, null, 0, s13, s2
	v_dual_mov_b32 v33, 0 :: v_dual_mov_b32 v34, 0
	v_cmp_gt_u64_e64 s2, s[10:11], v[31:32]
	s_delay_alu instid0(VALU_DEP_1)
	s_and_saveexec_b32 s3, s2
	s_cbranch_execz .LBB108_6
; %bb.5:                                ;   in Loop: Header=BB108_4 Depth=1
	v_add_co_u32 v31, vcc_lo, v1, s8
	v_add_co_ci_u32_e32 v32, vcc_lo, s9, v2, vcc_lo
	v_add_co_u32 v34, vcc_lo, v3, s8
	v_add_co_ci_u32_e32 v35, vcc_lo, s9, v4, vcc_lo
	global_load_u16 v33, v[31:32], off
	global_load_u16 v34, v[34:35], off
.LBB108_6:                              ;   in Loop: Header=BB108_4 Depth=1
	s_or_b32 exec_lo, exec_lo, s3
	v_mov_b32_e32 v31, 0
	v_mov_b32_e32 v37, 0
	s_and_saveexec_b32 s3, s2
	s_cbranch_execz .LBB108_8
; %bb.7:                                ;   in Loop: Header=BB108_4 Depth=1
	v_add_co_u32 v35, vcc_lo, v5, s8
	v_add_co_ci_u32_e32 v36, vcc_lo, s9, v6, vcc_lo
	global_load_u16 v37, v[35:36], off
.LBB108_8:                              ;   in Loop: Header=BB108_4 Depth=1
	s_or_b32 exec_lo, exec_lo, s3
	v_add_co_u32 v35, vcc_lo, v19, s12
	v_add_co_ci_u32_e32 v36, vcc_lo, s13, v22, vcc_lo
	s_delay_alu instid0(VALU_DEP_1) | instskip(SKIP_1) | instid1(VALU_DEP_2)
	v_cmp_gt_u64_e64 s3, s[10:11], v[35:36]
	v_mov_b32_e32 v36, 0
	s_and_saveexec_b32 s4, s3
	s_cbranch_execz .LBB108_10
; %bb.9:                                ;   in Loop: Header=BB108_4 Depth=1
	v_add_co_u32 v31, vcc_lo, v25, s8
	v_add_co_ci_u32_e32 v32, vcc_lo, s9, v26, vcc_lo
	v_add_co_u32 v35, vcc_lo, v27, s8
	v_add_co_ci_u32_e32 v36, vcc_lo, s9, v28, vcc_lo
	global_load_u16 v31, v[31:32], off
	global_load_u16 v36, v[35:36], off
.LBB108_10:                             ;   in Loop: Header=BB108_4 Depth=1
	s_or_b32 exec_lo, exec_lo, s4
	v_dual_mov_b32 v32, 0 :: v_dual_mov_b32 v39, 0
	s_and_saveexec_b32 s4, s3
	s_cbranch_execz .LBB108_12
; %bb.11:                               ;   in Loop: Header=BB108_4 Depth=1
	v_add_co_u32 v38, vcc_lo, v29, s8
	v_add_co_ci_u32_e32 v39, vcc_lo, s9, v30, vcc_lo
	global_load_u16 v39, v[38:39], off
.LBB108_12:                             ;   in Loop: Header=BB108_4 Depth=1
	s_or_b32 exec_lo, exec_lo, s4
	v_add_co_u32 v40, vcc_lo, v23, s12
	v_add_co_ci_u32_e32 v41, vcc_lo, s13, v24, vcc_lo
	v_mov_b32_e32 v38, 0
	s_delay_alu instid0(VALU_DEP_2) | instskip(NEXT) | instid1(VALU_DEP_1)
	v_cmp_gt_u64_e64 s4, s[10:11], v[40:41]
	s_and_saveexec_b32 s5, s4
	s_cbranch_execz .LBB108_14
; %bb.13:                               ;   in Loop: Header=BB108_4 Depth=1
	v_add_co_u32 v40, vcc_lo, v15, s8
	v_add_co_ci_u32_e32 v41, vcc_lo, s9, v16, vcc_lo
	v_add_co_u32 v42, vcc_lo, v17, s8
	v_add_co_ci_u32_e32 v43, vcc_lo, s9, v18, vcc_lo
	global_load_u16 v32, v[40:41], off
	global_load_u16 v38, v[42:43], off
.LBB108_14:                             ;   in Loop: Header=BB108_4 Depth=1
	s_or_b32 exec_lo, exec_lo, s5
	v_mov_b32_e32 v35, 0
	v_mov_b32_e32 v41, 0
	s_and_saveexec_b32 s5, s4
	s_cbranch_execz .LBB108_16
; %bb.15:                               ;   in Loop: Header=BB108_4 Depth=1
	v_add_co_u32 v40, vcc_lo, v20, s8
	v_add_co_ci_u32_e32 v41, vcc_lo, s9, v21, vcc_lo
	global_load_u16 v41, v[40:41], off
.LBB108_16:                             ;   in Loop: Header=BB108_4 Depth=1
	s_or_b32 exec_lo, exec_lo, s5
	v_add_co_u32 v42, vcc_lo, v13, s12
	v_add_co_ci_u32_e32 v43, vcc_lo, s13, v14, vcc_lo
	v_mov_b32_e32 v40, 0
	s_delay_alu instid0(VALU_DEP_2) | instskip(NEXT) | instid1(VALU_DEP_1)
	v_cmp_gt_u64_e64 s5, s[10:11], v[42:43]
	s_and_saveexec_b32 s24, s5
	s_cbranch_execz .LBB108_18
; %bb.17:                               ;   in Loop: Header=BB108_4 Depth=1
	v_add_co_u32 v42, vcc_lo, v7, s8
	v_add_co_ci_u32_e32 v43, vcc_lo, s9, v8, vcc_lo
	v_add_co_u32 v44, vcc_lo, v9, s8
	v_add_co_ci_u32_e32 v45, vcc_lo, s9, v10, vcc_lo
	global_load_u16 v35, v[42:43], off
	global_load_u16 v40, v[44:45], off
.LBB108_18:                             ;   in Loop: Header=BB108_4 Depth=1
	s_or_b32 exec_lo, exec_lo, s24
	v_mov_b32_e32 v42, 0
	s_and_saveexec_b32 s24, s5
	s_cbranch_execz .LBB108_20
; %bb.19:                               ;   in Loop: Header=BB108_4 Depth=1
	v_add_co_u32 v42, vcc_lo, v11, s8
	v_add_co_ci_u32_e32 v43, vcc_lo, s9, v12, vcc_lo
	global_load_u16 v42, v[42:43], off
.LBB108_20:                             ;   in Loop: Header=BB108_4 Depth=1
	s_or_b32 exec_lo, exec_lo, s24
	s_waitcnt vmcnt(1)
	v_cvt_f32_f16_e32 v43, v33
	s_waitcnt vmcnt(0)
	v_cvt_f32_f16_e32 v34, v34
	v_cvt_f32_f16_e32 v37, v37
	s_and_b32 vcc_lo, exec_lo, s21
	s_cbranch_vccz .LBB108_40
; %bb.21:                               ;   in Loop: Header=BB108_4 Depth=1
	s_delay_alu instid0(VALU_DEP_1) | instskip(NEXT) | instid1(VALU_DEP_1)
	v_mul_f32_e32 v33, v34, v37
	v_fma_f32 v33, s20, v33, v43
	s_cbranch_execnz .LBB108_23
.LBB108_22:                             ;   in Loop: Header=BB108_4 Depth=1
	s_delay_alu instid0(VALU_DEP_1) | instskip(NEXT) | instid1(VALU_DEP_1)
	v_fmac_f32_e32 v43, v34, v37
	v_mov_b32_e32 v33, v43
.LBB108_23:                             ;   in Loop: Header=BB108_4 Depth=1
	v_cvt_f32_f16_e32 v34, v31
	v_cvt_f32_f16_e32 v36, v36
	;; [unrolled: 1-line block ×3, first 2 shown]
	s_and_not1_b32 vcc_lo, exec_lo, s21
	s_cbranch_vccnz .LBB108_41
; %bb.24:                               ;   in Loop: Header=BB108_4 Depth=1
	s_delay_alu instid0(VALU_DEP_1) | instskip(NEXT) | instid1(VALU_DEP_1)
	v_mul_f32_e32 v31, v36, v37
	v_fma_f32 v31, s20, v31, v34
	s_cbranch_execnz .LBB108_26
.LBB108_25:                             ;   in Loop: Header=BB108_4 Depth=1
	s_delay_alu instid0(VALU_DEP_1) | instskip(NEXT) | instid1(VALU_DEP_1)
	v_fmac_f32_e32 v34, v36, v37
	v_mov_b32_e32 v31, v34
.LBB108_26:                             ;   in Loop: Header=BB108_4 Depth=1
	v_cvt_f32_f16_e32 v34, v32
	v_cvt_f32_f16_e32 v36, v38
	;; [unrolled: 1-line block ×3, first 2 shown]
	s_and_not1_b32 vcc_lo, exec_lo, s21
	s_cbranch_vccnz .LBB108_42
; %bb.27:                               ;   in Loop: Header=BB108_4 Depth=1
	s_delay_alu instid0(VALU_DEP_1) | instskip(NEXT) | instid1(VALU_DEP_1)
	v_mul_f32_e32 v32, v36, v37
	v_fma_f32 v32, s20, v32, v34
	s_cbranch_execnz .LBB108_29
.LBB108_28:                             ;   in Loop: Header=BB108_4 Depth=1
	s_delay_alu instid0(VALU_DEP_1) | instskip(NEXT) | instid1(VALU_DEP_1)
	v_fmac_f32_e32 v34, v36, v37
	v_mov_b32_e32 v32, v34
.LBB108_29:                             ;   in Loop: Header=BB108_4 Depth=1
	v_cvt_f32_f16_e32 v35, v35
	v_cvt_f32_f16_e32 v36, v40
	;; [unrolled: 1-line block ×3, first 2 shown]
	s_and_not1_b32 vcc_lo, exec_lo, s21
	s_cbranch_vccnz .LBB108_43
; %bb.30:                               ;   in Loop: Header=BB108_4 Depth=1
	s_delay_alu instid0(VALU_DEP_1) | instskip(NEXT) | instid1(VALU_DEP_1)
	v_mul_f32_e32 v34, v36, v37
	v_fma_f32 v34, s20, v34, v35
	s_cbranch_execnz .LBB108_32
.LBB108_31:                             ;   in Loop: Header=BB108_4 Depth=1
	s_delay_alu instid0(VALU_DEP_1) | instskip(NEXT) | instid1(VALU_DEP_1)
	v_fmac_f32_e32 v35, v36, v37
	v_mov_b32_e32 v34, v35
.LBB108_32:                             ;   in Loop: Header=BB108_4 Depth=1
	s_and_saveexec_b32 s24, s2
	s_delay_alu instid0(SALU_CYCLE_1)
	s_xor_b32 s2, exec_lo, s24
	s_cbranch_execnz .LBB108_36
; %bb.33:                               ;   in Loop: Header=BB108_4 Depth=1
	s_or_b32 exec_lo, exec_lo, s2
	s_and_saveexec_b32 s2, s3
	s_cbranch_execnz .LBB108_37
.LBB108_34:                             ;   in Loop: Header=BB108_4 Depth=1
	s_or_b32 exec_lo, exec_lo, s2
	s_and_saveexec_b32 s2, s4
	s_cbranch_execnz .LBB108_38
.LBB108_35:                             ;   in Loop: Header=BB108_4 Depth=1
	s_or_b32 exec_lo, exec_lo, s2
	s_and_saveexec_b32 s2, s5
	s_cbranch_execz .LBB108_3
	s_branch .LBB108_39
.LBB108_36:                             ;   in Loop: Header=BB108_4 Depth=1
	v_add_co_u32 v35, vcc_lo, v1, s8
	v_cvt_f16_f32_e32 v33, v33
	v_add_co_ci_u32_e32 v36, vcc_lo, s9, v2, vcc_lo
	global_store_b16 v[35:36], v33, off
	s_or_b32 exec_lo, exec_lo, s2
	s_and_saveexec_b32 s2, s3
	s_cbranch_execz .LBB108_34
.LBB108_37:                             ;   in Loop: Header=BB108_4 Depth=1
	v_add_co_u32 v35, vcc_lo, v25, s8
	v_cvt_f16_f32_e32 v31, v31
	v_add_co_ci_u32_e32 v36, vcc_lo, s9, v26, vcc_lo
	global_store_b16 v[35:36], v31, off
	s_or_b32 exec_lo, exec_lo, s2
	s_and_saveexec_b32 s2, s4
	s_cbranch_execz .LBB108_35
.LBB108_38:                             ;   in Loop: Header=BB108_4 Depth=1
	v_add_co_u32 v31, vcc_lo, v15, s8
	v_cvt_f16_f32_e32 v33, v32
	v_add_co_ci_u32_e32 v32, vcc_lo, s9, v16, vcc_lo
	global_store_b16 v[31:32], v33, off
	s_or_b32 exec_lo, exec_lo, s2
	s_and_saveexec_b32 s2, s5
	s_cbranch_execz .LBB108_3
.LBB108_39:                             ;   in Loop: Header=BB108_4 Depth=1
	v_add_co_u32 v31, vcc_lo, v7, s8
	v_cvt_f16_f32_e32 v33, v34
	v_add_co_ci_u32_e32 v32, vcc_lo, s9, v8, vcc_lo
	global_store_b16 v[31:32], v33, off
	s_branch .LBB108_3
.LBB108_40:                             ;   in Loop: Header=BB108_4 Depth=1
                                        ; implicit-def: $vgpr33
	s_branch .LBB108_22
.LBB108_41:                             ;   in Loop: Header=BB108_4 Depth=1
                                        ; implicit-def: $vgpr31
	s_branch .LBB108_25
.LBB108_42:                             ;   in Loop: Header=BB108_4 Depth=1
                                        ; implicit-def: $vgpr32
	s_branch .LBB108_28
.LBB108_43:                             ;   in Loop: Header=BB108_4 Depth=1
                                        ; implicit-def: $vgpr34
	s_branch .LBB108_31
.LBB108_44:
	s_mov_b32 s10, 0
.LBB108_45:
	s_delay_alu instid0(SALU_CYCLE_1)
	s_and_not1_b32 vcc_lo, exec_lo, s10
	s_cbranch_vccnz .LBB108_65
; %bb.46:
	v_dual_mov_b32 v2, 0 :: v_dual_lshlrev_b32 v1, 2, v0
	s_mov_b32 s2, 0
	s_mov_b32 s3, exec_lo
	s_delay_alu instid0(VALU_DEP_1)
	v_cmpx_gt_i64_e64 s[6:7], v[1:2]
	s_cbranch_execz .LBB108_65
; %bb.47:
	s_load_b32 s0, s[0:1], 0xd14
	v_lshlrev_b32_e32 v11, 3, v0
	v_cmp_neq_f32_e64 s1, s20, 1.0
	s_waitcnt lgkmcnt(0)
	s_and_b32 s0, s0, 0xffff
	s_delay_alu instid0(SALU_CYCLE_1)
	v_add_lshl_u32 v1, v0, s0, 2
	s_lshl_b32 s3, s0, 3
	s_lshl_b32 s4, s0, 2
	s_branch .LBB108_49
.LBB108_48:                             ;   in Loop: Header=BB108_49 Depth=1
	v_cmp_le_i64_e32 vcc_lo, s[6:7], v[1:2]
	v_cmp_lt_u64_e64 s0, 0xffff, v[1:2]
	v_cvt_f16_f32_e32 v6, v7
	v_cvt_f16_f32_e32 v5, v5
	;; [unrolled: 1-line block ×4, first 2 shown]
	s_or_b32 s0, vcc_lo, s0
	s_add_u32 s14, s14, s3
	s_addc_u32 s15, s15, 0
	s_add_u32 s16, s16, s3
	s_addc_u32 s17, s17, 0
	v_add_co_u32 v1, vcc_lo, v1, s4
	s_add_u32 s18, s18, s3
	v_pack_b32_f16 v6, v6, v7
	v_pack_b32_f16 v5, v0, v5
	s_addc_u32 s19, s19, 0
	v_add_co_ci_u32_e32 v2, vcc_lo, 0, v2, vcc_lo
	s_and_b32 s0, exec_lo, s0
	global_store_b64 v[3:4], v[5:6], off
	s_or_b32 s2, s0, s2
	s_delay_alu instid0(SALU_CYCLE_1)
	s_and_not1_b32 exec_lo, exec_lo, s2
	s_cbranch_execz .LBB108_65
.LBB108_49:                             ; =>This Inner Loop Header: Depth=1
	v_add_co_u32 v3, s0, s14, v11
	s_delay_alu instid0(VALU_DEP_1) | instskip(SKIP_1) | instid1(VALU_DEP_1)
	v_add_co_ci_u32_e64 v4, null, s15, 0, s0
	v_add_co_u32 v7, s0, s16, v11
	v_add_co_ci_u32_e64 v8, null, s17, 0, s0
	v_add_co_u32 v9, s0, s18, v11
	s_delay_alu instid0(VALU_DEP_1)
	v_add_co_ci_u32_e64 v10, null, s19, 0, s0
	global_load_b64 v[5:6], v[3:4], off
	global_load_b64 v[7:8], v[7:8], off
	;; [unrolled: 1-line block ×3, first 2 shown]
	s_and_b32 vcc_lo, exec_lo, s1
	s_waitcnt vmcnt(2)
	v_cvt_f32_f16_e32 v12, v5
	s_waitcnt vmcnt(1)
	v_cvt_f32_f16_e32 v13, v7
	;; [unrolled: 2-line block ×3, first 2 shown]
	s_cbranch_vccz .LBB108_60
; %bb.50:                               ;   in Loop: Header=BB108_49 Depth=1
	s_delay_alu instid0(VALU_DEP_1) | instskip(NEXT) | instid1(VALU_DEP_1)
	v_mul_f32_e32 v0, v13, v14
	v_fma_f32 v0, s20, v0, v12
	s_cbranch_execnz .LBB108_52
.LBB108_51:                             ;   in Loop: Header=BB108_49 Depth=1
	s_delay_alu instid0(VALU_DEP_1) | instskip(NEXT) | instid1(VALU_DEP_1)
	v_fmac_f32_e32 v12, v13, v14
	v_mov_b32_e32 v0, v12
.LBB108_52:                             ;   in Loop: Header=BB108_49 Depth=1
	v_lshrrev_b32_e32 v5, 16, v5
	v_lshrrev_b32_e32 v12, 16, v7
	;; [unrolled: 1-line block ×3, first 2 shown]
	s_and_not1_b32 vcc_lo, exec_lo, s1
	s_delay_alu instid0(VALU_DEP_3) | instskip(NEXT) | instid1(VALU_DEP_3)
	v_cvt_f32_f16_e32 v7, v5
	v_cvt_f32_f16_e32 v9, v12
	s_delay_alu instid0(VALU_DEP_3)
	v_cvt_f32_f16_e32 v12, v13
	s_cbranch_vccnz .LBB108_61
; %bb.53:                               ;   in Loop: Header=BB108_49 Depth=1
	s_delay_alu instid0(VALU_DEP_1) | instskip(NEXT) | instid1(VALU_DEP_1)
	v_mul_f32_e32 v5, v9, v12
	v_fma_f32 v5, s20, v5, v7
	s_cbranch_execnz .LBB108_55
.LBB108_54:                             ;   in Loop: Header=BB108_49 Depth=1
	s_delay_alu instid0(VALU_DEP_1) | instskip(NEXT) | instid1(VALU_DEP_1)
	v_fmac_f32_e32 v7, v9, v12
	v_mov_b32_e32 v5, v7
.LBB108_55:                             ;   in Loop: Header=BB108_49 Depth=1
	v_cvt_f32_f16_e32 v9, v6
	v_cvt_f32_f16_e32 v12, v8
	;; [unrolled: 1-line block ×3, first 2 shown]
	s_and_not1_b32 vcc_lo, exec_lo, s1
	s_cbranch_vccnz .LBB108_62
; %bb.56:                               ;   in Loop: Header=BB108_49 Depth=1
	s_delay_alu instid0(VALU_DEP_1) | instskip(NEXT) | instid1(VALU_DEP_1)
	v_mul_f32_e32 v7, v12, v13
	v_fma_f32 v7, s20, v7, v9
	s_cbranch_execnz .LBB108_58
.LBB108_57:                             ;   in Loop: Header=BB108_49 Depth=1
	s_delay_alu instid0(VALU_DEP_1) | instskip(NEXT) | instid1(VALU_DEP_1)
	v_fmac_f32_e32 v9, v12, v13
	v_mov_b32_e32 v7, v9
.LBB108_58:                             ;   in Loop: Header=BB108_49 Depth=1
	v_lshrrev_b32_e32 v6, 16, v6
	v_lshrrev_b32_e32 v8, 16, v8
	;; [unrolled: 1-line block ×3, first 2 shown]
	s_and_not1_b32 vcc_lo, exec_lo, s1
	s_delay_alu instid0(VALU_DEP_3) | instskip(NEXT) | instid1(VALU_DEP_3)
	v_cvt_f32_f16_e32 v6, v6
	v_cvt_f32_f16_e32 v8, v8
	s_delay_alu instid0(VALU_DEP_3)
	v_cvt_f32_f16_e32 v9, v9
	s_cbranch_vccnz .LBB108_63
; %bb.59:                               ;   in Loop: Header=BB108_49 Depth=1
	s_delay_alu instid0(VALU_DEP_1) | instskip(NEXT) | instid1(VALU_DEP_1)
	v_mul_f32_e32 v10, v8, v9
	v_fma_f32 v10, s20, v10, v6
	s_cbranch_execnz .LBB108_48
	s_branch .LBB108_64
.LBB108_60:                             ;   in Loop: Header=BB108_49 Depth=1
                                        ; implicit-def: $vgpr0
	s_branch .LBB108_51
.LBB108_61:                             ;   in Loop: Header=BB108_49 Depth=1
                                        ; implicit-def: $vgpr5
	s_branch .LBB108_54
.LBB108_62:                             ;   in Loop: Header=BB108_49 Depth=1
                                        ; implicit-def: $vgpr7
	s_branch .LBB108_57
.LBB108_63:                             ;   in Loop: Header=BB108_49 Depth=1
                                        ; implicit-def: $vgpr10
.LBB108_64:                             ;   in Loop: Header=BB108_49 Depth=1
	s_delay_alu instid0(VALU_DEP_1) | instskip(NEXT) | instid1(VALU_DEP_1)
	v_fmac_f32_e32 v6, v8, v9
	v_mov_b32_e32 v10, v6
	s_branch .LBB108_48
.LBB108_65:
	s_nop 0
	s_sendmsg sendmsg(MSG_DEALLOC_VGPRS)
	s_endpgm
	.section	.rodata,"a",@progbits
	.p2align	6, 0x0
	.amdhsa_kernel _ZN2at6native12_GLOBAL__N_125multi_tensor_apply_kernelINS1_28TensorListScalarListMetadataIfLi3EEENS1_28PointwiseOpScalarListFunctorIN3c104HalfELi3ELi3ELi0EEEJSt10multipliesIfEEEEvT_T0_DpT1_
		.amdhsa_group_segment_fixed_size 0
		.amdhsa_private_segment_fixed_size 0
		.amdhsa_kernarg_size 3592
		.amdhsa_user_sgpr_count 15
		.amdhsa_user_sgpr_dispatch_ptr 0
		.amdhsa_user_sgpr_queue_ptr 0
		.amdhsa_user_sgpr_kernarg_segment_ptr 1
		.amdhsa_user_sgpr_dispatch_id 0
		.amdhsa_user_sgpr_private_segment_size 0
		.amdhsa_wavefront_size32 1
		.amdhsa_uses_dynamic_stack 0
		.amdhsa_enable_private_segment 0
		.amdhsa_system_sgpr_workgroup_id_x 1
		.amdhsa_system_sgpr_workgroup_id_y 0
		.amdhsa_system_sgpr_workgroup_id_z 0
		.amdhsa_system_sgpr_workgroup_info 0
		.amdhsa_system_vgpr_workitem_id 0
		.amdhsa_next_free_vgpr 46
		.amdhsa_next_free_sgpr 27
		.amdhsa_reserve_vcc 1
		.amdhsa_float_round_mode_32 0
		.amdhsa_float_round_mode_16_64 0
		.amdhsa_float_denorm_mode_32 3
		.amdhsa_float_denorm_mode_16_64 3
		.amdhsa_dx10_clamp 1
		.amdhsa_ieee_mode 1
		.amdhsa_fp16_overflow 0
		.amdhsa_workgroup_processor_mode 1
		.amdhsa_memory_ordered 1
		.amdhsa_forward_progress 0
		.amdhsa_shared_vgpr_count 0
		.amdhsa_exception_fp_ieee_invalid_op 0
		.amdhsa_exception_fp_denorm_src 0
		.amdhsa_exception_fp_ieee_div_zero 0
		.amdhsa_exception_fp_ieee_overflow 0
		.amdhsa_exception_fp_ieee_underflow 0
		.amdhsa_exception_fp_ieee_inexact 0
		.amdhsa_exception_int_div_zero 0
	.end_amdhsa_kernel
	.section	.text._ZN2at6native12_GLOBAL__N_125multi_tensor_apply_kernelINS1_28TensorListScalarListMetadataIfLi3EEENS1_28PointwiseOpScalarListFunctorIN3c104HalfELi3ELi3ELi0EEEJSt10multipliesIfEEEEvT_T0_DpT1_,"axG",@progbits,_ZN2at6native12_GLOBAL__N_125multi_tensor_apply_kernelINS1_28TensorListScalarListMetadataIfLi3EEENS1_28PointwiseOpScalarListFunctorIN3c104HalfELi3ELi3ELi0EEEJSt10multipliesIfEEEEvT_T0_DpT1_,comdat
.Lfunc_end108:
	.size	_ZN2at6native12_GLOBAL__N_125multi_tensor_apply_kernelINS1_28TensorListScalarListMetadataIfLi3EEENS1_28PointwiseOpScalarListFunctorIN3c104HalfELi3ELi3ELi0EEEJSt10multipliesIfEEEEvT_T0_DpT1_, .Lfunc_end108-_ZN2at6native12_GLOBAL__N_125multi_tensor_apply_kernelINS1_28TensorListScalarListMetadataIfLi3EEENS1_28PointwiseOpScalarListFunctorIN3c104HalfELi3ELi3ELi0EEEJSt10multipliesIfEEEEvT_T0_DpT1_
                                        ; -- End function
	.section	.AMDGPU.csdata,"",@progbits
; Kernel info:
; codeLenInByte = 2328
; NumSgprs: 29
; NumVgprs: 46
; ScratchSize: 0
; MemoryBound: 0
; FloatMode: 240
; IeeeMode: 1
; LDSByteSize: 0 bytes/workgroup (compile time only)
; SGPRBlocks: 3
; VGPRBlocks: 5
; NumSGPRsForWavesPerEU: 29
; NumVGPRsForWavesPerEU: 46
; Occupancy: 16
; WaveLimiterHint : 0
; COMPUTE_PGM_RSRC2:SCRATCH_EN: 0
; COMPUTE_PGM_RSRC2:USER_SGPR: 15
; COMPUTE_PGM_RSRC2:TRAP_HANDLER: 0
; COMPUTE_PGM_RSRC2:TGID_X_EN: 1
; COMPUTE_PGM_RSRC2:TGID_Y_EN: 0
; COMPUTE_PGM_RSRC2:TGID_Z_EN: 0
; COMPUTE_PGM_RSRC2:TIDIG_COMP_CNT: 0
	.section	.text._ZN2at6native12_GLOBAL__N_125multi_tensor_apply_kernelINS1_28TensorListScalarListMetadataIfLi3EEENS1_28PointwiseOpScalarListFunctorIN3c108BFloat16ELi3ELi3ELi0EEEJSt10multipliesIfEEEEvT_T0_DpT1_,"axG",@progbits,_ZN2at6native12_GLOBAL__N_125multi_tensor_apply_kernelINS1_28TensorListScalarListMetadataIfLi3EEENS1_28PointwiseOpScalarListFunctorIN3c108BFloat16ELi3ELi3ELi0EEEJSt10multipliesIfEEEEvT_T0_DpT1_,comdat
	.globl	_ZN2at6native12_GLOBAL__N_125multi_tensor_apply_kernelINS1_28TensorListScalarListMetadataIfLi3EEENS1_28PointwiseOpScalarListFunctorIN3c108BFloat16ELi3ELi3ELi0EEEJSt10multipliesIfEEEEvT_T0_DpT1_ ; -- Begin function _ZN2at6native12_GLOBAL__N_125multi_tensor_apply_kernelINS1_28TensorListScalarListMetadataIfLi3EEENS1_28PointwiseOpScalarListFunctorIN3c108BFloat16ELi3ELi3ELi0EEEJSt10multipliesIfEEEEvT_T0_DpT1_
	.p2align	8
	.type	_ZN2at6native12_GLOBAL__N_125multi_tensor_apply_kernelINS1_28TensorListScalarListMetadataIfLi3EEENS1_28PointwiseOpScalarListFunctorIN3c108BFloat16ELi3ELi3ELi0EEEJSt10multipliesIfEEEEvT_T0_DpT1_,@function
_ZN2at6native12_GLOBAL__N_125multi_tensor_apply_kernelINS1_28TensorListScalarListMetadataIfLi3EEENS1_28PointwiseOpScalarListFunctorIN3c108BFloat16ELi3ELi3ELi0EEEJSt10multipliesIfEEEEvT_T0_DpT1_: ; @_ZN2at6native12_GLOBAL__N_125multi_tensor_apply_kernelINS1_28TensorListScalarListMetadataIfLi3EEENS1_28PointwiseOpScalarListFunctorIN3c108BFloat16ELi3ELi3ELi0EEEJSt10multipliesIfEEEEvT_T0_DpT1_
; %bb.0:
	v_mov_b32_e32 v1, s15
	s_add_u32 s2, s0, s15
	s_mul_i32 s3, s15, 3
	s_mul_hi_u32 s4, s15, 3
	s_addc_u32 s5, s1, 0
	global_load_u8 v1, v1, s[0:1] offset:1728
	s_add_u32 s2, s2, s3
	s_addc_u32 s3, s5, s4
	s_load_b32 s2, s[2:3], 0x800
	s_waitcnt vmcnt(0)
	v_readfirstlane_b32 s3, v1
	v_lshlrev_b32_e32 v1, 2, v1
	s_delay_alu instid0(VALU_DEP_2)
	s_lshl_b32 s12, s3, 3
	s_waitcnt lgkmcnt(0)
	s_ashr_i32 s3, s2, 31
	s_clause 0x3
	s_load_b64 s[6:7], s[0:1], s12 offset:0x180
	s_load_b64 s[8:9], s[0:1], s12 offset:0x300
	;; [unrolled: 1-line block ×4, first 2 shown]
	s_add_u32 s12, s0, s12
	s_addc_u32 s13, s1, 0
	v_sub_co_u32 v1, s12, s12, v1
	s_delay_alu instid0(VALU_DEP_1) | instskip(SKIP_1) | instid1(VALU_DEP_2)
	v_sub_co_ci_u32_e64 v2, null, s13, 0, s12
	s_lshl_b64 s[14:15], s[2:3], 17
	v_readfirstlane_b32 s12, v1
	s_delay_alu instid0(VALU_DEP_2) | instskip(SKIP_3) | instid1(SALU_CYCLE_1)
	v_readfirstlane_b32 s13, v2
	s_load_b32 s20, s[12:13], 0x600
	s_waitcnt lgkmcnt(0)
	s_add_u32 s16, s6, s14
	s_or_b32 s16, s8, s16
	s_and_b32 s17, s10, 7
	s_and_b32 s16, s16, 7
	s_delay_alu instid0(SALU_CYCLE_1) | instskip(SKIP_2) | instid1(SALU_CYCLE_1)
	s_cmp_eq_u32 s16, 0
	s_cselect_b32 s16, -1, 0
	s_lshl_b64 s[2:3], s[2:3], 16
	s_sub_u32 s12, s4, s2
	s_subb_u32 s13, s5, s3
	s_and_b32 s2, s4, 3
	s_mov_b32 s3, 0
	s_or_b32 s2, s17, s2
	s_delay_alu instid0(SALU_CYCLE_1) | instskip(SKIP_1) | instid1(SALU_CYCLE_1)
	s_cmp_eq_u64 s[2:3], 0
	s_cselect_b32 s2, -1, 0
	s_and_b32 s2, s16, s2
	s_delay_alu instid0(SALU_CYCLE_1)
	s_and_b32 vcc_lo, exec_lo, s2
	s_mov_b32 s2, -1
	s_cbranch_vccnz .LBB109_45
; %bb.1:
	v_cmp_lt_i64_e64 s2, s[12:13], 1
	s_delay_alu instid0(VALU_DEP_1)
	s_and_b32 vcc_lo, exec_lo, s2
	s_cbranch_vccnz .LBB109_44
; %bb.2:
	s_load_b32 s2, s[0:1], 0xd14
	v_dual_mov_b32 v14, 0 :: v_dual_lshlrev_b32 v13, 1, v0
	v_cmp_gt_u64_e64 s3, 0x10000, s[12:13]
	v_cmp_neq_f32_e64 s21, s20, 1.0
	s_mov_b64 s[18:19], 0
	s_delay_alu instid0(VALU_DEP_3) | instskip(NEXT) | instid1(VALU_DEP_1)
	v_add_co_u32 v1, s4, s10, v13
	v_add_co_ci_u32_e64 v2, null, s11, 0, s4
	v_add_co_u32 v3, s4, s6, v13
	s_delay_alu instid0(VALU_DEP_1) | instskip(SKIP_1) | instid1(VALU_DEP_1)
	v_add_co_ci_u32_e64 v4, null, s7, 0, s4
	v_add_co_u32 v5, s4, s8, v13
	v_add_co_ci_u32_e64 v6, null, s9, 0, s4
	s_waitcnt lgkmcnt(0)
	s_and_b32 s2, s2, 0xffff
	s_and_b32 s3, s3, exec_lo
	v_mad_u64_u32 v[11:12], null, s2, 6, v[13:14]
	s_cselect_b32 s17, s13, 0
	s_cselect_b32 s16, s12, 0x10000
	s_mul_i32 s4, s2, 3
	s_lshl_b32 s22, s2, 2
	s_lshl_b32 s3, s2, 1
	v_add_co_u32 v20, s5, s22, v13
	v_add_co_u32 v13, s4, s4, v0
	v_add_co_u32 v7, vcc_lo, s10, v11
	v_add_co_ci_u32_e64 v14, null, 0, 0, s4
	v_add_co_u32 v19, s4, v0, s2
	v_add_co_ci_u32_e32 v8, vcc_lo, s11, v12, vcc_lo
	v_add_co_u32 v9, vcc_lo, s6, v11
	v_add_co_ci_u32_e32 v10, vcc_lo, s7, v12, vcc_lo
	v_add_co_u32 v11, vcc_lo, s8, v11
	v_add_co_ci_u32_e64 v21, null, 0, 0, s5
	v_lshlrev_b32_e32 v29, 1, v19
	v_add_co_ci_u32_e32 v12, vcc_lo, s9, v12, vcc_lo
	v_add_co_u32 v15, vcc_lo, s10, v20
	v_add_co_u32 v23, s3, s3, v0
	v_add_co_ci_u32_e32 v16, vcc_lo, s11, v21, vcc_lo
	v_add_co_ci_u32_e64 v24, null, 0, 0, s3
	v_add_co_u32 v25, s3, s10, v29
	v_add_co_u32 v17, vcc_lo, s6, v20
	v_add_co_ci_u32_e64 v26, null, s11, 0, s3
	v_add_co_u32 v27, s3, s6, v29
	v_add_co_ci_u32_e32 v18, vcc_lo, s7, v21, vcc_lo
	v_add_co_u32 v20, vcc_lo, s8, v20
	v_add_co_ci_u32_e64 v28, null, s7, 0, s3
	v_add_co_u32 v29, s3, s8, v29
	v_add_co_ci_u32_e32 v21, vcc_lo, s9, v21, vcc_lo
	v_add_co_ci_u32_e64 v22, null, 0, 0, s4
	v_add_co_ci_u32_e64 v30, null, s9, 0, s3
	s_lshl_b32 s23, s2, 3
	s_branch .LBB109_4
.LBB109_3:                              ;   in Loop: Header=BB109_4 Depth=1
	s_or_b32 exec_lo, exec_lo, s2
	v_add_co_u32 v1, vcc_lo, v1, s23
	v_add_co_ci_u32_e32 v2, vcc_lo, 0, v2, vcc_lo
	v_add_co_u32 v3, vcc_lo, v3, s23
	v_add_co_ci_u32_e32 v4, vcc_lo, 0, v4, vcc_lo
	;; [unrolled: 2-line block ×9, first 2 shown]
	s_add_u32 s18, s18, s22
	v_add_co_u32 v25, vcc_lo, v25, s23
	s_addc_u32 s19, s19, 0
	v_add_co_ci_u32_e32 v26, vcc_lo, 0, v26, vcc_lo
	v_cmp_ge_i64_e64 s2, s[18:19], s[12:13]
	v_cmp_lt_u64_e64 s3, 0xffff, s[18:19]
	v_add_co_u32 v27, vcc_lo, v27, s23
	v_add_co_ci_u32_e32 v28, vcc_lo, 0, v28, vcc_lo
	v_add_co_u32 v29, vcc_lo, v29, s23
	v_add_co_ci_u32_e32 v30, vcc_lo, 0, v30, vcc_lo
	s_or_b32 s2, s2, s3
	s_delay_alu instid0(SALU_CYCLE_1)
	s_and_b32 vcc_lo, exec_lo, s2
	s_cbranch_vccnz .LBB109_44
.LBB109_4:                              ; =>This Inner Loop Header: Depth=1
	v_add_co_u32 v31, s2, v0, s18
	s_delay_alu instid0(VALU_DEP_1) | instskip(SKIP_1) | instid1(VALU_DEP_2)
	v_add_co_ci_u32_e64 v32, null, 0, s19, s2
	v_mov_b32_e32 v34, 0
	v_cmp_gt_u64_e64 s2, s[16:17], v[31:32]
	v_mov_b32_e32 v32, 0
	s_delay_alu instid0(VALU_DEP_2)
	s_and_saveexec_b32 s3, s2
	s_cbranch_execz .LBB109_6
; %bb.5:                                ;   in Loop: Header=BB109_4 Depth=1
	v_add_co_u32 v31, vcc_lo, v1, s14
	v_add_co_ci_u32_e32 v32, vcc_lo, s15, v2, vcc_lo
	v_add_co_u32 v33, vcc_lo, v3, s14
	v_add_co_ci_u32_e32 v34, vcc_lo, s15, v4, vcc_lo
	global_load_u16 v32, v[31:32], off
	global_load_u16 v34, v[33:34], off
.LBB109_6:                              ;   in Loop: Header=BB109_4 Depth=1
	s_or_b32 exec_lo, exec_lo, s3
	v_mov_b32_e32 v31, 0
	v_mov_b32_e32 v37, 0
	s_and_saveexec_b32 s3, s2
	s_cbranch_execz .LBB109_8
; %bb.7:                                ;   in Loop: Header=BB109_4 Depth=1
	v_add_co_u32 v35, vcc_lo, v5, s14
	v_add_co_ci_u32_e32 v36, vcc_lo, s15, v6, vcc_lo
	global_load_u16 v37, v[35:36], off
.LBB109_8:                              ;   in Loop: Header=BB109_4 Depth=1
	s_or_b32 exec_lo, exec_lo, s3
	v_add_co_u32 v35, vcc_lo, v19, s18
	v_add_co_ci_u32_e32 v36, vcc_lo, s19, v22, vcc_lo
	s_delay_alu instid0(VALU_DEP_1) | instskip(SKIP_1) | instid1(VALU_DEP_2)
	v_cmp_gt_u64_e64 s3, s[16:17], v[35:36]
	v_mov_b32_e32 v35, 0
	s_and_saveexec_b32 s4, s3
	s_cbranch_execz .LBB109_10
; %bb.9:                                ;   in Loop: Header=BB109_4 Depth=1
	v_add_co_u32 v35, vcc_lo, v25, s14
	v_add_co_ci_u32_e32 v36, vcc_lo, s15, v26, vcc_lo
	v_add_co_u32 v38, vcc_lo, v27, s14
	v_add_co_ci_u32_e32 v39, vcc_lo, s15, v28, vcc_lo
	global_load_u16 v31, v[35:36], off
	global_load_u16 v35, v[38:39], off
.LBB109_10:                             ;   in Loop: Header=BB109_4 Depth=1
	s_or_b32 exec_lo, exec_lo, s4
	v_mov_b32_e32 v33, 0
	v_mov_b32_e32 v39, 0
	s_and_saveexec_b32 s4, s3
	s_cbranch_execz .LBB109_12
; %bb.11:                               ;   in Loop: Header=BB109_4 Depth=1
	v_add_co_u32 v38, vcc_lo, v29, s14
	v_add_co_ci_u32_e32 v39, vcc_lo, s15, v30, vcc_lo
	global_load_u16 v39, v[38:39], off
.LBB109_12:                             ;   in Loop: Header=BB109_4 Depth=1
	s_or_b32 exec_lo, exec_lo, s4
	v_add_co_u32 v40, vcc_lo, v23, s18
	v_add_co_ci_u32_e32 v41, vcc_lo, s19, v24, vcc_lo
	v_mov_b32_e32 v38, 0
	s_delay_alu instid0(VALU_DEP_2) | instskip(NEXT) | instid1(VALU_DEP_1)
	v_cmp_gt_u64_e64 s4, s[16:17], v[40:41]
	s_and_saveexec_b32 s5, s4
	s_cbranch_execz .LBB109_14
; %bb.13:                               ;   in Loop: Header=BB109_4 Depth=1
	v_add_co_u32 v40, vcc_lo, v15, s14
	v_add_co_ci_u32_e32 v41, vcc_lo, s15, v16, vcc_lo
	v_add_co_u32 v42, vcc_lo, v17, s14
	v_add_co_ci_u32_e32 v43, vcc_lo, s15, v18, vcc_lo
	global_load_u16 v33, v[40:41], off
	global_load_u16 v38, v[42:43], off
.LBB109_14:                             ;   in Loop: Header=BB109_4 Depth=1
	s_or_b32 exec_lo, exec_lo, s5
	v_dual_mov_b32 v36, 0 :: v_dual_mov_b32 v41, 0
	s_and_saveexec_b32 s5, s4
	s_cbranch_execz .LBB109_16
; %bb.15:                               ;   in Loop: Header=BB109_4 Depth=1
	v_add_co_u32 v40, vcc_lo, v20, s14
	v_add_co_ci_u32_e32 v41, vcc_lo, s15, v21, vcc_lo
	global_load_u16 v41, v[40:41], off
.LBB109_16:                             ;   in Loop: Header=BB109_4 Depth=1
	s_or_b32 exec_lo, exec_lo, s5
	v_add_co_u32 v42, vcc_lo, v13, s18
	v_add_co_ci_u32_e32 v43, vcc_lo, s19, v14, vcc_lo
	v_mov_b32_e32 v40, 0
	s_delay_alu instid0(VALU_DEP_2) | instskip(NEXT) | instid1(VALU_DEP_1)
	v_cmp_gt_u64_e64 s5, s[16:17], v[42:43]
	s_and_saveexec_b32 s24, s5
	s_cbranch_execz .LBB109_18
; %bb.17:                               ;   in Loop: Header=BB109_4 Depth=1
	v_add_co_u32 v42, vcc_lo, v7, s14
	v_add_co_ci_u32_e32 v43, vcc_lo, s15, v8, vcc_lo
	v_add_co_u32 v44, vcc_lo, v9, s14
	v_add_co_ci_u32_e32 v45, vcc_lo, s15, v10, vcc_lo
	global_load_u16 v36, v[42:43], off
	global_load_u16 v40, v[44:45], off
.LBB109_18:                             ;   in Loop: Header=BB109_4 Depth=1
	s_or_b32 exec_lo, exec_lo, s24
	v_mov_b32_e32 v42, 0
	s_and_saveexec_b32 s24, s5
	s_cbranch_execz .LBB109_20
; %bb.19:                               ;   in Loop: Header=BB109_4 Depth=1
	v_add_co_u32 v42, vcc_lo, v11, s14
	v_add_co_ci_u32_e32 v43, vcc_lo, s15, v12, vcc_lo
	global_load_u16 v42, v[42:43], off
.LBB109_20:                             ;   in Loop: Header=BB109_4 Depth=1
	s_or_b32 exec_lo, exec_lo, s24
	s_waitcnt vmcnt(1)
	v_lshlrev_b32_e32 v43, 16, v32
	s_waitcnt vmcnt(0)
	v_lshlrev_b32_e32 v34, 16, v34
	v_lshlrev_b32_e32 v37, 16, v37
	s_and_b32 vcc_lo, exec_lo, s21
	s_cbranch_vccz .LBB109_40
; %bb.21:                               ;   in Loop: Header=BB109_4 Depth=1
	s_delay_alu instid0(VALU_DEP_1) | instskip(NEXT) | instid1(VALU_DEP_1)
	v_mul_f32_e32 v32, v34, v37
	v_fma_f32 v32, s20, v32, v43
	s_cbranch_execnz .LBB109_23
.LBB109_22:                             ;   in Loop: Header=BB109_4 Depth=1
	s_delay_alu instid0(VALU_DEP_1) | instskip(NEXT) | instid1(VALU_DEP_1)
	v_fmac_f32_e32 v43, v34, v37
	v_mov_b32_e32 v32, v43
.LBB109_23:                             ;   in Loop: Header=BB109_4 Depth=1
	v_lshlrev_b32_e32 v34, 16, v31
	v_lshlrev_b32_e32 v35, 16, v35
	;; [unrolled: 1-line block ×3, first 2 shown]
	s_and_not1_b32 vcc_lo, exec_lo, s21
	s_cbranch_vccnz .LBB109_41
; %bb.24:                               ;   in Loop: Header=BB109_4 Depth=1
	s_delay_alu instid0(VALU_DEP_1) | instskip(NEXT) | instid1(VALU_DEP_1)
	v_mul_f32_e32 v31, v35, v37
	v_fma_f32 v31, s20, v31, v34
	s_cbranch_execnz .LBB109_26
.LBB109_25:                             ;   in Loop: Header=BB109_4 Depth=1
	s_delay_alu instid0(VALU_DEP_1) | instskip(NEXT) | instid1(VALU_DEP_1)
	v_fmac_f32_e32 v34, v35, v37
	v_mov_b32_e32 v31, v34
.LBB109_26:                             ;   in Loop: Header=BB109_4 Depth=1
	v_lshlrev_b32_e32 v34, 16, v33
	v_lshlrev_b32_e32 v35, 16, v38
	;; [unrolled: 1-line block ×3, first 2 shown]
	s_and_not1_b32 vcc_lo, exec_lo, s21
	s_cbranch_vccnz .LBB109_42
; %bb.27:                               ;   in Loop: Header=BB109_4 Depth=1
	s_delay_alu instid0(VALU_DEP_1) | instskip(NEXT) | instid1(VALU_DEP_1)
	v_mul_f32_e32 v33, v35, v37
	v_fma_f32 v33, s20, v33, v34
	s_cbranch_execnz .LBB109_29
.LBB109_28:                             ;   in Loop: Header=BB109_4 Depth=1
	s_delay_alu instid0(VALU_DEP_1) | instskip(NEXT) | instid1(VALU_DEP_1)
	v_fmac_f32_e32 v34, v35, v37
	v_mov_b32_e32 v33, v34
.LBB109_29:                             ;   in Loop: Header=BB109_4 Depth=1
	v_lshlrev_b32_e32 v35, 16, v36
	v_lshlrev_b32_e32 v36, 16, v40
	;; [unrolled: 1-line block ×3, first 2 shown]
	s_and_not1_b32 vcc_lo, exec_lo, s21
	s_cbranch_vccnz .LBB109_43
; %bb.30:                               ;   in Loop: Header=BB109_4 Depth=1
	s_delay_alu instid0(VALU_DEP_1) | instskip(NEXT) | instid1(VALU_DEP_1)
	v_mul_f32_e32 v34, v36, v37
	v_fma_f32 v34, s20, v34, v35
	s_cbranch_execnz .LBB109_32
.LBB109_31:                             ;   in Loop: Header=BB109_4 Depth=1
	s_delay_alu instid0(VALU_DEP_1) | instskip(NEXT) | instid1(VALU_DEP_1)
	v_fmac_f32_e32 v35, v36, v37
	v_mov_b32_e32 v34, v35
.LBB109_32:                             ;   in Loop: Header=BB109_4 Depth=1
	s_and_saveexec_b32 s24, s2
	s_delay_alu instid0(SALU_CYCLE_1)
	s_xor_b32 s2, exec_lo, s24
	s_cbranch_execnz .LBB109_36
; %bb.33:                               ;   in Loop: Header=BB109_4 Depth=1
	s_or_b32 exec_lo, exec_lo, s2
	s_and_saveexec_b32 s2, s3
	s_cbranch_execnz .LBB109_37
.LBB109_34:                             ;   in Loop: Header=BB109_4 Depth=1
	s_or_b32 exec_lo, exec_lo, s2
	s_and_saveexec_b32 s2, s4
	s_cbranch_execnz .LBB109_38
.LBB109_35:                             ;   in Loop: Header=BB109_4 Depth=1
	s_or_b32 exec_lo, exec_lo, s2
	s_and_saveexec_b32 s2, s5
	s_cbranch_execz .LBB109_3
	s_branch .LBB109_39
.LBB109_36:                             ;   in Loop: Header=BB109_4 Depth=1
	v_bfe_u32 v35, v32, 16, 1
	v_cmp_o_f32_e32 vcc_lo, v32, v32
	s_delay_alu instid0(VALU_DEP_2) | instskip(NEXT) | instid1(VALU_DEP_1)
	v_add3_u32 v35, v32, v35, 0x7fff
	v_lshrrev_b32_e32 v35, 16, v35
	s_delay_alu instid0(VALU_DEP_1)
	v_cndmask_b32_e32 v32, 0x7fc0, v35, vcc_lo
	v_add_co_u32 v35, vcc_lo, v1, s14
	v_add_co_ci_u32_e32 v36, vcc_lo, s15, v2, vcc_lo
	global_store_b16 v[35:36], v32, off
	s_or_b32 exec_lo, exec_lo, s2
	s_and_saveexec_b32 s2, s3
	s_cbranch_execz .LBB109_34
.LBB109_37:                             ;   in Loop: Header=BB109_4 Depth=1
	v_bfe_u32 v32, v31, 16, 1
	v_add_co_u32 v35, vcc_lo, v25, s14
	v_add_co_ci_u32_e32 v36, vcc_lo, s15, v26, vcc_lo
	s_delay_alu instid0(VALU_DEP_3) | instskip(SKIP_1) | instid1(VALU_DEP_2)
	v_add3_u32 v32, v31, v32, 0x7fff
	v_cmp_o_f32_e32 vcc_lo, v31, v31
	v_lshrrev_b32_e32 v32, 16, v32
	s_delay_alu instid0(VALU_DEP_1)
	v_cndmask_b32_e32 v31, 0x7fc0, v32, vcc_lo
	global_store_b16 v[35:36], v31, off
	s_or_b32 exec_lo, exec_lo, s2
	s_and_saveexec_b32 s2, s4
	s_cbranch_execz .LBB109_35
.LBB109_38:                             ;   in Loop: Header=BB109_4 Depth=1
	v_bfe_u32 v31, v33, 16, 1
	s_delay_alu instid0(VALU_DEP_1) | instskip(NEXT) | instid1(VALU_DEP_1)
	v_add3_u32 v31, v33, v31, 0x7fff
	v_lshrrev_b32_e32 v35, 16, v31
	v_add_co_u32 v31, vcc_lo, v15, s14
	v_add_co_ci_u32_e32 v32, vcc_lo, s15, v16, vcc_lo
	v_cmp_o_f32_e32 vcc_lo, v33, v33
	s_delay_alu instid0(VALU_DEP_4)
	v_cndmask_b32_e32 v33, 0x7fc0, v35, vcc_lo
	global_store_b16 v[31:32], v33, off
	s_or_b32 exec_lo, exec_lo, s2
	s_and_saveexec_b32 s2, s5
	s_cbranch_execz .LBB109_3
.LBB109_39:                             ;   in Loop: Header=BB109_4 Depth=1
	v_bfe_u32 v31, v34, 16, 1
	s_delay_alu instid0(VALU_DEP_1) | instskip(NEXT) | instid1(VALU_DEP_1)
	v_add3_u32 v31, v34, v31, 0x7fff
	v_lshrrev_b32_e32 v33, 16, v31
	v_add_co_u32 v31, vcc_lo, v7, s14
	v_add_co_ci_u32_e32 v32, vcc_lo, s15, v8, vcc_lo
	v_cmp_o_f32_e32 vcc_lo, v34, v34
	s_delay_alu instid0(VALU_DEP_4)
	v_cndmask_b32_e32 v33, 0x7fc0, v33, vcc_lo
	global_store_b16 v[31:32], v33, off
	s_branch .LBB109_3
.LBB109_40:                             ;   in Loop: Header=BB109_4 Depth=1
                                        ; implicit-def: $vgpr32
	s_branch .LBB109_22
.LBB109_41:                             ;   in Loop: Header=BB109_4 Depth=1
                                        ; implicit-def: $vgpr31
	s_branch .LBB109_25
.LBB109_42:                             ;   in Loop: Header=BB109_4 Depth=1
                                        ; implicit-def: $vgpr33
	s_branch .LBB109_28
.LBB109_43:                             ;   in Loop: Header=BB109_4 Depth=1
                                        ; implicit-def: $vgpr34
	s_branch .LBB109_31
.LBB109_44:
	s_mov_b32 s2, 0
.LBB109_45:
	s_delay_alu instid0(SALU_CYCLE_1)
	s_and_not1_b32 vcc_lo, exec_lo, s2
	s_cbranch_vccnz .LBB109_65
; %bb.46:
	v_dual_mov_b32 v2, 0 :: v_dual_lshlrev_b32 v1, 2, v0
	s_mov_b32 s2, 0
	s_mov_b32 s3, exec_lo
	s_delay_alu instid0(VALU_DEP_1)
	v_cmpx_gt_i64_e64 s[12:13], v[1:2]
	s_cbranch_execz .LBB109_65
; %bb.47:
	s_load_b32 s0, s[0:1], 0xd14
	v_lshlrev_b32_e32 v1, 3, v0
	v_cmp_neq_f32_e64 s3, s20, 1.0
	s_delay_alu instid0(VALU_DEP_2) | instskip(NEXT) | instid1(VALU_DEP_1)
	v_add_co_u32 v11, s1, s14, v1
	v_add_co_ci_u32_e64 v12, null, s15, 0, s1
	s_waitcnt lgkmcnt(0)
	s_and_b32 s0, s0, 0xffff
	s_delay_alu instid0(SALU_CYCLE_1)
	v_add_lshl_u32 v1, v0, s0, 2
	s_lshl_b32 s4, s0, 3
	s_lshl_b32 s5, s0, 2
	s_branch .LBB109_49
.LBB109_48:                             ;   in Loop: Header=BB109_49 Depth=1
	v_bfe_u32 v7, v0, 16, 1
	v_bfe_u32 v8, v13, 16, 1
	;; [unrolled: 1-line block ×3, first 2 shown]
	v_cmp_o_f32_e32 vcc_lo, v0, v0
	v_bfe_u32 v10, v6, 16, 1
	v_add3_u32 v7, v0, v7, 0x7fff
	v_add3_u32 v8, v13, v8, 0x7fff
	v_add3_u32 v9, v5, v9, 0x7fff
	v_cmp_lt_u64_e64 s0, 0xffff, v[1:2]
	v_add3_u32 v10, v6, v10, 0x7fff
	v_lshrrev_b32_e32 v7, 16, v7
	v_and_b32_e32 v8, 0xffff0000, v8
	v_lshrrev_b32_e32 v9, 16, v9
	v_cmp_o_f32_e64 s1, v6, v6
	v_and_b32_e32 v10, 0xffff0000, v10
	v_cndmask_b32_e32 v0, 0x7fc0, v7, vcc_lo
	v_cmp_o_f32_e32 vcc_lo, v13, v13
	s_delay_alu instid0(VALU_DEP_3) | instskip(SKIP_2) | instid1(VALU_DEP_2)
	v_cndmask_b32_e64 v6, 0x7fc00000, v10, s1
	v_cndmask_b32_e32 v7, 0x7fc00000, v8, vcc_lo
	v_cmp_o_f32_e32 vcc_lo, v5, v5
	v_or_b32_e32 v0, v7, v0
	v_cndmask_b32_e32 v5, 0x7fc0, v9, vcc_lo
	v_cmp_le_i64_e32 vcc_lo, s[12:13], v[1:2]
	s_delay_alu instid0(VALU_DEP_2) | instskip(NEXT) | instid1(VALU_DEP_4)
	v_or3_b32 v6, 0, v5, v6
	v_or3_b32 v5, v0, 0, 0
	s_or_b32 s0, vcc_lo, s0
	v_add_co_u32 v11, vcc_lo, v11, s4
	v_add_co_ci_u32_e32 v12, vcc_lo, 0, v12, vcc_lo
	v_add_co_u32 v1, vcc_lo, v1, s5
	v_add_co_ci_u32_e32 v2, vcc_lo, 0, v2, vcc_lo
	s_and_b32 s0, exec_lo, s0
	global_store_b64 v[3:4], v[5:6], off
	s_or_b32 s2, s0, s2
	s_delay_alu instid0(SALU_CYCLE_1)
	s_and_not1_b32 exec_lo, exec_lo, s2
	s_cbranch_execz .LBB109_65
.LBB109_49:                             ; =>This Inner Loop Header: Depth=1
	v_add_co_u32 v3, vcc_lo, s10, v11
	v_add_co_ci_u32_e32 v4, vcc_lo, s11, v12, vcc_lo
	v_add_co_u32 v7, vcc_lo, s6, v11
	v_add_co_ci_u32_e32 v8, vcc_lo, s7, v12, vcc_lo
	;; [unrolled: 2-line block ×3, first 2 shown]
	global_load_b64 v[5:6], v[3:4], off
	global_load_b64 v[7:8], v[7:8], off
	;; [unrolled: 1-line block ×3, first 2 shown]
	s_and_b32 vcc_lo, exec_lo, s3
	s_waitcnt vmcnt(2)
	v_lshlrev_b32_e32 v13, 16, v5
	s_waitcnt vmcnt(1)
	v_lshlrev_b32_e32 v14, 16, v7
	s_waitcnt vmcnt(0)
	v_lshlrev_b32_e32 v15, 16, v9
	s_cbranch_vccz .LBB109_60
; %bb.50:                               ;   in Loop: Header=BB109_49 Depth=1
	s_delay_alu instid0(VALU_DEP_1) | instskip(NEXT) | instid1(VALU_DEP_1)
	v_mul_f32_e32 v0, v14, v15
	v_fma_f32 v0, s20, v0, v13
	s_cbranch_execnz .LBB109_52
.LBB109_51:                             ;   in Loop: Header=BB109_49 Depth=1
	s_delay_alu instid0(VALU_DEP_1) | instskip(NEXT) | instid1(VALU_DEP_1)
	v_fmac_f32_e32 v13, v14, v15
	v_mov_b32_e32 v0, v13
.LBB109_52:                             ;   in Loop: Header=BB109_49 Depth=1
	v_and_b32_e32 v14, 0xffff0000, v5
	v_and_b32_e32 v15, 0xffff0000, v7
	;; [unrolled: 1-line block ×3, first 2 shown]
	s_and_not1_b32 vcc_lo, exec_lo, s3
	s_cbranch_vccnz .LBB109_61
; %bb.53:                               ;   in Loop: Header=BB109_49 Depth=1
	s_delay_alu instid0(VALU_DEP_1) | instskip(NEXT) | instid1(VALU_DEP_1)
	v_mul_f32_e32 v13, v15, v16
	v_fma_f32 v13, s20, v13, v14
	s_cbranch_execnz .LBB109_55
.LBB109_54:                             ;   in Loop: Header=BB109_49 Depth=1
	s_delay_alu instid0(VALU_DEP_1) | instskip(NEXT) | instid1(VALU_DEP_1)
	v_fmac_f32_e32 v14, v15, v16
	v_mov_b32_e32 v13, v14
.LBB109_55:                             ;   in Loop: Header=BB109_49 Depth=1
	v_alignbit_b32 v5, v6, v5, 16
	v_alignbit_b32 v14, v8, v7, 16
	;; [unrolled: 1-line block ×3, first 2 shown]
	s_and_not1_b32 vcc_lo, exec_lo, s3
	s_delay_alu instid0(VALU_DEP_3) | instskip(NEXT) | instid1(VALU_DEP_3)
	v_and_b32_e32 v7, 0xffff0000, v5
	v_and_b32_e32 v9, 0xffff0000, v14
	s_delay_alu instid0(VALU_DEP_3)
	v_and_b32_e32 v14, 0xffff0000, v15
	s_cbranch_vccnz .LBB109_62
; %bb.56:                               ;   in Loop: Header=BB109_49 Depth=1
	s_delay_alu instid0(VALU_DEP_1) | instskip(NEXT) | instid1(VALU_DEP_1)
	v_mul_f32_e32 v5, v9, v14
	v_fma_f32 v5, s20, v5, v7
	s_cbranch_execnz .LBB109_58
.LBB109_57:                             ;   in Loop: Header=BB109_49 Depth=1
	s_delay_alu instid0(VALU_DEP_1) | instskip(NEXT) | instid1(VALU_DEP_1)
	v_fmac_f32_e32 v7, v9, v14
	v_mov_b32_e32 v5, v7
.LBB109_58:                             ;   in Loop: Header=BB109_49 Depth=1
	v_and_b32_e32 v7, 0xffff0000, v6
	v_and_b32_e32 v8, 0xffff0000, v8
	;; [unrolled: 1-line block ×3, first 2 shown]
	s_and_not1_b32 vcc_lo, exec_lo, s3
	s_cbranch_vccnz .LBB109_63
; %bb.59:                               ;   in Loop: Header=BB109_49 Depth=1
	s_delay_alu instid0(VALU_DEP_1) | instskip(NEXT) | instid1(VALU_DEP_1)
	v_mul_f32_e32 v6, v8, v9
	v_fma_f32 v6, s20, v6, v7
	s_cbranch_execnz .LBB109_48
	s_branch .LBB109_64
.LBB109_60:                             ;   in Loop: Header=BB109_49 Depth=1
                                        ; implicit-def: $vgpr0
	s_branch .LBB109_51
.LBB109_61:                             ;   in Loop: Header=BB109_49 Depth=1
                                        ; implicit-def: $vgpr13
	s_branch .LBB109_54
.LBB109_62:                             ;   in Loop: Header=BB109_49 Depth=1
                                        ; implicit-def: $vgpr5
	s_branch .LBB109_57
.LBB109_63:                             ;   in Loop: Header=BB109_49 Depth=1
                                        ; implicit-def: $vgpr6
.LBB109_64:                             ;   in Loop: Header=BB109_49 Depth=1
	s_delay_alu instid0(VALU_DEP_1) | instskip(NEXT) | instid1(VALU_DEP_1)
	v_fmac_f32_e32 v7, v8, v9
	v_mov_b32_e32 v6, v7
	s_branch .LBB109_48
.LBB109_65:
	s_nop 0
	s_sendmsg sendmsg(MSG_DEALLOC_VGPRS)
	s_endpgm
	.section	.rodata,"a",@progbits
	.p2align	6, 0x0
	.amdhsa_kernel _ZN2at6native12_GLOBAL__N_125multi_tensor_apply_kernelINS1_28TensorListScalarListMetadataIfLi3EEENS1_28PointwiseOpScalarListFunctorIN3c108BFloat16ELi3ELi3ELi0EEEJSt10multipliesIfEEEEvT_T0_DpT1_
		.amdhsa_group_segment_fixed_size 0
		.amdhsa_private_segment_fixed_size 0
		.amdhsa_kernarg_size 3592
		.amdhsa_user_sgpr_count 15
		.amdhsa_user_sgpr_dispatch_ptr 0
		.amdhsa_user_sgpr_queue_ptr 0
		.amdhsa_user_sgpr_kernarg_segment_ptr 1
		.amdhsa_user_sgpr_dispatch_id 0
		.amdhsa_user_sgpr_private_segment_size 0
		.amdhsa_wavefront_size32 1
		.amdhsa_uses_dynamic_stack 0
		.amdhsa_enable_private_segment 0
		.amdhsa_system_sgpr_workgroup_id_x 1
		.amdhsa_system_sgpr_workgroup_id_y 0
		.amdhsa_system_sgpr_workgroup_id_z 0
		.amdhsa_system_sgpr_workgroup_info 0
		.amdhsa_system_vgpr_workitem_id 0
		.amdhsa_next_free_vgpr 46
		.amdhsa_next_free_sgpr 25
		.amdhsa_reserve_vcc 1
		.amdhsa_float_round_mode_32 0
		.amdhsa_float_round_mode_16_64 0
		.amdhsa_float_denorm_mode_32 3
		.amdhsa_float_denorm_mode_16_64 3
		.amdhsa_dx10_clamp 1
		.amdhsa_ieee_mode 1
		.amdhsa_fp16_overflow 0
		.amdhsa_workgroup_processor_mode 1
		.amdhsa_memory_ordered 1
		.amdhsa_forward_progress 0
		.amdhsa_shared_vgpr_count 0
		.amdhsa_exception_fp_ieee_invalid_op 0
		.amdhsa_exception_fp_denorm_src 0
		.amdhsa_exception_fp_ieee_div_zero 0
		.amdhsa_exception_fp_ieee_overflow 0
		.amdhsa_exception_fp_ieee_underflow 0
		.amdhsa_exception_fp_ieee_inexact 0
		.amdhsa_exception_int_div_zero 0
	.end_amdhsa_kernel
	.section	.text._ZN2at6native12_GLOBAL__N_125multi_tensor_apply_kernelINS1_28TensorListScalarListMetadataIfLi3EEENS1_28PointwiseOpScalarListFunctorIN3c108BFloat16ELi3ELi3ELi0EEEJSt10multipliesIfEEEEvT_T0_DpT1_,"axG",@progbits,_ZN2at6native12_GLOBAL__N_125multi_tensor_apply_kernelINS1_28TensorListScalarListMetadataIfLi3EEENS1_28PointwiseOpScalarListFunctorIN3c108BFloat16ELi3ELi3ELi0EEEJSt10multipliesIfEEEEvT_T0_DpT1_,comdat
.Lfunc_end109:
	.size	_ZN2at6native12_GLOBAL__N_125multi_tensor_apply_kernelINS1_28TensorListScalarListMetadataIfLi3EEENS1_28PointwiseOpScalarListFunctorIN3c108BFloat16ELi3ELi3ELi0EEEJSt10multipliesIfEEEEvT_T0_DpT1_, .Lfunc_end109-_ZN2at6native12_GLOBAL__N_125multi_tensor_apply_kernelINS1_28TensorListScalarListMetadataIfLi3EEENS1_28PointwiseOpScalarListFunctorIN3c108BFloat16ELi3ELi3ELi0EEEJSt10multipliesIfEEEEvT_T0_DpT1_
                                        ; -- End function
	.section	.AMDGPU.csdata,"",@progbits
; Kernel info:
; codeLenInByte = 2636
; NumSgprs: 27
; NumVgprs: 46
; ScratchSize: 0
; MemoryBound: 0
; FloatMode: 240
; IeeeMode: 1
; LDSByteSize: 0 bytes/workgroup (compile time only)
; SGPRBlocks: 3
; VGPRBlocks: 5
; NumSGPRsForWavesPerEU: 27
; NumVGPRsForWavesPerEU: 46
; Occupancy: 16
; WaveLimiterHint : 0
; COMPUTE_PGM_RSRC2:SCRATCH_EN: 0
; COMPUTE_PGM_RSRC2:USER_SGPR: 15
; COMPUTE_PGM_RSRC2:TRAP_HANDLER: 0
; COMPUTE_PGM_RSRC2:TGID_X_EN: 1
; COMPUTE_PGM_RSRC2:TGID_Y_EN: 0
; COMPUTE_PGM_RSRC2:TGID_Z_EN: 0
; COMPUTE_PGM_RSRC2:TIDIG_COMP_CNT: 0
	.section	.text._ZN2at6native12_GLOBAL__N_125multi_tensor_apply_kernelINS1_28TensorListScalarListMetadataIhLi4EEENS1_28PointwiseOpScalarListFunctorIhLi4ELi3ELi3EEEJSt7dividesIhEEEEvT_T0_DpT1_,"axG",@progbits,_ZN2at6native12_GLOBAL__N_125multi_tensor_apply_kernelINS1_28TensorListScalarListMetadataIhLi4EEENS1_28PointwiseOpScalarListFunctorIhLi4ELi3ELi3EEEJSt7dividesIhEEEEvT_T0_DpT1_,comdat
	.globl	_ZN2at6native12_GLOBAL__N_125multi_tensor_apply_kernelINS1_28TensorListScalarListMetadataIhLi4EEENS1_28PointwiseOpScalarListFunctorIhLi4ELi3ELi3EEEJSt7dividesIhEEEEvT_T0_DpT1_ ; -- Begin function _ZN2at6native12_GLOBAL__N_125multi_tensor_apply_kernelINS1_28TensorListScalarListMetadataIhLi4EEENS1_28PointwiseOpScalarListFunctorIhLi4ELi3ELi3EEEJSt7dividesIhEEEEvT_T0_DpT1_
	.p2align	8
	.type	_ZN2at6native12_GLOBAL__N_125multi_tensor_apply_kernelINS1_28TensorListScalarListMetadataIhLi4EEENS1_28PointwiseOpScalarListFunctorIhLi4ELi3ELi3EEEJSt7dividesIhEEEEvT_T0_DpT1_,@function
_ZN2at6native12_GLOBAL__N_125multi_tensor_apply_kernelINS1_28TensorListScalarListMetadataIhLi4EEENS1_28PointwiseOpScalarListFunctorIhLi4ELi3ELi3EEEJSt7dividesIhEEEEvT_T0_DpT1_: ; @_ZN2at6native12_GLOBAL__N_125multi_tensor_apply_kernelINS1_28TensorListScalarListMetadataIhLi4EEENS1_28PointwiseOpScalarListFunctorIhLi4ELi3ELi3EEEJSt7dividesIhEEEEvT_T0_DpT1_
; %bb.0:
	v_mov_b32_e32 v1, s15
	s_mul_i32 s4, s15, 3
	s_mul_hi_u32 s5, s15, 3
	s_mov_b32 s25, 0
	global_load_u8 v3, v1, s[0:1] offset:1476
	s_waitcnt vmcnt(0)
	v_add_co_u32 v1, s2, s0, v3
	s_delay_alu instid0(VALU_DEP_1)
	v_add_co_ci_u32_e64 v2, null, s1, 0, s2
	s_add_u32 s2, s0, s15
	s_addc_u32 s3, s1, 0
	s_add_u32 s2, s2, s4
	global_load_u8 v2, v[1:2], off offset:1440
	s_addc_u32 s3, s3, s5
	v_readfirstlane_b32 s4, v3
	s_load_b32 s6, s[2:3], 0x704
	s_delay_alu instid0(VALU_DEP_1)
	s_lshl_b32 s7, s4, 3
	s_clause 0x4
	s_load_b64 s[14:15], s[0:1], s7 offset:0x0
	s_load_b64 s[12:13], s[0:1], s7 offset:0x120
	;; [unrolled: 1-line block ×5, first 2 shown]
	s_waitcnt lgkmcnt(0)
	s_ashr_i32 s7, s6, 31
	s_delay_alu instid0(SALU_CYCLE_1) | instskip(NEXT) | instid1(SALU_CYCLE_1)
	s_lshl_b64 s[16:17], s[6:7], 16
	s_add_u32 s6, s14, s16
	s_addc_u32 s7, s15, s17
	s_add_u32 s18, s12, s16
	s_addc_u32 s19, s13, s17
	s_and_b32 s24, s18, 3
	s_delay_alu instid0(SALU_CYCLE_1)
	s_cmp_eq_u64 s[24:25], 0
	s_cselect_b32 s8, -1, 0
	s_add_u32 s20, s4, s16
	s_addc_u32 s21, s5, s17
	s_add_u32 s22, s2, s16
	s_addc_u32 s23, s3, s17
	s_or_b32 s9, s22, s20
	s_delay_alu instid0(SALU_CYCLE_1) | instskip(NEXT) | instid1(SALU_CYCLE_1)
	s_and_b32 s9, s9, 3
	s_cmp_eq_u32 s9, 0
	s_cselect_b32 s9, -1, 0
	s_delay_alu instid0(SALU_CYCLE_1) | instskip(SKIP_3) | instid1(SALU_CYCLE_1)
	s_and_b32 s26, s9, s8
	s_sub_u32 s8, s10, s16
	s_subb_u32 s9, s11, s17
	s_or_b64 s[10:11], s[10:11], s[6:7]
	s_and_b32 s24, s10, 3
	s_delay_alu instid0(SALU_CYCLE_1) | instskip(SKIP_1) | instid1(SALU_CYCLE_1)
	s_cmp_eq_u64 s[24:25], 0
	s_cselect_b32 s10, -1, 0
	s_and_b32 s10, s26, s10
	s_delay_alu instid0(SALU_CYCLE_1)
	s_and_b32 vcc_lo, exec_lo, s10
	s_mov_b32 s10, -1
	s_cbranch_vccnz .LBB110_29
; %bb.1:
	v_cmp_lt_i64_e64 s10, s[8:9], 1
	s_delay_alu instid0(VALU_DEP_1)
	s_and_b32 vcc_lo, exec_lo, s10
	s_cbranch_vccnz .LBB110_28
; %bb.2:
	s_load_b32 s10, s[0:1], 0xc1c
	v_add_co_u32 v28, s11, s16, v0
	s_delay_alu instid0(VALU_DEP_1) | instskip(SKIP_1) | instid1(VALU_DEP_3)
	v_add_co_ci_u32_e64 v29, null, s17, 0, s11
	v_cmp_gt_u64_e64 s11, 0x10000, s[8:9]
	v_add_co_u32 v1, vcc_lo, s14, v28
	s_delay_alu instid0(VALU_DEP_3)
	v_add_co_ci_u32_e32 v3, vcc_lo, s15, v29, vcc_lo
	v_add_co_u32 v4, vcc_lo, s12, v28
	v_add_co_ci_u32_e32 v5, vcc_lo, s13, v29, vcc_lo
	v_add_co_u32 v6, vcc_lo, s4, v28
	;; [unrolled: 2-line block ×3, first 2 shown]
	s_waitcnt lgkmcnt(0)
	s_and_b32 s25, s10, 0xffff
	s_and_b32 s10, s11, exec_lo
	s_mul_i32 s27, s25, 3
	s_cselect_b32 s11, s9, 0
	s_cselect_b32 s10, s8, 0x10000
	s_lshl_b32 s26, s25, 1
	s_lshl_b32 s24, s25, 2
	s_add_u32 s28, s16, s27
	s_addc_u32 s29, s17, 0
	v_add_co_u32 v16, s28, s28, v0
	s_delay_alu instid0(VALU_DEP_1) | instskip(SKIP_1) | instid1(VALU_DEP_3)
	v_add_co_ci_u32_e64 v17, null, s29, 0, s28
	v_add_co_ci_u32_e32 v9, vcc_lo, s3, v29, vcc_lo
	v_add_co_u32 v10, vcc_lo, s14, v16
	s_delay_alu instid0(VALU_DEP_3)
	v_add_co_ci_u32_e32 v11, vcc_lo, s15, v17, vcc_lo
	v_add_co_u32 v12, vcc_lo, s12, v16
	v_add_co_ci_u32_e32 v13, vcc_lo, s13, v17, vcc_lo
	s_add_u32 s16, s16, s26
	v_add_co_u32 v14, vcc_lo, s4, v16
	s_addc_u32 s17, s17, 0
	v_add_co_u32 v26, s16, s16, v0
	v_add_co_ci_u32_e32 v15, vcc_lo, s5, v17, vcc_lo
	v_add_co_u32 v16, vcc_lo, s2, v16
	v_add_co_ci_u32_e64 v27, null, s17, 0, s16
	v_add_co_ci_u32_e32 v17, vcc_lo, s3, v17, vcc_lo
	v_add_co_u32 v20, vcc_lo, s14, v26
	s_delay_alu instid0(VALU_DEP_3)
	v_add_co_ci_u32_e32 v21, vcc_lo, s15, v27, vcc_lo
	v_add_co_u32 v22, vcc_lo, s12, v26
	v_add_co_ci_u32_e32 v23, vcc_lo, s13, v27, vcc_lo
	v_add_co_u32 v24, vcc_lo, s4, v26
	;; [unrolled: 2-line block ×4, first 2 shown]
	v_add_co_ci_u32_e32 v37, vcc_lo, 0, v29, vcc_lo
	v_add_co_u32 v18, s16, s27, v0
	s_delay_alu instid0(VALU_DEP_3) | instskip(NEXT) | instid1(VALU_DEP_3)
	v_add_co_u32 v30, vcc_lo, s14, v36
	v_add_co_ci_u32_e32 v31, vcc_lo, s15, v37, vcc_lo
	v_add_co_u32 v32, vcc_lo, s12, v36
	v_add_co_ci_u32_e32 v33, vcc_lo, s13, v37, vcc_lo
	;; [unrolled: 2-line block ×3, first 2 shown]
	v_add_co_ci_u32_e64 v19, null, 0, 0, s16
	v_add_co_u32 v28, s16, s26, v0
	v_add_co_u32 v36, vcc_lo, s2, v36
	v_add_co_u32 v38, s2, v0, s25
	v_add_co_ci_u32_e64 v29, null, 0, 0, s16
	v_add_co_ci_u32_e32 v37, vcc_lo, s3, v37, vcc_lo
	v_add_co_ci_u32_e64 v39, null, 0, 0, s2
	s_mov_b64 s[12:13], 0
	s_branch .LBB110_4
.LBB110_3:                              ;   in Loop: Header=BB110_4 Depth=1
	s_or_b32 exec_lo, exec_lo, s2
	s_add_u32 s12, s12, s24
	s_addc_u32 s13, s13, 0
	s_delay_alu instid0(SALU_CYCLE_1) | instskip(SKIP_1) | instid1(VALU_DEP_1)
	v_cmp_lt_i64_e64 s2, s[12:13], s[8:9]
	v_cmp_gt_u64_e64 s3, 0x10000, s[12:13]
	s_and_b32 s2, s2, s3
	s_delay_alu instid0(SALU_CYCLE_1)
	s_and_b32 vcc_lo, exec_lo, s2
	s_cbranch_vccz .LBB110_28
.LBB110_4:                              ; =>This Inner Loop Header: Depth=1
	s_waitcnt vmcnt(1)
	v_add_co_u32 v40, s2, v0, s12
	s_delay_alu instid0(VALU_DEP_1) | instskip(SKIP_2) | instid1(VALU_DEP_2)
	v_add_co_ci_u32_e64 v41, null, 0, s13, s2
	s_waitcnt vmcnt(0)
	v_mov_b32_e32 v42, 0
	v_cmp_gt_u64_e32 vcc_lo, s[10:11], v[40:41]
	v_mov_b32_e32 v40, 0
	s_and_saveexec_b32 s3, vcc_lo
	s_cbranch_execz .LBB110_6
; %bb.5:                                ;   in Loop: Header=BB110_4 Depth=1
	v_add_co_u32 v40, s2, v1, s12
	s_delay_alu instid0(VALU_DEP_1) | instskip(SKIP_1) | instid1(VALU_DEP_1)
	v_add_co_ci_u32_e64 v41, s2, s13, v3, s2
	v_add_co_u32 v42, s2, v4, s12
	v_add_co_ci_u32_e64 v43, s2, s13, v5, s2
	global_load_u8 v40, v[40:41], off
	global_load_u8 v42, v[42:43], off
.LBB110_6:                              ;   in Loop: Header=BB110_4 Depth=1
	s_or_b32 exec_lo, exec_lo, s3
	v_dual_mov_b32 v41, 0 :: v_dual_mov_b32 v44, 0
	s_and_saveexec_b32 s3, vcc_lo
	s_cbranch_execz .LBB110_8
; %bb.7:                                ;   in Loop: Header=BB110_4 Depth=1
	v_add_co_u32 v43, s2, v6, s12
	s_delay_alu instid0(VALU_DEP_1)
	v_add_co_ci_u32_e64 v44, s2, s13, v7, s2
	global_load_u8 v44, v[43:44], off
.LBB110_8:                              ;   in Loop: Header=BB110_4 Depth=1
	s_or_b32 exec_lo, exec_lo, s3
	v_add_co_u32 v45, s2, v38, s12
	s_delay_alu instid0(VALU_DEP_1) | instskip(NEXT) | instid1(VALU_DEP_1)
	v_add_co_ci_u32_e64 v46, s2, s13, v39, s2
	v_cmp_gt_u64_e64 s2, s[10:11], v[45:46]
	v_mov_b32_e32 v45, 0
	s_delay_alu instid0(VALU_DEP_2)
	s_and_saveexec_b32 s4, s2
	s_cbranch_execz .LBB110_10
; %bb.9:                                ;   in Loop: Header=BB110_4 Depth=1
	v_add_co_u32 v45, s3, v30, s12
	s_delay_alu instid0(VALU_DEP_1) | instskip(SKIP_1) | instid1(VALU_DEP_1)
	v_add_co_ci_u32_e64 v46, s3, s13, v31, s3
	v_add_co_u32 v47, s3, v32, s12
	v_add_co_ci_u32_e64 v48, s3, s13, v33, s3
	global_load_u8 v41, v[45:46], off
	global_load_u8 v45, v[47:48], off
.LBB110_10:                             ;   in Loop: Header=BB110_4 Depth=1
	s_or_b32 exec_lo, exec_lo, s4
	v_mov_b32_e32 v43, 0
	v_mov_b32_e32 v47, 0
	s_and_saveexec_b32 s4, s2
	s_cbranch_execz .LBB110_12
; %bb.11:                               ;   in Loop: Header=BB110_4 Depth=1
	v_add_co_u32 v46, s3, v34, s12
	s_delay_alu instid0(VALU_DEP_1)
	v_add_co_ci_u32_e64 v47, s3, s13, v35, s3
	global_load_u8 v47, v[46:47], off
.LBB110_12:                             ;   in Loop: Header=BB110_4 Depth=1
	s_or_b32 exec_lo, exec_lo, s4
	v_add_co_u32 v48, s3, v28, s12
	s_delay_alu instid0(VALU_DEP_1) | instskip(NEXT) | instid1(VALU_DEP_1)
	v_add_co_ci_u32_e64 v49, s3, s13, v29, s3
	v_cmp_gt_u64_e64 s3, s[10:11], v[48:49]
	v_mov_b32_e32 v48, 0
	s_delay_alu instid0(VALU_DEP_2)
	s_and_saveexec_b32 s5, s3
	s_cbranch_execz .LBB110_14
; %bb.13:                               ;   in Loop: Header=BB110_4 Depth=1
	v_add_co_u32 v48, s4, v20, s12
	s_delay_alu instid0(VALU_DEP_1) | instskip(SKIP_1) | instid1(VALU_DEP_1)
	v_add_co_ci_u32_e64 v49, s4, s13, v21, s4
	v_add_co_u32 v50, s4, v22, s12
	v_add_co_ci_u32_e64 v51, s4, s13, v23, s4
	global_load_u8 v43, v[48:49], off
	global_load_u8 v48, v[50:51], off
.LBB110_14:                             ;   in Loop: Header=BB110_4 Depth=1
	s_or_b32 exec_lo, exec_lo, s5
	v_dual_mov_b32 v46, 0 :: v_dual_mov_b32 v49, 0
	s_and_saveexec_b32 s5, s3
	s_cbranch_execz .LBB110_16
; %bb.15:                               ;   in Loop: Header=BB110_4 Depth=1
	v_add_co_u32 v49, s4, v24, s12
	s_delay_alu instid0(VALU_DEP_1)
	v_add_co_ci_u32_e64 v50, s4, s13, v25, s4
	global_load_u8 v49, v[49:50], off
.LBB110_16:                             ;   in Loop: Header=BB110_4 Depth=1
	s_or_b32 exec_lo, exec_lo, s5
	v_add_co_u32 v50, s4, v18, s12
	s_delay_alu instid0(VALU_DEP_1) | instskip(NEXT) | instid1(VALU_DEP_1)
	v_add_co_ci_u32_e64 v51, s4, s13, v19, s4
	v_cmp_gt_u64_e64 s4, s[10:11], v[50:51]
	v_mov_b32_e32 v50, 0
	s_delay_alu instid0(VALU_DEP_2)
	s_and_saveexec_b32 s14, s4
	s_cbranch_execnz .LBB110_22
; %bb.17:                               ;   in Loop: Header=BB110_4 Depth=1
	s_or_b32 exec_lo, exec_lo, s14
	v_mov_b32_e32 v51, 0
	s_and_saveexec_b32 s14, s4
	s_cbranch_execnz .LBB110_23
.LBB110_18:                             ;   in Loop: Header=BB110_4 Depth=1
	s_or_b32 exec_lo, exec_lo, s14
	s_and_saveexec_b32 s5, vcc_lo
	s_cbranch_execnz .LBB110_24
.LBB110_19:                             ;   in Loop: Header=BB110_4 Depth=1
	s_or_b32 exec_lo, exec_lo, s5
	s_and_saveexec_b32 s5, s2
	s_cbranch_execnz .LBB110_25
.LBB110_20:                             ;   in Loop: Header=BB110_4 Depth=1
	s_or_b32 exec_lo, exec_lo, s5
	s_and_saveexec_b32 s2, s3
	s_cbranch_execnz .LBB110_26
.LBB110_21:                             ;   in Loop: Header=BB110_4 Depth=1
	s_or_b32 exec_lo, exec_lo, s2
	s_and_saveexec_b32 s2, s4
	s_cbranch_execz .LBB110_3
	s_branch .LBB110_27
.LBB110_22:                             ;   in Loop: Header=BB110_4 Depth=1
	v_add_co_u32 v50, s5, v10, s12
	s_delay_alu instid0(VALU_DEP_1) | instskip(SKIP_1) | instid1(VALU_DEP_1)
	v_add_co_ci_u32_e64 v51, s5, s13, v11, s5
	v_add_co_u32 v52, s5, v12, s12
	v_add_co_ci_u32_e64 v53, s5, s13, v13, s5
	global_load_u8 v46, v[50:51], off
	global_load_u8 v50, v[52:53], off
	s_or_b32 exec_lo, exec_lo, s14
	v_mov_b32_e32 v51, 0
	s_and_saveexec_b32 s14, s4
	s_cbranch_execz .LBB110_18
.LBB110_23:                             ;   in Loop: Header=BB110_4 Depth=1
	v_add_co_u32 v51, s5, v14, s12
	s_delay_alu instid0(VALU_DEP_1)
	v_add_co_ci_u32_e64 v52, s5, s13, v15, s5
	global_load_u8 v51, v[51:52], off
	s_or_b32 exec_lo, exec_lo, s14
	s_and_saveexec_b32 s5, vcc_lo
	s_cbranch_execz .LBB110_19
.LBB110_24:                             ;   in Loop: Header=BB110_4 Depth=1
	s_waitcnt vmcnt(0)
	v_cvt_f32_ubyte0_e32 v44, v44
	v_cvt_f32_ubyte0_e32 v42, v42
	s_delay_alu instid0(VALU_DEP_2) | instskip(SKIP_2) | instid1(VALU_DEP_1)
	v_rcp_iflag_f32_e32 v52, v44
	s_waitcnt_depctr 0xfff
	v_mul_f32_e32 v52, v42, v52
	v_trunc_f32_e32 v52, v52
	s_delay_alu instid0(VALU_DEP_1) | instskip(SKIP_1) | instid1(VALU_DEP_2)
	v_fma_f32 v42, -v52, v44, v42
	v_cvt_u32_f32_e32 v52, v52
	v_cmp_ge_f32_e64 vcc_lo, |v42|, v44
	s_delay_alu instid0(VALU_DEP_2) | instskip(SKIP_2) | instid1(VALU_DEP_3)
	v_add_co_ci_u32_e32 v42, vcc_lo, 0, v52, vcc_lo
	v_add_co_u32 v52, vcc_lo, v8, s12
	v_add_co_ci_u32_e32 v53, vcc_lo, s13, v9, vcc_lo
	v_mad_u16 v40, v42, v2, v40
	global_store_b8 v[52:53], v40, off
	s_or_b32 exec_lo, exec_lo, s5
	s_and_saveexec_b32 s5, s2
	s_cbranch_execz .LBB110_20
.LBB110_25:                             ;   in Loop: Header=BB110_4 Depth=1
	s_waitcnt vmcnt(0)
	v_cvt_f32_ubyte0_e32 v40, v47
	v_cvt_f32_ubyte0_e32 v44, v45
	s_delay_alu instid0(VALU_DEP_2) | instskip(SKIP_2) | instid1(VALU_DEP_1)
	v_rcp_iflag_f32_e32 v42, v40
	s_waitcnt_depctr 0xfff
	v_mul_f32_e32 v42, v44, v42
	v_trunc_f32_e32 v42, v42
	s_delay_alu instid0(VALU_DEP_1) | instskip(SKIP_1) | instid1(VALU_DEP_2)
	v_fma_f32 v44, -v42, v40, v44
	v_cvt_u32_f32_e32 v42, v42
	v_cmp_ge_f32_e64 vcc_lo, |v44|, v40
	s_delay_alu instid0(VALU_DEP_2) | instskip(NEXT) | instid1(VALU_DEP_1)
	v_add_co_ci_u32_e32 v40, vcc_lo, 0, v42, vcc_lo
	v_mad_u16 v42, v40, v2, v41
	v_add_co_u32 v40, vcc_lo, v36, s12
	v_add_co_ci_u32_e32 v41, vcc_lo, s13, v37, vcc_lo
	global_store_b8 v[40:41], v42, off
	s_or_b32 exec_lo, exec_lo, s5
	s_and_saveexec_b32 s2, s3
	s_cbranch_execz .LBB110_21
.LBB110_26:                             ;   in Loop: Header=BB110_4 Depth=1
	s_waitcnt vmcnt(0)
	v_cvt_f32_ubyte0_e32 v40, v49
	v_cvt_f32_ubyte0_e32 v42, v48
	s_delay_alu instid0(VALU_DEP_2) | instskip(SKIP_2) | instid1(VALU_DEP_1)
	v_rcp_iflag_f32_e32 v41, v40
	s_waitcnt_depctr 0xfff
	v_mul_f32_e32 v41, v42, v41
	v_trunc_f32_e32 v41, v41
	s_delay_alu instid0(VALU_DEP_1) | instskip(SKIP_1) | instid1(VALU_DEP_2)
	v_fma_f32 v42, -v41, v40, v42
	v_cvt_u32_f32_e32 v41, v41
	v_cmp_ge_f32_e64 vcc_lo, |v42|, v40
	s_delay_alu instid0(VALU_DEP_2) | instskip(NEXT) | instid1(VALU_DEP_1)
	v_add_co_ci_u32_e32 v40, vcc_lo, 0, v41, vcc_lo
	v_mad_u16 v42, v40, v2, v43
	v_add_co_u32 v40, vcc_lo, v26, s12
	v_add_co_ci_u32_e32 v41, vcc_lo, s13, v27, vcc_lo
	global_store_b8 v[40:41], v42, off
	s_or_b32 exec_lo, exec_lo, s2
	s_and_saveexec_b32 s2, s4
	s_cbranch_execz .LBB110_3
.LBB110_27:                             ;   in Loop: Header=BB110_4 Depth=1
	s_waitcnt vmcnt(0)
	v_cvt_f32_ubyte0_e32 v40, v51
	v_cvt_f32_ubyte0_e32 v42, v50
	s_delay_alu instid0(VALU_DEP_2) | instskip(SKIP_2) | instid1(VALU_DEP_1)
	v_rcp_iflag_f32_e32 v41, v40
	s_waitcnt_depctr 0xfff
	v_mul_f32_e32 v41, v42, v41
	v_trunc_f32_e32 v41, v41
	s_delay_alu instid0(VALU_DEP_1) | instskip(SKIP_1) | instid1(VALU_DEP_2)
	v_fma_f32 v42, -v41, v40, v42
	v_cvt_u32_f32_e32 v41, v41
	v_cmp_ge_f32_e64 vcc_lo, |v42|, v40
	s_delay_alu instid0(VALU_DEP_2) | instskip(NEXT) | instid1(VALU_DEP_1)
	v_add_co_ci_u32_e32 v40, vcc_lo, 0, v41, vcc_lo
	v_mad_u16 v42, v40, v2, v46
	v_add_co_u32 v40, vcc_lo, v16, s12
	v_add_co_ci_u32_e32 v41, vcc_lo, s13, v17, vcc_lo
	global_store_b8 v[40:41], v42, off
	s_branch .LBB110_3
.LBB110_28:
	s_mov_b32 s10, 0
.LBB110_29:
	s_delay_alu instid0(SALU_CYCLE_1)
	s_and_not1_b32 vcc_lo, exec_lo, s10
	s_cbranch_vccnz .LBB110_33
; %bb.30:
	v_dual_mov_b32 v1, 0 :: v_dual_lshlrev_b32 v0, 2, v0
	s_mov_b32 s2, exec_lo
	s_delay_alu instid0(VALU_DEP_1)
	v_cmpx_gt_i64_e64 s[8:9], v[0:1]
	s_cbranch_execz .LBB110_33
; %bb.31:
	s_load_b32 s0, s[0:1], 0xc1c
	s_mov_b32 s2, 0
	s_waitcnt lgkmcnt(0)
	s_and_b32 s0, s0, 0xffff
	s_delay_alu instid0(SALU_CYCLE_1)
	s_lshl_b32 s1, s0, 2
.LBB110_32:                             ; =>This Inner Loop Header: Depth=1
	v_add_co_u32 v3, vcc_lo, s18, v0
	v_add_co_ci_u32_e32 v4, vcc_lo, s19, v1, vcc_lo
	v_add_co_u32 v5, vcc_lo, s20, v0
	v_add_co_ci_u32_e32 v6, vcc_lo, s21, v1, vcc_lo
	;; [unrolled: 2-line block ×3, first 2 shown]
	global_load_b32 v9, v[3:4], off
	global_load_b32 v5, v[5:6], off
	;; [unrolled: 1-line block ×3, first 2 shown]
	v_add_co_u32 v3, vcc_lo, s22, v0
	v_add_co_ci_u32_e32 v4, vcc_lo, s23, v1, vcc_lo
	v_add_co_u32 v0, vcc_lo, s1, v0
	v_add_co_ci_u32_e32 v1, vcc_lo, 0, v1, vcc_lo
	s_delay_alu instid0(VALU_DEP_1)
	v_cmp_le_i64_e32 vcc_lo, s[8:9], v[0:1]
	s_waitcnt vmcnt(2)
	v_cvt_f32_ubyte0_e32 v7, v9
	s_waitcnt vmcnt(1)
	v_cvt_f32_ubyte0_e32 v8, v5
	v_cvt_f32_ubyte1_e32 v12, v5
	v_cvt_f32_ubyte2_e32 v15, v5
	v_cvt_f32_ubyte3_e32 v5, v5
	v_cvt_f32_ubyte1_e32 v11, v9
	v_rcp_iflag_f32_e32 v17, v8
	v_rcp_iflag_f32_e32 v18, v12
	v_cvt_f32_ubyte2_e32 v14, v9
	v_rcp_iflag_f32_e32 v20, v5
	v_cvt_f32_ubyte3_e32 v9, v9
	v_rcp_iflag_f32_e32 v19, v15
	s_waitcnt vmcnt(0)
	v_lshrrev_b32_e32 v10, 8, v6
	v_lshrrev_b32_e32 v13, 16, v6
	;; [unrolled: 1-line block ×3, first 2 shown]
	v_mul_f32_e32 v17, v7, v17
	v_mul_f32_e32 v18, v11, v18
	s_waitcnt_depctr 0xfff
	v_dual_mul_f32 v20, v9, v20 :: v_dual_mul_f32 v19, v14, v19
	v_trunc_f32_e32 v17, v17
	v_trunc_f32_e32 v18, v18
	s_delay_alu instid0(VALU_DEP_3) | instskip(NEXT) | instid1(VALU_DEP_4)
	v_trunc_f32_e32 v20, v20
	v_trunc_f32_e32 v19, v19
	s_delay_alu instid0(VALU_DEP_4)
	v_fma_f32 v7, -v17, v8, v7
	v_cvt_u32_f32_e32 v17, v17
	v_fma_f32 v11, -v18, v12, v11
	v_cvt_u32_f32_e32 v18, v18
	v_fma_f32 v14, -v19, v15, v14
	v_cmp_ge_f32_e64 s0, |v7|, v8
	v_cvt_u32_f32_e32 v19, v19
	v_fma_f32 v9, -v20, v5, v9
	v_cvt_u32_f32_e32 v20, v20
	s_delay_alu instid0(VALU_DEP_4) | instskip(SKIP_1) | instid1(VALU_DEP_2)
	v_add_co_ci_u32_e64 v7, s0, 0, v17, s0
	v_cmp_ge_f32_e64 s0, |v11|, v12
	v_mad_u16 v6, v7, v2, v6
	s_delay_alu instid0(VALU_DEP_2) | instskip(SKIP_1) | instid1(VALU_DEP_2)
	v_add_co_ci_u32_e64 v8, s0, 0, v18, s0
	v_cmp_ge_f32_e64 s0, |v14|, v15
	v_mad_u16 v8, v8, v2, v10
	s_delay_alu instid0(VALU_DEP_2) | instskip(SKIP_1) | instid1(VALU_DEP_3)
	v_add_co_ci_u32_e64 v11, s0, 0, v19, s0
	v_cmp_ge_f32_e64 s0, |v9|, v5
	v_and_b32_e32 v7, 0xff, v8
	s_delay_alu instid0(VALU_DEP_3) | instskip(NEXT) | instid1(VALU_DEP_3)
	v_mad_u16 v9, v11, v2, v13
	v_add_co_ci_u32_e64 v5, s0, 0, v20, s0
	v_cmp_lt_u64_e64 s0, 0xffff, v[0:1]
	s_delay_alu instid0(VALU_DEP_3) | instskip(SKIP_1) | instid1(VALU_DEP_4)
	v_and_b32_e32 v8, 0xff, v9
	v_perm_b32 v6, v7, v6, 0x6050400
	v_mad_u16 v5, v5, v2, v16
	s_delay_alu instid0(VALU_DEP_3) | instskip(SKIP_1) | instid1(VALU_DEP_2)
	v_lshlrev_b32_e32 v7, 16, v8
	s_or_b32 s0, vcc_lo, s0
	v_lshlrev_b32_e32 v5, 24, v5
	s_and_b32 s0, exec_lo, s0
	s_delay_alu instid0(SALU_CYCLE_1) | instskip(NEXT) | instid1(VALU_DEP_1)
	s_or_b32 s2, s0, s2
	v_or3_b32 v5, v6, v7, v5
	global_store_b32 v[3:4], v5, off
	s_and_not1_b32 exec_lo, exec_lo, s2
	s_cbranch_execnz .LBB110_32
.LBB110_33:
	s_nop 0
	s_sendmsg sendmsg(MSG_DEALLOC_VGPRS)
	s_endpgm
	.section	.rodata,"a",@progbits
	.p2align	6, 0x0
	.amdhsa_kernel _ZN2at6native12_GLOBAL__N_125multi_tensor_apply_kernelINS1_28TensorListScalarListMetadataIhLi4EEENS1_28PointwiseOpScalarListFunctorIhLi4ELi3ELi3EEEJSt7dividesIhEEEEvT_T0_DpT1_
		.amdhsa_group_segment_fixed_size 0
		.amdhsa_private_segment_fixed_size 0
		.amdhsa_kernarg_size 3344
		.amdhsa_user_sgpr_count 15
		.amdhsa_user_sgpr_dispatch_ptr 0
		.amdhsa_user_sgpr_queue_ptr 0
		.amdhsa_user_sgpr_kernarg_segment_ptr 1
		.amdhsa_user_sgpr_dispatch_id 0
		.amdhsa_user_sgpr_private_segment_size 0
		.amdhsa_wavefront_size32 1
		.amdhsa_uses_dynamic_stack 0
		.amdhsa_enable_private_segment 0
		.amdhsa_system_sgpr_workgroup_id_x 1
		.amdhsa_system_sgpr_workgroup_id_y 0
		.amdhsa_system_sgpr_workgroup_id_z 0
		.amdhsa_system_sgpr_workgroup_info 0
		.amdhsa_system_vgpr_workitem_id 0
		.amdhsa_next_free_vgpr 54
		.amdhsa_next_free_sgpr 30
		.amdhsa_reserve_vcc 1
		.amdhsa_float_round_mode_32 0
		.amdhsa_float_round_mode_16_64 0
		.amdhsa_float_denorm_mode_32 3
		.amdhsa_float_denorm_mode_16_64 3
		.amdhsa_dx10_clamp 1
		.amdhsa_ieee_mode 1
		.amdhsa_fp16_overflow 0
		.amdhsa_workgroup_processor_mode 1
		.amdhsa_memory_ordered 1
		.amdhsa_forward_progress 0
		.amdhsa_shared_vgpr_count 0
		.amdhsa_exception_fp_ieee_invalid_op 0
		.amdhsa_exception_fp_denorm_src 0
		.amdhsa_exception_fp_ieee_div_zero 0
		.amdhsa_exception_fp_ieee_overflow 0
		.amdhsa_exception_fp_ieee_underflow 0
		.amdhsa_exception_fp_ieee_inexact 0
		.amdhsa_exception_int_div_zero 0
	.end_amdhsa_kernel
	.section	.text._ZN2at6native12_GLOBAL__N_125multi_tensor_apply_kernelINS1_28TensorListScalarListMetadataIhLi4EEENS1_28PointwiseOpScalarListFunctorIhLi4ELi3ELi3EEEJSt7dividesIhEEEEvT_T0_DpT1_,"axG",@progbits,_ZN2at6native12_GLOBAL__N_125multi_tensor_apply_kernelINS1_28TensorListScalarListMetadataIhLi4EEENS1_28PointwiseOpScalarListFunctorIhLi4ELi3ELi3EEEJSt7dividesIhEEEEvT_T0_DpT1_,comdat
.Lfunc_end110:
	.size	_ZN2at6native12_GLOBAL__N_125multi_tensor_apply_kernelINS1_28TensorListScalarListMetadataIhLi4EEENS1_28PointwiseOpScalarListFunctorIhLi4ELi3ELi3EEEJSt7dividesIhEEEEvT_T0_DpT1_, .Lfunc_end110-_ZN2at6native12_GLOBAL__N_125multi_tensor_apply_kernelINS1_28TensorListScalarListMetadataIhLi4EEENS1_28PointwiseOpScalarListFunctorIhLi4ELi3ELi3EEEJSt7dividesIhEEEEvT_T0_DpT1_
                                        ; -- End function
	.section	.AMDGPU.csdata,"",@progbits
; Kernel info:
; codeLenInByte = 2384
; NumSgprs: 32
; NumVgprs: 54
; ScratchSize: 0
; MemoryBound: 0
; FloatMode: 240
; IeeeMode: 1
; LDSByteSize: 0 bytes/workgroup (compile time only)
; SGPRBlocks: 3
; VGPRBlocks: 6
; NumSGPRsForWavesPerEU: 32
; NumVGPRsForWavesPerEU: 54
; Occupancy: 16
; WaveLimiterHint : 0
; COMPUTE_PGM_RSRC2:SCRATCH_EN: 0
; COMPUTE_PGM_RSRC2:USER_SGPR: 15
; COMPUTE_PGM_RSRC2:TRAP_HANDLER: 0
; COMPUTE_PGM_RSRC2:TGID_X_EN: 1
; COMPUTE_PGM_RSRC2:TGID_Y_EN: 0
; COMPUTE_PGM_RSRC2:TGID_Z_EN: 0
; COMPUTE_PGM_RSRC2:TIDIG_COMP_CNT: 0
	.section	.text._ZN2at6native12_GLOBAL__N_125multi_tensor_apply_kernelINS1_28TensorListScalarListMetadataIaLi4EEENS1_28PointwiseOpScalarListFunctorIaLi4ELi3ELi3EEEJSt7dividesIaEEEEvT_T0_DpT1_,"axG",@progbits,_ZN2at6native12_GLOBAL__N_125multi_tensor_apply_kernelINS1_28TensorListScalarListMetadataIaLi4EEENS1_28PointwiseOpScalarListFunctorIaLi4ELi3ELi3EEEJSt7dividesIaEEEEvT_T0_DpT1_,comdat
	.globl	_ZN2at6native12_GLOBAL__N_125multi_tensor_apply_kernelINS1_28TensorListScalarListMetadataIaLi4EEENS1_28PointwiseOpScalarListFunctorIaLi4ELi3ELi3EEEJSt7dividesIaEEEEvT_T0_DpT1_ ; -- Begin function _ZN2at6native12_GLOBAL__N_125multi_tensor_apply_kernelINS1_28TensorListScalarListMetadataIaLi4EEENS1_28PointwiseOpScalarListFunctorIaLi4ELi3ELi3EEEJSt7dividesIaEEEEvT_T0_DpT1_
	.p2align	8
	.type	_ZN2at6native12_GLOBAL__N_125multi_tensor_apply_kernelINS1_28TensorListScalarListMetadataIaLi4EEENS1_28PointwiseOpScalarListFunctorIaLi4ELi3ELi3EEEJSt7dividesIaEEEEvT_T0_DpT1_,@function
_ZN2at6native12_GLOBAL__N_125multi_tensor_apply_kernelINS1_28TensorListScalarListMetadataIaLi4EEENS1_28PointwiseOpScalarListFunctorIaLi4ELi3ELi3EEEJSt7dividesIaEEEEvT_T0_DpT1_: ; @_ZN2at6native12_GLOBAL__N_125multi_tensor_apply_kernelINS1_28TensorListScalarListMetadataIaLi4EEENS1_28PointwiseOpScalarListFunctorIaLi4ELi3ELi3EEEJSt7dividesIaEEEEvT_T0_DpT1_
; %bb.0:
	v_mov_b32_e32 v1, s15
	s_mul_i32 s4, s15, 3
	s_mul_hi_u32 s5, s15, 3
	s_mov_b32 s25, 0
	global_load_u8 v3, v1, s[0:1] offset:1476
	s_waitcnt vmcnt(0)
	v_add_co_u32 v1, s2, s0, v3
	s_delay_alu instid0(VALU_DEP_1)
	v_add_co_ci_u32_e64 v2, null, s1, 0, s2
	s_add_u32 s2, s0, s15
	s_addc_u32 s3, s1, 0
	s_add_u32 s2, s2, s4
	global_load_u8 v2, v[1:2], off offset:1440
	s_addc_u32 s3, s3, s5
	v_readfirstlane_b32 s4, v3
	s_load_b32 s6, s[2:3], 0x704
	s_delay_alu instid0(VALU_DEP_1)
	s_lshl_b32 s7, s4, 3
	s_clause 0x4
	s_load_b64 s[14:15], s[0:1], s7 offset:0x0
	s_load_b64 s[12:13], s[0:1], s7 offset:0x120
	;; [unrolled: 1-line block ×5, first 2 shown]
	s_waitcnt lgkmcnt(0)
	s_ashr_i32 s7, s6, 31
	s_delay_alu instid0(SALU_CYCLE_1) | instskip(NEXT) | instid1(SALU_CYCLE_1)
	s_lshl_b64 s[16:17], s[6:7], 16
	s_add_u32 s6, s14, s16
	s_addc_u32 s7, s15, s17
	s_add_u32 s18, s12, s16
	s_addc_u32 s19, s13, s17
	s_and_b32 s24, s18, 3
	s_delay_alu instid0(SALU_CYCLE_1)
	s_cmp_eq_u64 s[24:25], 0
	s_cselect_b32 s8, -1, 0
	s_add_u32 s20, s4, s16
	s_addc_u32 s21, s5, s17
	s_add_u32 s22, s2, s16
	s_addc_u32 s23, s3, s17
	s_or_b32 s9, s22, s20
	s_delay_alu instid0(SALU_CYCLE_1) | instskip(NEXT) | instid1(SALU_CYCLE_1)
	s_and_b32 s9, s9, 3
	s_cmp_eq_u32 s9, 0
	s_cselect_b32 s9, -1, 0
	s_delay_alu instid0(SALU_CYCLE_1) | instskip(SKIP_3) | instid1(SALU_CYCLE_1)
	s_and_b32 s26, s9, s8
	s_sub_u32 s8, s10, s16
	s_subb_u32 s9, s11, s17
	s_or_b64 s[10:11], s[10:11], s[6:7]
	s_and_b32 s24, s10, 3
	s_delay_alu instid0(SALU_CYCLE_1) | instskip(SKIP_1) | instid1(SALU_CYCLE_1)
	s_cmp_eq_u64 s[24:25], 0
	s_cselect_b32 s10, -1, 0
	s_and_b32 s10, s26, s10
	s_delay_alu instid0(SALU_CYCLE_1)
	s_and_b32 vcc_lo, exec_lo, s10
	s_mov_b32 s10, -1
	s_cbranch_vccnz .LBB111_29
; %bb.1:
	v_cmp_lt_i64_e64 s10, s[8:9], 1
	s_delay_alu instid0(VALU_DEP_1)
	s_and_b32 vcc_lo, exec_lo, s10
	s_cbranch_vccnz .LBB111_28
; %bb.2:
	s_load_b32 s10, s[0:1], 0xc1c
	v_add_co_u32 v28, s11, s16, v0
	s_delay_alu instid0(VALU_DEP_1) | instskip(SKIP_1) | instid1(VALU_DEP_3)
	v_add_co_ci_u32_e64 v29, null, s17, 0, s11
	v_cmp_gt_u64_e64 s11, 0x10000, s[8:9]
	v_add_co_u32 v1, vcc_lo, s14, v28
	s_delay_alu instid0(VALU_DEP_3)
	v_add_co_ci_u32_e32 v3, vcc_lo, s15, v29, vcc_lo
	v_add_co_u32 v4, vcc_lo, s12, v28
	v_add_co_ci_u32_e32 v5, vcc_lo, s13, v29, vcc_lo
	v_add_co_u32 v6, vcc_lo, s4, v28
	;; [unrolled: 2-line block ×3, first 2 shown]
	s_waitcnt lgkmcnt(0)
	s_and_b32 s25, s10, 0xffff
	s_and_b32 s10, s11, exec_lo
	s_mul_i32 s27, s25, 3
	s_cselect_b32 s11, s9, 0
	s_cselect_b32 s10, s8, 0x10000
	s_lshl_b32 s26, s25, 1
	s_lshl_b32 s24, s25, 2
	s_add_u32 s28, s16, s27
	s_addc_u32 s29, s17, 0
	v_add_co_u32 v16, s28, s28, v0
	s_delay_alu instid0(VALU_DEP_1) | instskip(SKIP_1) | instid1(VALU_DEP_3)
	v_add_co_ci_u32_e64 v17, null, s29, 0, s28
	v_add_co_ci_u32_e32 v9, vcc_lo, s3, v29, vcc_lo
	v_add_co_u32 v10, vcc_lo, s14, v16
	s_delay_alu instid0(VALU_DEP_3)
	v_add_co_ci_u32_e32 v11, vcc_lo, s15, v17, vcc_lo
	v_add_co_u32 v12, vcc_lo, s12, v16
	v_add_co_ci_u32_e32 v13, vcc_lo, s13, v17, vcc_lo
	s_add_u32 s16, s16, s26
	v_add_co_u32 v14, vcc_lo, s4, v16
	s_addc_u32 s17, s17, 0
	v_add_co_u32 v26, s16, s16, v0
	v_add_co_ci_u32_e32 v15, vcc_lo, s5, v17, vcc_lo
	v_add_co_u32 v16, vcc_lo, s2, v16
	v_add_co_ci_u32_e64 v27, null, s17, 0, s16
	v_add_co_ci_u32_e32 v17, vcc_lo, s3, v17, vcc_lo
	v_add_co_u32 v20, vcc_lo, s14, v26
	s_delay_alu instid0(VALU_DEP_3)
	v_add_co_ci_u32_e32 v21, vcc_lo, s15, v27, vcc_lo
	v_add_co_u32 v22, vcc_lo, s12, v26
	v_add_co_ci_u32_e32 v23, vcc_lo, s13, v27, vcc_lo
	v_add_co_u32 v24, vcc_lo, s4, v26
	;; [unrolled: 2-line block ×4, first 2 shown]
	v_add_co_ci_u32_e32 v37, vcc_lo, 0, v29, vcc_lo
	v_add_co_u32 v18, s16, s27, v0
	s_delay_alu instid0(VALU_DEP_3) | instskip(NEXT) | instid1(VALU_DEP_3)
	v_add_co_u32 v30, vcc_lo, s14, v36
	v_add_co_ci_u32_e32 v31, vcc_lo, s15, v37, vcc_lo
	v_add_co_u32 v32, vcc_lo, s12, v36
	v_add_co_ci_u32_e32 v33, vcc_lo, s13, v37, vcc_lo
	;; [unrolled: 2-line block ×3, first 2 shown]
	v_add_co_ci_u32_e64 v19, null, 0, 0, s16
	v_add_co_u32 v28, s16, s26, v0
	v_add_co_u32 v36, vcc_lo, s2, v36
	v_add_co_u32 v38, s2, v0, s25
	v_add_co_ci_u32_e64 v29, null, 0, 0, s16
	v_add_co_ci_u32_e32 v37, vcc_lo, s3, v37, vcc_lo
	v_add_co_ci_u32_e64 v39, null, 0, 0, s2
	s_mov_b64 s[12:13], 0
	s_branch .LBB111_4
.LBB111_3:                              ;   in Loop: Header=BB111_4 Depth=1
	s_or_b32 exec_lo, exec_lo, s2
	s_add_u32 s12, s12, s24
	s_addc_u32 s13, s13, 0
	s_delay_alu instid0(SALU_CYCLE_1) | instskip(SKIP_1) | instid1(VALU_DEP_1)
	v_cmp_lt_i64_e64 s2, s[12:13], s[8:9]
	v_cmp_gt_u64_e64 s3, 0x10000, s[12:13]
	s_and_b32 s2, s2, s3
	s_delay_alu instid0(SALU_CYCLE_1)
	s_and_b32 vcc_lo, exec_lo, s2
	s_cbranch_vccz .LBB111_28
.LBB111_4:                              ; =>This Inner Loop Header: Depth=1
	s_waitcnt vmcnt(1)
	v_add_co_u32 v40, s2, v0, s12
	s_delay_alu instid0(VALU_DEP_1) | instskip(SKIP_2) | instid1(VALU_DEP_2)
	v_add_co_ci_u32_e64 v41, null, 0, s13, s2
	s_waitcnt vmcnt(0)
	v_mov_b32_e32 v43, 0
	v_cmp_gt_u64_e32 vcc_lo, s[10:11], v[40:41]
	v_mov_b32_e32 v41, 0
	s_and_saveexec_b32 s3, vcc_lo
	s_cbranch_execz .LBB111_6
; %bb.5:                                ;   in Loop: Header=BB111_4 Depth=1
	v_add_co_u32 v40, s2, v1, s12
	s_delay_alu instid0(VALU_DEP_1) | instskip(SKIP_1) | instid1(VALU_DEP_1)
	v_add_co_ci_u32_e64 v41, s2, s13, v3, s2
	v_add_co_u32 v42, s2, v4, s12
	v_add_co_ci_u32_e64 v43, s2, s13, v5, s2
	global_load_u8 v41, v[40:41], off
	global_load_u8 v43, v[42:43], off
.LBB111_6:                              ;   in Loop: Header=BB111_4 Depth=1
	s_or_b32 exec_lo, exec_lo, s3
	v_mov_b32_e32 v40, 0
	v_mov_b32_e32 v46, 0
	s_and_saveexec_b32 s3, vcc_lo
	s_cbranch_execz .LBB111_8
; %bb.7:                                ;   in Loop: Header=BB111_4 Depth=1
	v_add_co_u32 v44, s2, v6, s12
	s_delay_alu instid0(VALU_DEP_1)
	v_add_co_ci_u32_e64 v45, s2, s13, v7, s2
	global_load_u8 v46, v[44:45], off
.LBB111_8:                              ;   in Loop: Header=BB111_4 Depth=1
	s_or_b32 exec_lo, exec_lo, s3
	v_add_co_u32 v44, s2, v38, s12
	s_delay_alu instid0(VALU_DEP_1) | instskip(NEXT) | instid1(VALU_DEP_1)
	v_add_co_ci_u32_e64 v45, s2, s13, v39, s2
	v_cmp_gt_u64_e64 s2, s[10:11], v[44:45]
	v_mov_b32_e32 v45, 0
	s_delay_alu instid0(VALU_DEP_2)
	s_and_saveexec_b32 s4, s2
	s_cbranch_execz .LBB111_10
; %bb.9:                                ;   in Loop: Header=BB111_4 Depth=1
	v_add_co_u32 v44, s3, v30, s12
	s_delay_alu instid0(VALU_DEP_1) | instskip(SKIP_1) | instid1(VALU_DEP_1)
	v_add_co_ci_u32_e64 v45, s3, s13, v31, s3
	v_add_co_u32 v47, s3, v32, s12
	v_add_co_ci_u32_e64 v48, s3, s13, v33, s3
	global_load_u8 v40, v[44:45], off
	global_load_u8 v45, v[47:48], off
.LBB111_10:                             ;   in Loop: Header=BB111_4 Depth=1
	s_or_b32 exec_lo, exec_lo, s4
	v_mov_b32_e32 v42, 0
	v_mov_b32_e32 v48, 0
	s_and_saveexec_b32 s4, s2
	s_cbranch_execz .LBB111_12
; %bb.11:                               ;   in Loop: Header=BB111_4 Depth=1
	v_add_co_u32 v47, s3, v34, s12
	s_delay_alu instid0(VALU_DEP_1)
	v_add_co_ci_u32_e64 v48, s3, s13, v35, s3
	global_load_u8 v48, v[47:48], off
.LBB111_12:                             ;   in Loop: Header=BB111_4 Depth=1
	s_or_b32 exec_lo, exec_lo, s4
	v_add_co_u32 v49, s3, v28, s12
	s_delay_alu instid0(VALU_DEP_1) | instskip(SKIP_1) | instid1(VALU_DEP_2)
	v_add_co_ci_u32_e64 v50, s3, s13, v29, s3
	v_mov_b32_e32 v47, 0
	v_cmp_gt_u64_e64 s3, s[10:11], v[49:50]
	s_delay_alu instid0(VALU_DEP_1)
	s_and_saveexec_b32 s5, s3
	s_cbranch_execz .LBB111_14
; %bb.13:                               ;   in Loop: Header=BB111_4 Depth=1
	v_add_co_u32 v49, s4, v20, s12
	s_delay_alu instid0(VALU_DEP_1) | instskip(SKIP_1) | instid1(VALU_DEP_1)
	v_add_co_ci_u32_e64 v50, s4, s13, v21, s4
	v_add_co_u32 v51, s4, v22, s12
	v_add_co_ci_u32_e64 v52, s4, s13, v23, s4
	global_load_u8 v42, v[49:50], off
	global_load_u8 v47, v[51:52], off
.LBB111_14:                             ;   in Loop: Header=BB111_4 Depth=1
	s_or_b32 exec_lo, exec_lo, s5
	v_mov_b32_e32 v44, 0
	v_mov_b32_e32 v50, 0
	s_and_saveexec_b32 s5, s3
	s_cbranch_execz .LBB111_16
; %bb.15:                               ;   in Loop: Header=BB111_4 Depth=1
	v_add_co_u32 v49, s4, v24, s12
	s_delay_alu instid0(VALU_DEP_1)
	v_add_co_ci_u32_e64 v50, s4, s13, v25, s4
	global_load_u8 v50, v[49:50], off
.LBB111_16:                             ;   in Loop: Header=BB111_4 Depth=1
	s_or_b32 exec_lo, exec_lo, s5
	v_add_co_u32 v51, s4, v18, s12
	s_delay_alu instid0(VALU_DEP_1) | instskip(SKIP_1) | instid1(VALU_DEP_2)
	v_add_co_ci_u32_e64 v52, s4, s13, v19, s4
	v_mov_b32_e32 v49, 0
	v_cmp_gt_u64_e64 s4, s[10:11], v[51:52]
	s_delay_alu instid0(VALU_DEP_1)
	s_and_saveexec_b32 s14, s4
	s_cbranch_execnz .LBB111_22
; %bb.17:                               ;   in Loop: Header=BB111_4 Depth=1
	s_or_b32 exec_lo, exec_lo, s14
	v_mov_b32_e32 v51, 0
	s_and_saveexec_b32 s14, s4
	s_cbranch_execnz .LBB111_23
.LBB111_18:                             ;   in Loop: Header=BB111_4 Depth=1
	s_or_b32 exec_lo, exec_lo, s14
	s_and_saveexec_b32 s5, vcc_lo
	s_cbranch_execnz .LBB111_24
.LBB111_19:                             ;   in Loop: Header=BB111_4 Depth=1
	s_or_b32 exec_lo, exec_lo, s5
	s_and_saveexec_b32 s5, s2
	s_cbranch_execnz .LBB111_25
.LBB111_20:                             ;   in Loop: Header=BB111_4 Depth=1
	s_or_b32 exec_lo, exec_lo, s5
	s_and_saveexec_b32 s2, s3
	s_cbranch_execnz .LBB111_26
.LBB111_21:                             ;   in Loop: Header=BB111_4 Depth=1
	s_or_b32 exec_lo, exec_lo, s2
	s_and_saveexec_b32 s2, s4
	s_cbranch_execz .LBB111_3
	s_branch .LBB111_27
.LBB111_22:                             ;   in Loop: Header=BB111_4 Depth=1
	v_add_co_u32 v51, s5, v10, s12
	s_delay_alu instid0(VALU_DEP_1) | instskip(SKIP_1) | instid1(VALU_DEP_1)
	v_add_co_ci_u32_e64 v52, s5, s13, v11, s5
	v_add_co_u32 v53, s5, v12, s12
	v_add_co_ci_u32_e64 v54, s5, s13, v13, s5
	global_load_u8 v44, v[51:52], off
	global_load_u8 v49, v[53:54], off
	s_or_b32 exec_lo, exec_lo, s14
	v_mov_b32_e32 v51, 0
	s_and_saveexec_b32 s14, s4
	s_cbranch_execz .LBB111_18
.LBB111_23:                             ;   in Loop: Header=BB111_4 Depth=1
	v_add_co_u32 v51, s5, v14, s12
	s_delay_alu instid0(VALU_DEP_1)
	v_add_co_ci_u32_e64 v52, s5, s13, v15, s5
	global_load_u8 v51, v[51:52], off
	s_or_b32 exec_lo, exec_lo, s14
	s_and_saveexec_b32 s5, vcc_lo
	s_cbranch_execz .LBB111_19
.LBB111_24:                             ;   in Loop: Header=BB111_4 Depth=1
	s_waitcnt vmcnt(0)
	v_bfe_i32 v46, v46, 0, 8
	v_bfe_i32 v43, v43, 0, 8
	s_delay_alu instid0(VALU_DEP_2) | instskip(NEXT) | instid1(VALU_DEP_2)
	v_cvt_f32_i32_e32 v52, v46
	v_cvt_f32_i32_e32 v54, v43
	v_xor_b32_e32 v43, v43, v46
	s_delay_alu instid0(VALU_DEP_3) | instskip(NEXT) | instid1(VALU_DEP_1)
	v_rcp_iflag_f32_e32 v53, v52
	v_ashrrev_i32_e32 v43, 30, v43
	s_delay_alu instid0(VALU_DEP_1) | instskip(SKIP_2) | instid1(VALU_DEP_1)
	v_or_b32_e32 v43, 1, v43
	s_waitcnt_depctr 0xfff
	v_mul_f32_e32 v53, v54, v53
	v_trunc_f32_e32 v46, v53
	s_delay_alu instid0(VALU_DEP_1) | instskip(SKIP_1) | instid1(VALU_DEP_2)
	v_fma_f32 v53, -v46, v52, v54
	v_cvt_i32_f32_e32 v46, v46
	v_cmp_ge_f32_e64 vcc_lo, |v53|, |v52|
	v_cndmask_b32_e32 v43, 0, v43, vcc_lo
	v_add_co_u32 v52, vcc_lo, v8, s12
	v_add_co_ci_u32_e32 v53, vcc_lo, s13, v9, vcc_lo
	s_delay_alu instid0(VALU_DEP_3) | instskip(NEXT) | instid1(VALU_DEP_1)
	v_add_nc_u32_e32 v43, v46, v43
	v_mad_u16 v41, v2, v43, v41
	global_store_b8 v[52:53], v41, off
	s_or_b32 exec_lo, exec_lo, s5
	s_and_saveexec_b32 s5, s2
	s_cbranch_execz .LBB111_20
.LBB111_25:                             ;   in Loop: Header=BB111_4 Depth=1
	s_waitcnt vmcnt(0)
	v_bfe_i32 v41, v48, 0, 8
	v_bfe_i32 v45, v45, 0, 8
	s_delay_alu instid0(VALU_DEP_2) | instskip(NEXT) | instid1(VALU_DEP_2)
	v_cvt_f32_i32_e32 v43, v41
	v_xor_b32_e32 v41, v45, v41
	v_cvt_f32_i32_e32 v48, v45
	s_delay_alu instid0(VALU_DEP_3) | instskip(NEXT) | instid1(VALU_DEP_2)
	v_rcp_iflag_f32_e32 v46, v43
	v_ashrrev_i32_e32 v41, 30, v41
	s_delay_alu instid0(VALU_DEP_1) | instskip(SKIP_2) | instid1(VALU_DEP_1)
	v_or_b32_e32 v41, 1, v41
	s_waitcnt_depctr 0xfff
	v_mul_f32_e32 v46, v48, v46
	v_trunc_f32_e32 v45, v46
	s_delay_alu instid0(VALU_DEP_1) | instskip(SKIP_1) | instid1(VALU_DEP_2)
	v_fma_f32 v46, -v45, v43, v48
	v_cvt_i32_f32_e32 v45, v45
	v_cmp_ge_f32_e64 vcc_lo, |v46|, |v43|
	v_cndmask_b32_e32 v41, 0, v41, vcc_lo
	s_delay_alu instid0(VALU_DEP_1) | instskip(NEXT) | instid1(VALU_DEP_1)
	v_add_nc_u32_e32 v41, v45, v41
	v_mad_u16 v43, v2, v41, v40
	v_add_co_u32 v40, vcc_lo, v36, s12
	v_add_co_ci_u32_e32 v41, vcc_lo, s13, v37, vcc_lo
	global_store_b8 v[40:41], v43, off
	s_or_b32 exec_lo, exec_lo, s5
	s_and_saveexec_b32 s2, s3
	s_cbranch_execz .LBB111_21
.LBB111_26:                             ;   in Loop: Header=BB111_4 Depth=1
	s_waitcnt vmcnt(0)
	v_bfe_i32 v40, v50, 0, 8
	v_bfe_i32 v43, v47, 0, 8
	s_delay_alu instid0(VALU_DEP_2) | instskip(NEXT) | instid1(VALU_DEP_2)
	v_cvt_f32_i32_e32 v41, v40
	v_xor_b32_e32 v40, v43, v40
	v_cvt_f32_i32_e32 v46, v43
	s_delay_alu instid0(VALU_DEP_3) | instskip(NEXT) | instid1(VALU_DEP_2)
	v_rcp_iflag_f32_e32 v45, v41
	v_ashrrev_i32_e32 v40, 30, v40
	s_delay_alu instid0(VALU_DEP_1) | instskip(SKIP_2) | instid1(VALU_DEP_1)
	v_or_b32_e32 v40, 1, v40
	s_waitcnt_depctr 0xfff
	v_mul_f32_e32 v45, v46, v45
	v_trunc_f32_e32 v43, v45
	s_delay_alu instid0(VALU_DEP_1) | instskip(SKIP_1) | instid1(VALU_DEP_2)
	v_fma_f32 v45, -v43, v41, v46
	v_cvt_i32_f32_e32 v43, v43
	v_cmp_ge_f32_e64 vcc_lo, |v45|, |v41|
	v_cndmask_b32_e32 v40, 0, v40, vcc_lo
	s_delay_alu instid0(VALU_DEP_1) | instskip(NEXT) | instid1(VALU_DEP_1)
	v_add_nc_u32_e32 v40, v43, v40
	v_mad_u16 v42, v2, v40, v42
	v_add_co_u32 v40, vcc_lo, v26, s12
	v_add_co_ci_u32_e32 v41, vcc_lo, s13, v27, vcc_lo
	global_store_b8 v[40:41], v42, off
	s_or_b32 exec_lo, exec_lo, s2
	s_and_saveexec_b32 s2, s4
	s_cbranch_execz .LBB111_3
.LBB111_27:                             ;   in Loop: Header=BB111_4 Depth=1
	s_waitcnt vmcnt(0)
	v_bfe_i32 v40, v51, 0, 8
	v_bfe_i32 v42, v49, 0, 8
	s_delay_alu instid0(VALU_DEP_2) | instskip(NEXT) | instid1(VALU_DEP_2)
	v_cvt_f32_i32_e32 v41, v40
	v_xor_b32_e32 v40, v42, v40
	v_cvt_f32_i32_e32 v45, v42
	s_delay_alu instid0(VALU_DEP_3) | instskip(NEXT) | instid1(VALU_DEP_2)
	v_rcp_iflag_f32_e32 v43, v41
	v_ashrrev_i32_e32 v40, 30, v40
	s_delay_alu instid0(VALU_DEP_1) | instskip(SKIP_2) | instid1(VALU_DEP_1)
	v_or_b32_e32 v40, 1, v40
	s_waitcnt_depctr 0xfff
	v_mul_f32_e32 v43, v45, v43
	v_trunc_f32_e32 v42, v43
	s_delay_alu instid0(VALU_DEP_1) | instskip(SKIP_1) | instid1(VALU_DEP_2)
	v_fma_f32 v43, -v42, v41, v45
	v_cvt_i32_f32_e32 v42, v42
	v_cmp_ge_f32_e64 vcc_lo, |v43|, |v41|
	v_cndmask_b32_e32 v40, 0, v40, vcc_lo
	s_delay_alu instid0(VALU_DEP_1) | instskip(NEXT) | instid1(VALU_DEP_1)
	v_add_nc_u32_e32 v40, v42, v40
	v_mad_u16 v42, v2, v40, v44
	v_add_co_u32 v40, vcc_lo, v16, s12
	v_add_co_ci_u32_e32 v41, vcc_lo, s13, v17, vcc_lo
	global_store_b8 v[40:41], v42, off
	s_branch .LBB111_3
.LBB111_28:
	s_mov_b32 s10, 0
.LBB111_29:
	s_delay_alu instid0(SALU_CYCLE_1)
	s_and_not1_b32 vcc_lo, exec_lo, s10
	s_cbranch_vccnz .LBB111_33
; %bb.30:
	v_dual_mov_b32 v1, 0 :: v_dual_lshlrev_b32 v0, 2, v0
	s_mov_b32 s2, exec_lo
	s_delay_alu instid0(VALU_DEP_1)
	v_cmpx_gt_i64_e64 s[8:9], v[0:1]
	s_cbranch_execz .LBB111_33
; %bb.31:
	s_load_b32 s0, s[0:1], 0xc1c
	s_mov_b32 s2, 0
	s_waitcnt lgkmcnt(0)
	s_and_b32 s0, s0, 0xffff
	s_delay_alu instid0(SALU_CYCLE_1)
	s_lshl_b32 s1, s0, 2
.LBB111_32:                             ; =>This Inner Loop Header: Depth=1
	v_add_co_u32 v3, vcc_lo, s18, v0
	v_add_co_ci_u32_e32 v4, vcc_lo, s19, v1, vcc_lo
	v_add_co_u32 v5, vcc_lo, s20, v0
	v_add_co_ci_u32_e32 v6, vcc_lo, s21, v1, vcc_lo
	v_add_co_u32 v7, vcc_lo, s6, v0
	v_add_co_ci_u32_e32 v8, vcc_lo, s7, v1, vcc_lo
	global_load_b32 v9, v[3:4], off
	global_load_b32 v5, v[5:6], off
	global_load_b32 v6, v[7:8], off
	v_add_co_u32 v3, vcc_lo, s22, v0
	v_add_co_ci_u32_e32 v4, vcc_lo, s23, v1, vcc_lo
	v_add_co_u32 v0, vcc_lo, s1, v0
	v_add_co_ci_u32_e32 v1, vcc_lo, 0, v1, vcc_lo
	s_delay_alu instid0(VALU_DEP_1)
	v_cmp_le_i64_e32 vcc_lo, s[8:9], v[0:1]
	s_waitcnt vmcnt(2)
	v_bfe_i32 v11, v9, 8, 8
	s_waitcnt vmcnt(1)
	v_bfe_i32 v12, v5, 8, 8
	v_bfe_i32 v14, v9, 16, 8
	;; [unrolled: 1-line block ×5, first 2 shown]
	v_xor_b32_e32 v18, v11, v12
	v_cvt_f32_i32_e32 v12, v12
	v_xor_b32_e32 v19, v14, v15
	v_cvt_f32_i32_e32 v15, v15
	v_ashrrev_i32_e32 v9, 24, v9
	v_ashrrev_i32_e32 v5, 24, v5
	v_rcp_iflag_f32_e32 v22, v12
	v_xor_b32_e32 v17, v7, v8
	v_cvt_f32_i32_e32 v8, v8
	v_cvt_f32_i32_e32 v11, v11
	v_rcp_iflag_f32_e32 v23, v15
	v_cvt_f32_i32_e32 v14, v14
	v_xor_b32_e32 v20, v9, v5
	v_cvt_f32_i32_e32 v5, v5
	v_rcp_iflag_f32_e32 v21, v8
	v_cvt_f32_i32_e32 v7, v7
	v_mul_f32_e32 v22, v11, v22
	v_cvt_f32_i32_e32 v9, v9
	v_rcp_iflag_f32_e32 v24, v5
	v_ashrrev_i32_e32 v18, 30, v18
	v_mul_f32_e32 v23, v14, v23
	v_trunc_f32_e32 v22, v22
	v_ashrrev_i32_e32 v19, 30, v19
	v_ashrrev_i32_e32 v17, 30, v17
	v_mul_f32_e32 v21, v7, v21
	v_trunc_f32_e32 v23, v23
	v_fma_f32 v11, -v22, v12, v11
	v_or_b32_e32 v18, 1, v18
	v_mul_f32_e32 v24, v9, v24
	v_trunc_f32_e32 v21, v21
	v_fma_f32 v14, -v23, v15, v14
	v_cmp_ge_f32_e64 s0, |v11|, |v12|
	v_or_b32_e32 v19, 1, v19
	v_trunc_f32_e32 v24, v24
	v_fma_f32 v7, -v21, v8, v7
	v_ashrrev_i32_e32 v20, 30, v20
	v_cndmask_b32_e64 v11, 0, v18, s0
	v_cmp_ge_f32_e64 s0, |v14|, |v15|
	v_or_b32_e32 v17, 1, v17
	v_fma_f32 v9, -v24, v5, v9
	v_or_b32_e32 v20, 1, v20
	v_cvt_i32_f32_e32 v22, v22
	v_cndmask_b32_e64 v12, 0, v19, s0
	v_cmp_ge_f32_e64 s0, |v7|, |v8|
	v_cvt_i32_f32_e32 v23, v23
	s_waitcnt vmcnt(0)
	v_lshrrev_b32_e32 v10, 8, v6
	v_lshrrev_b32_e32 v13, 16, v6
	v_cvt_i32_f32_e32 v21, v21
	v_cndmask_b32_e64 v7, 0, v17, s0
	v_cmp_ge_f32_e64 s0, |v9|, |v5|
	v_cvt_i32_f32_e32 v24, v24
	v_add_nc_u32_e32 v8, v22, v11
	v_add_nc_u32_e32 v9, v23, v12
	v_lshrrev_b32_e32 v16, 24, v6
	v_cndmask_b32_e64 v5, 0, v20, s0
	v_add_nc_u32_e32 v7, v21, v7
	v_mad_u16 v8, v2, v8, v10
	v_mad_u16 v9, v2, v9, v13
	v_cmp_lt_u64_e64 s0, 0xffff, v[0:1]
	v_add_nc_u32_e32 v5, v24, v5
	v_mad_u16 v6, v2, v7, v6
	v_and_b32_e32 v7, 0xff, v8
	v_and_b32_e32 v8, 0xff, v9
	s_delay_alu instid0(VALU_DEP_4) | instskip(SKIP_1) | instid1(VALU_DEP_3)
	v_mad_u16 v5, v2, v5, v16
	s_or_b32 s0, vcc_lo, s0
	v_perm_b32 v6, v7, v6, 0x6050400
	s_delay_alu instid0(VALU_DEP_3) | instskip(SKIP_3) | instid1(VALU_DEP_1)
	v_lshlrev_b32_e32 v7, 16, v8
	s_and_b32 s0, exec_lo, s0
	v_lshlrev_b32_e32 v5, 24, v5
	s_or_b32 s2, s0, s2
	v_or3_b32 v5, v6, v7, v5
	global_store_b32 v[3:4], v5, off
	s_and_not1_b32 exec_lo, exec_lo, s2
	s_cbranch_execnz .LBB111_32
.LBB111_33:
	s_nop 0
	s_sendmsg sendmsg(MSG_DEALLOC_VGPRS)
	s_endpgm
	.section	.rodata,"a",@progbits
	.p2align	6, 0x0
	.amdhsa_kernel _ZN2at6native12_GLOBAL__N_125multi_tensor_apply_kernelINS1_28TensorListScalarListMetadataIaLi4EEENS1_28PointwiseOpScalarListFunctorIaLi4ELi3ELi3EEEJSt7dividesIaEEEEvT_T0_DpT1_
		.amdhsa_group_segment_fixed_size 0
		.amdhsa_private_segment_fixed_size 0
		.amdhsa_kernarg_size 3344
		.amdhsa_user_sgpr_count 15
		.amdhsa_user_sgpr_dispatch_ptr 0
		.amdhsa_user_sgpr_queue_ptr 0
		.amdhsa_user_sgpr_kernarg_segment_ptr 1
		.amdhsa_user_sgpr_dispatch_id 0
		.amdhsa_user_sgpr_private_segment_size 0
		.amdhsa_wavefront_size32 1
		.amdhsa_uses_dynamic_stack 0
		.amdhsa_enable_private_segment 0
		.amdhsa_system_sgpr_workgroup_id_x 1
		.amdhsa_system_sgpr_workgroup_id_y 0
		.amdhsa_system_sgpr_workgroup_id_z 0
		.amdhsa_system_sgpr_workgroup_info 0
		.amdhsa_system_vgpr_workitem_id 0
		.amdhsa_next_free_vgpr 55
		.amdhsa_next_free_sgpr 30
		.amdhsa_reserve_vcc 1
		.amdhsa_float_round_mode_32 0
		.amdhsa_float_round_mode_16_64 0
		.amdhsa_float_denorm_mode_32 3
		.amdhsa_float_denorm_mode_16_64 3
		.amdhsa_dx10_clamp 1
		.amdhsa_ieee_mode 1
		.amdhsa_fp16_overflow 0
		.amdhsa_workgroup_processor_mode 1
		.amdhsa_memory_ordered 1
		.amdhsa_forward_progress 0
		.amdhsa_shared_vgpr_count 0
		.amdhsa_exception_fp_ieee_invalid_op 0
		.amdhsa_exception_fp_denorm_src 0
		.amdhsa_exception_fp_ieee_div_zero 0
		.amdhsa_exception_fp_ieee_overflow 0
		.amdhsa_exception_fp_ieee_underflow 0
		.amdhsa_exception_fp_ieee_inexact 0
		.amdhsa_exception_int_div_zero 0
	.end_amdhsa_kernel
	.section	.text._ZN2at6native12_GLOBAL__N_125multi_tensor_apply_kernelINS1_28TensorListScalarListMetadataIaLi4EEENS1_28PointwiseOpScalarListFunctorIaLi4ELi3ELi3EEEJSt7dividesIaEEEEvT_T0_DpT1_,"axG",@progbits,_ZN2at6native12_GLOBAL__N_125multi_tensor_apply_kernelINS1_28TensorListScalarListMetadataIaLi4EEENS1_28PointwiseOpScalarListFunctorIaLi4ELi3ELi3EEEJSt7dividesIaEEEEvT_T0_DpT1_,comdat
.Lfunc_end111:
	.size	_ZN2at6native12_GLOBAL__N_125multi_tensor_apply_kernelINS1_28TensorListScalarListMetadataIaLi4EEENS1_28PointwiseOpScalarListFunctorIaLi4ELi3ELi3EEEJSt7dividesIaEEEEvT_T0_DpT1_, .Lfunc_end111-_ZN2at6native12_GLOBAL__N_125multi_tensor_apply_kernelINS1_28TensorListScalarListMetadataIaLi4EEENS1_28PointwiseOpScalarListFunctorIaLi4ELi3ELi3EEEJSt7dividesIaEEEEvT_T0_DpT1_
                                        ; -- End function
	.section	.AMDGPU.csdata,"",@progbits
; Kernel info:
; codeLenInByte = 2632
; NumSgprs: 32
; NumVgprs: 55
; ScratchSize: 0
; MemoryBound: 0
; FloatMode: 240
; IeeeMode: 1
; LDSByteSize: 0 bytes/workgroup (compile time only)
; SGPRBlocks: 3
; VGPRBlocks: 6
; NumSGPRsForWavesPerEU: 32
; NumVGPRsForWavesPerEU: 55
; Occupancy: 16
; WaveLimiterHint : 0
; COMPUTE_PGM_RSRC2:SCRATCH_EN: 0
; COMPUTE_PGM_RSRC2:USER_SGPR: 15
; COMPUTE_PGM_RSRC2:TRAP_HANDLER: 0
; COMPUTE_PGM_RSRC2:TGID_X_EN: 1
; COMPUTE_PGM_RSRC2:TGID_Y_EN: 0
; COMPUTE_PGM_RSRC2:TGID_Z_EN: 0
; COMPUTE_PGM_RSRC2:TIDIG_COMP_CNT: 0
	.section	.text._ZN2at6native12_GLOBAL__N_125multi_tensor_apply_kernelINS1_28TensorListScalarListMetadataIiLi4EEENS1_28PointwiseOpScalarListFunctorIiLi4ELi3ELi3EEEJSt7dividesIiEEEEvT_T0_DpT1_,"axG",@progbits,_ZN2at6native12_GLOBAL__N_125multi_tensor_apply_kernelINS1_28TensorListScalarListMetadataIiLi4EEENS1_28PointwiseOpScalarListFunctorIiLi4ELi3ELi3EEEJSt7dividesIiEEEEvT_T0_DpT1_,comdat
	.globl	_ZN2at6native12_GLOBAL__N_125multi_tensor_apply_kernelINS1_28TensorListScalarListMetadataIiLi4EEENS1_28PointwiseOpScalarListFunctorIiLi4ELi3ELi3EEEJSt7dividesIiEEEEvT_T0_DpT1_ ; -- Begin function _ZN2at6native12_GLOBAL__N_125multi_tensor_apply_kernelINS1_28TensorListScalarListMetadataIiLi4EEENS1_28PointwiseOpScalarListFunctorIiLi4ELi3ELi3EEEJSt7dividesIiEEEEvT_T0_DpT1_
	.p2align	8
	.type	_ZN2at6native12_GLOBAL__N_125multi_tensor_apply_kernelINS1_28TensorListScalarListMetadataIiLi4EEENS1_28PointwiseOpScalarListFunctorIiLi4ELi3ELi3EEEJSt7dividesIiEEEEvT_T0_DpT1_,@function
_ZN2at6native12_GLOBAL__N_125multi_tensor_apply_kernelINS1_28TensorListScalarListMetadataIiLi4EEENS1_28PointwiseOpScalarListFunctorIiLi4ELi3ELi3EEEJSt7dividesIiEEEEvT_T0_DpT1_: ; @_ZN2at6native12_GLOBAL__N_125multi_tensor_apply_kernelINS1_28TensorListScalarListMetadataIiLi4EEENS1_28PointwiseOpScalarListFunctorIiLi4ELi3ELi3EEEJSt7dividesIiEEEEvT_T0_DpT1_
; %bb.0:
	v_mov_b32_e32 v1, s15
	s_add_u32 s2, s0, s15
	s_mul_i32 s3, s15, 3
	s_mul_hi_u32 s4, s15, 3
	s_addc_u32 s5, s1, 0
	global_load_u8 v1, v1, s[0:1] offset:1584
	s_add_u32 s2, s2, s3
	s_addc_u32 s3, s5, s4
	s_mov_b32 s11, 0
	s_load_b32 s6, s[2:3], 0x770
	s_waitcnt lgkmcnt(0)
	s_ashr_i32 s7, s6, 31
	s_waitcnt vmcnt(0)
	v_readfirstlane_b32 s2, v1
	v_lshlrev_b32_e32 v1, 2, v1
	s_delay_alu instid0(VALU_DEP_2)
	s_lshl_b32 s8, s2, 3
	s_clause 0x1
	s_load_b64 s[2:3], s[0:1], s8 offset:0x0
	s_load_b64 s[4:5], s[0:1], s8 offset:0x120
	s_add_u32 s10, s0, s8
	s_addc_u32 s16, s1, 0
	v_sub_co_u32 v1, s10, s10, v1
	s_delay_alu instid0(VALU_DEP_1)
	v_sub_co_ci_u32_e64 v2, null, s16, 0, s10
	s_clause 0x2
	s_load_b64 s[26:27], s[0:1], s8 offset:0x480
	s_load_b64 s[14:15], s[0:1], s8 offset:0x240
	;; [unrolled: 1-line block ×3, first 2 shown]
	v_readfirstlane_b32 s24, v1
	v_readfirstlane_b32 s25, v2
	s_load_b32 s24, s[24:25], 0x5a0
	s_lshl_b64 s[8:9], s[6:7], 18
	s_waitcnt lgkmcnt(0)
	s_add_u32 s16, s2, s8
	s_addc_u32 s17, s3, s9
	s_and_b32 s28, s16, 15
	s_add_u32 s18, s4, s8
	s_addc_u32 s19, s5, s9
	s_and_b32 s10, s18, 15
	s_delay_alu instid0(SALU_CYCLE_1)
	s_cmp_eq_u64 s[10:11], 0
	s_cselect_b32 s10, -1, 0
	s_add_u32 s20, s14, s8
	s_addc_u32 s21, s15, s9
	s_add_u32 s22, s12, s8
	s_addc_u32 s23, s13, s9
	s_or_b32 s29, s22, s20
	s_delay_alu instid0(SALU_CYCLE_1) | instskip(NEXT) | instid1(SALU_CYCLE_1)
	s_and_b32 s29, s29, 15
	s_cmp_eq_u32 s29, 0
	s_cselect_b32 s25, -1, 0
	s_lshl_b64 s[6:7], s[6:7], 16
	s_and_b32 s25, s25, s10
	s_sub_u32 s6, s26, s6
	s_subb_u32 s7, s27, s7
	s_and_b32 s10, s26, 3
	s_delay_alu instid0(SALU_CYCLE_1) | instskip(NEXT) | instid1(SALU_CYCLE_1)
	s_or_b32 s10, s28, s10
	s_cmp_eq_u64 s[10:11], 0
	s_cselect_b32 s10, -1, 0
	s_delay_alu instid0(SALU_CYCLE_1) | instskip(NEXT) | instid1(SALU_CYCLE_1)
	s_and_b32 s10, s25, s10
	s_and_b32 vcc_lo, exec_lo, s10
	s_mov_b32 s10, -1
	s_cbranch_vccnz .LBB112_29
; %bb.1:
	v_cmp_lt_i64_e64 s10, s[6:7], 1
	s_delay_alu instid0(VALU_DEP_1)
	s_and_b32 vcc_lo, exec_lo, s10
	s_cbranch_vccnz .LBB112_28
; %bb.2:
	s_load_b32 s10, s[0:1], 0xc84
	v_dual_mov_b32 v2, 0 :: v_dual_lshlrev_b32 v1, 2, v0
	v_cmp_gt_u64_e64 s11, 0x10000, s[6:7]
	s_delay_alu instid0(VALU_DEP_2) | instskip(NEXT) | instid1(VALU_DEP_1)
	v_add_co_u32 v5, s25, s2, v1
	v_add_co_ci_u32_e64 v6, null, s3, 0, s25
	v_add_co_u32 v7, s25, s4, v1
	s_delay_alu instid0(VALU_DEP_1) | instskip(SKIP_1) | instid1(VALU_DEP_1)
	v_add_co_ci_u32_e64 v8, null, s5, 0, s25
	v_add_co_u32 v9, s25, s14, v1
	v_add_co_ci_u32_e64 v10, null, s15, 0, s25
	s_waitcnt lgkmcnt(0)
	s_and_b32 s25, s10, 0xffff
	v_add_co_u32 v11, s10, s12, v1
	v_mad_u64_u32 v[3:4], null, s25, 12, v[1:2]
	v_add_co_ci_u32_e64 v12, null, s13, 0, s10
	s_and_b32 s10, s11, exec_lo
	s_cselect_b32 s11, s7, 0
	s_cselect_b32 s10, s6, 0x10000
	s_lshl_b32 s28, s25, 3
	s_delay_alu instid0(VALU_DEP_2) | instskip(NEXT) | instid1(VALU_DEP_3)
	v_add_co_u32 v13, vcc_lo, s2, v3
	v_add_co_ci_u32_e32 v14, vcc_lo, s3, v4, vcc_lo
	v_add_co_u32 v15, vcc_lo, s4, v3
	v_add_co_ci_u32_e32 v16, vcc_lo, s5, v4, vcc_lo
	v_add_co_u32 v17, vcc_lo, s14, v3
	v_add_co_u32 v1, s28, s28, v1
	v_add_co_ci_u32_e32 v18, vcc_lo, s15, v4, vcc_lo
	v_add_co_u32 v19, vcc_lo, s12, v3
	v_add_co_ci_u32_e64 v2, null, 0, 0, s28
	v_add_co_ci_u32_e32 v20, vcc_lo, s13, v4, vcc_lo
	s_mul_i32 s27, s25, 3
	v_add_co_u32 v23, vcc_lo, s2, v1
	v_add_co_u32 v21, s27, s27, v0
	v_add_co_ci_u32_e32 v24, vcc_lo, s3, v2, vcc_lo
	v_add_co_u32 v25, vcc_lo, s4, v1
	v_add_co_ci_u32_e64 v22, null, 0, 0, s27
	v_add_co_u32 v29, s27, v0, s25
	v_add_co_ci_u32_e32 v26, vcc_lo, s5, v2, vcc_lo
	v_add_co_u32 v27, vcc_lo, s14, v1
	v_add_co_ci_u32_e32 v28, vcc_lo, s15, v2, vcc_lo
	v_add_co_u32 v30, vcc_lo, s12, v1
	v_lshlrev_b32_e32 v1, 2, v29
	s_lshl_b32 s26, s25, 1
	v_add_co_ci_u32_e32 v31, vcc_lo, s13, v2, vcc_lo
	v_add_co_u32 v33, s26, s26, v0
	s_delay_alu instid0(VALU_DEP_3) | instskip(NEXT) | instid1(VALU_DEP_1)
	v_add_co_u32 v35, s2, s2, v1
	v_add_co_ci_u32_e64 v36, null, s3, 0, s2
	v_add_co_u32 v37, s2, s4, v1
	s_delay_alu instid0(VALU_DEP_1) | instskip(SKIP_1) | instid1(VALU_DEP_1)
	v_add_co_ci_u32_e64 v38, null, s5, 0, s2
	v_add_co_u32 v39, s2, s14, v1
	v_add_co_ci_u32_e64 v40, null, s15, 0, s2
	v_add_co_u32 v41, s2, s12, v1
	v_add_co_ci_u32_e64 v32, null, 0, 0, s27
	v_add_co_ci_u32_e64 v34, null, 0, 0, s26
	;; [unrolled: 1-line block ×3, first 2 shown]
	s_lshl_b32 s14, s25, 2
	s_lshl_b32 s15, s25, 4
	s_mov_b64 s[12:13], 0
	s_branch .LBB112_4
.LBB112_3:                              ;   in Loop: Header=BB112_4 Depth=1
	s_or_b32 exec_lo, exec_lo, s2
	v_add_co_u32 v5, vcc_lo, v5, s15
	v_add_co_ci_u32_e32 v6, vcc_lo, 0, v6, vcc_lo
	v_add_co_u32 v7, vcc_lo, v7, s15
	v_add_co_ci_u32_e32 v8, vcc_lo, 0, v8, vcc_lo
	;; [unrolled: 2-line block ×13, first 2 shown]
	s_add_u32 s12, s12, s14
	v_add_co_u32 v37, vcc_lo, v37, s15
	s_addc_u32 s13, s13, 0
	v_add_co_ci_u32_e32 v38, vcc_lo, 0, v38, vcc_lo
	v_cmp_lt_i64_e64 s2, s[12:13], s[6:7]
	v_cmp_gt_u64_e64 s3, 0x10000, s[12:13]
	v_add_co_u32 v39, vcc_lo, v39, s15
	v_add_co_ci_u32_e32 v40, vcc_lo, 0, v40, vcc_lo
	v_add_co_u32 v41, vcc_lo, v41, s15
	v_add_co_ci_u32_e32 v42, vcc_lo, 0, v42, vcc_lo
	s_and_b32 s2, s2, s3
	s_delay_alu instid0(SALU_CYCLE_1)
	s_and_b32 vcc_lo, exec_lo, s2
	s_cbranch_vccz .LBB112_28
.LBB112_4:                              ; =>This Inner Loop Header: Depth=1
	s_waitcnt vmcnt(1)
	v_add_co_u32 v1, s2, v0, s12
	s_delay_alu instid0(VALU_DEP_1) | instskip(SKIP_3) | instid1(VALU_DEP_3)
	v_add_co_ci_u32_e64 v2, null, 0, s13, s2
	v_mov_b32_e32 v4, 0
	s_waitcnt vmcnt(0)
	v_mov_b32_e32 v46, 0
	v_cmp_gt_u64_e64 s4, s[10:11], v[1:2]
	s_delay_alu instid0(VALU_DEP_1)
	s_and_saveexec_b32 s2, s4
	s_cbranch_execz .LBB112_6
; %bb.5:                                ;   in Loop: Header=BB112_4 Depth=1
	v_add_co_u32 v1, vcc_lo, v5, s8
	v_add_co_ci_u32_e32 v2, vcc_lo, s9, v6, vcc_lo
	v_add_co_u32 v43, vcc_lo, v7, s8
	v_add_co_ci_u32_e32 v44, vcc_lo, s9, v8, vcc_lo
	global_load_b32 v4, v[1:2], off
	global_load_b32 v46, v[43:44], off
.LBB112_6:                              ;   in Loop: Header=BB112_4 Depth=1
	s_or_b32 exec_lo, exec_lo, s2
	v_dual_mov_b32 v3, 0 :: v_dual_mov_b32 v50, 0
	s_and_saveexec_b32 s2, s4
	s_cbranch_execz .LBB112_8
; %bb.7:                                ;   in Loop: Header=BB112_4 Depth=1
	v_add_co_u32 v1, vcc_lo, v9, s8
	v_add_co_ci_u32_e32 v2, vcc_lo, s9, v10, vcc_lo
	global_load_b32 v50, v[1:2], off
.LBB112_8:                              ;   in Loop: Header=BB112_4 Depth=1
	s_or_b32 exec_lo, exec_lo, s2
	v_add_co_u32 v1, vcc_lo, v29, s12
	v_add_co_ci_u32_e32 v2, vcc_lo, s13, v32, vcc_lo
	v_mov_b32_e32 v45, 0
	s_delay_alu instid0(VALU_DEP_2) | instskip(NEXT) | instid1(VALU_DEP_1)
	v_cmp_gt_u64_e64 s3, s[10:11], v[1:2]
	s_and_saveexec_b32 s2, s3
	s_cbranch_execz .LBB112_10
; %bb.9:                                ;   in Loop: Header=BB112_4 Depth=1
	v_add_co_u32 v1, vcc_lo, v35, s8
	v_add_co_ci_u32_e32 v2, vcc_lo, s9, v36, vcc_lo
	v_add_co_u32 v43, vcc_lo, v37, s8
	v_add_co_ci_u32_e32 v44, vcc_lo, s9, v38, vcc_lo
	global_load_b32 v3, v[1:2], off
	global_load_b32 v45, v[43:44], off
.LBB112_10:                             ;   in Loop: Header=BB112_4 Depth=1
	s_or_b32 exec_lo, exec_lo, s2
	v_dual_mov_b32 v2, 0 :: v_dual_mov_b32 v49, 0
	s_and_saveexec_b32 s2, s3
	s_cbranch_execz .LBB112_12
; %bb.11:                               ;   in Loop: Header=BB112_4 Depth=1
	v_add_co_u32 v43, vcc_lo, v39, s8
	v_add_co_ci_u32_e32 v44, vcc_lo, s9, v40, vcc_lo
	global_load_b32 v49, v[43:44], off
.LBB112_12:                             ;   in Loop: Header=BB112_4 Depth=1
	s_or_b32 exec_lo, exec_lo, s2
	v_add_co_u32 v43, vcc_lo, v33, s12
	v_add_co_ci_u32_e32 v44, vcc_lo, s13, v34, vcc_lo
	s_delay_alu instid0(VALU_DEP_1) | instskip(SKIP_1) | instid1(VALU_DEP_2)
	v_cmp_gt_u64_e64 s2, s[10:11], v[43:44]
	v_mov_b32_e32 v44, 0
	s_and_saveexec_b32 s5, s2
	s_cbranch_execz .LBB112_14
; %bb.13:                               ;   in Loop: Header=BB112_4 Depth=1
	v_add_co_u32 v1, vcc_lo, v23, s8
	v_add_co_ci_u32_e32 v2, vcc_lo, s9, v24, vcc_lo
	v_add_co_u32 v43, vcc_lo, v25, s8
	v_add_co_ci_u32_e32 v44, vcc_lo, s9, v26, vcc_lo
	global_load_b32 v2, v[1:2], off
	global_load_b32 v44, v[43:44], off
.LBB112_14:                             ;   in Loop: Header=BB112_4 Depth=1
	s_or_b32 exec_lo, exec_lo, s5
	v_dual_mov_b32 v1, 0 :: v_dual_mov_b32 v48, 0
	s_and_saveexec_b32 s5, s2
	s_cbranch_execz .LBB112_16
; %bb.15:                               ;   in Loop: Header=BB112_4 Depth=1
	v_add_co_u32 v47, vcc_lo, v27, s8
	v_add_co_ci_u32_e32 v48, vcc_lo, s9, v28, vcc_lo
	global_load_b32 v48, v[47:48], off
.LBB112_16:                             ;   in Loop: Header=BB112_4 Depth=1
	s_or_b32 exec_lo, exec_lo, s5
	v_add_co_u32 v51, vcc_lo, v21, s12
	v_add_co_ci_u32_e32 v52, vcc_lo, s13, v22, vcc_lo
	v_mov_b32_e32 v43, 0
	s_delay_alu instid0(VALU_DEP_2)
	v_cmp_gt_u64_e32 vcc_lo, s[10:11], v[51:52]
	s_and_saveexec_b32 s25, vcc_lo
	s_cbranch_execnz .LBB112_22
; %bb.17:                               ;   in Loop: Header=BB112_4 Depth=1
	s_or_b32 exec_lo, exec_lo, s25
	v_mov_b32_e32 v47, 0
	s_and_saveexec_b32 s25, vcc_lo
	s_cbranch_execnz .LBB112_23
.LBB112_18:                             ;   in Loop: Header=BB112_4 Depth=1
	s_or_b32 exec_lo, exec_lo, s25
	s_and_saveexec_b32 s5, s4
	s_cbranch_execnz .LBB112_24
.LBB112_19:                             ;   in Loop: Header=BB112_4 Depth=1
	s_or_b32 exec_lo, exec_lo, s5
	s_and_saveexec_b32 s4, s3
	s_cbranch_execnz .LBB112_25
.LBB112_20:                             ;   in Loop: Header=BB112_4 Depth=1
	s_or_b32 exec_lo, exec_lo, s4
	s_and_saveexec_b32 s3, s2
	s_cbranch_execnz .LBB112_26
.LBB112_21:                             ;   in Loop: Header=BB112_4 Depth=1
	s_or_b32 exec_lo, exec_lo, s3
	s_and_saveexec_b32 s2, vcc_lo
	s_cbranch_execz .LBB112_3
	s_branch .LBB112_27
.LBB112_22:                             ;   in Loop: Header=BB112_4 Depth=1
	v_add_co_u32 v51, s5, v13, s8
	s_delay_alu instid0(VALU_DEP_1) | instskip(SKIP_1) | instid1(VALU_DEP_1)
	v_add_co_ci_u32_e64 v52, s5, s9, v14, s5
	v_add_co_u32 v53, s5, v15, s8
	v_add_co_ci_u32_e64 v54, s5, s9, v16, s5
	global_load_b32 v1, v[51:52], off
	global_load_b32 v43, v[53:54], off
	s_or_b32 exec_lo, exec_lo, s25
	v_mov_b32_e32 v47, 0
	s_and_saveexec_b32 s25, vcc_lo
	s_cbranch_execz .LBB112_18
.LBB112_23:                             ;   in Loop: Header=BB112_4 Depth=1
	v_add_co_u32 v51, s5, v17, s8
	s_delay_alu instid0(VALU_DEP_1)
	v_add_co_ci_u32_e64 v52, s5, s9, v18, s5
	global_load_b32 v47, v[51:52], off
	s_or_b32 exec_lo, exec_lo, s25
	s_and_saveexec_b32 s5, s4
	s_cbranch_execz .LBB112_19
.LBB112_24:                             ;   in Loop: Header=BB112_4 Depth=1
	s_waitcnt vmcnt(0)
	v_sub_nc_u32_e32 v51, 0, v50
	v_sub_nc_u32_e32 v54, 0, v46
	s_delay_alu instid0(VALU_DEP_2) | instskip(NEXT) | instid1(VALU_DEP_2)
	v_max_i32_e32 v51, v50, v51
	v_max_i32_e32 v54, v46, v54
	v_xor_b32_e32 v46, v46, v50
	s_delay_alu instid0(VALU_DEP_3) | instskip(SKIP_1) | instid1(VALU_DEP_3)
	v_cvt_f32_u32_e32 v52, v51
	v_sub_nc_u32_e32 v53, 0, v51
	v_ashrrev_i32_e32 v46, 31, v46
	s_delay_alu instid0(VALU_DEP_3) | instskip(SKIP_2) | instid1(VALU_DEP_1)
	v_rcp_iflag_f32_e32 v52, v52
	s_waitcnt_depctr 0xfff
	v_mul_f32_e32 v52, 0x4f7ffffe, v52
	v_cvt_u32_f32_e32 v52, v52
	s_delay_alu instid0(VALU_DEP_1) | instskip(NEXT) | instid1(VALU_DEP_1)
	v_mul_lo_u32 v53, v53, v52
	v_mul_hi_u32 v53, v52, v53
	s_delay_alu instid0(VALU_DEP_1) | instskip(NEXT) | instid1(VALU_DEP_1)
	v_add_nc_u32_e32 v52, v52, v53
	v_mul_hi_u32 v52, v54, v52
	s_delay_alu instid0(VALU_DEP_1) | instskip(NEXT) | instid1(VALU_DEP_1)
	v_mul_lo_u32 v53, v52, v51
	v_sub_nc_u32_e32 v53, v54, v53
	v_add_nc_u32_e32 v54, 1, v52
	s_delay_alu instid0(VALU_DEP_2) | instskip(SKIP_1) | instid1(VALU_DEP_1)
	v_sub_nc_u32_e32 v55, v53, v51
	v_cmp_ge_u32_e64 s4, v53, v51
	v_cndmask_b32_e64 v52, v52, v54, s4
	s_delay_alu instid0(VALU_DEP_3) | instskip(NEXT) | instid1(VALU_DEP_2)
	v_cndmask_b32_e64 v50, v53, v55, s4
	v_add_nc_u32_e32 v53, 1, v52
	s_delay_alu instid0(VALU_DEP_2) | instskip(NEXT) | instid1(VALU_DEP_1)
	v_cmp_ge_u32_e64 s4, v50, v51
	v_cndmask_b32_e64 v50, v52, v53, s4
	s_delay_alu instid0(VALU_DEP_1) | instskip(NEXT) | instid1(VALU_DEP_1)
	v_xor_b32_e32 v50, v50, v46
	v_sub_nc_u32_e32 v46, v50, v46
	s_delay_alu instid0(VALU_DEP_1) | instskip(SKIP_1) | instid1(VALU_DEP_1)
	v_mad_u64_u32 v[50:51], null, v46, s24, v[4:5]
	v_add_co_u32 v51, s4, v11, s8
	v_add_co_ci_u32_e64 v52, s4, s9, v12, s4
	global_store_b32 v[51:52], v50, off
	s_or_b32 exec_lo, exec_lo, s5
	s_and_saveexec_b32 s4, s3
	s_cbranch_execz .LBB112_20
.LBB112_25:                             ;   in Loop: Header=BB112_4 Depth=1
	s_waitcnt vmcnt(0)
	v_sub_nc_u32_e32 v4, 0, v49
	v_sub_nc_u32_e32 v51, 0, v45
	s_delay_alu instid0(VALU_DEP_2) | instskip(NEXT) | instid1(VALU_DEP_2)
	v_max_i32_e32 v4, v49, v4
	v_max_i32_e32 v51, v45, v51
	v_xor_b32_e32 v45, v45, v49
	s_delay_alu instid0(VALU_DEP_3) | instskip(SKIP_1) | instid1(VALU_DEP_3)
	v_cvt_f32_u32_e32 v46, v4
	v_sub_nc_u32_e32 v50, 0, v4
	v_ashrrev_i32_e32 v45, 31, v45
	s_delay_alu instid0(VALU_DEP_3) | instskip(SKIP_2) | instid1(VALU_DEP_1)
	v_rcp_iflag_f32_e32 v46, v46
	s_waitcnt_depctr 0xfff
	v_mul_f32_e32 v46, 0x4f7ffffe, v46
	v_cvt_u32_f32_e32 v46, v46
	s_delay_alu instid0(VALU_DEP_1) | instskip(NEXT) | instid1(VALU_DEP_1)
	v_mul_lo_u32 v50, v50, v46
	v_mul_hi_u32 v50, v46, v50
	s_delay_alu instid0(VALU_DEP_1) | instskip(NEXT) | instid1(VALU_DEP_1)
	v_add_nc_u32_e32 v46, v46, v50
	v_mul_hi_u32 v46, v51, v46
	s_delay_alu instid0(VALU_DEP_1) | instskip(NEXT) | instid1(VALU_DEP_1)
	v_mul_lo_u32 v50, v46, v4
	v_sub_nc_u32_e32 v50, v51, v50
	v_add_nc_u32_e32 v51, 1, v46
	s_delay_alu instid0(VALU_DEP_2) | instskip(SKIP_1) | instid1(VALU_DEP_1)
	v_sub_nc_u32_e32 v52, v50, v4
	v_cmp_ge_u32_e64 s3, v50, v4
	v_cndmask_b32_e64 v46, v46, v51, s3
	s_delay_alu instid0(VALU_DEP_3) | instskip(NEXT) | instid1(VALU_DEP_2)
	v_cndmask_b32_e64 v49, v50, v52, s3
	v_add_nc_u32_e32 v50, 1, v46
	s_delay_alu instid0(VALU_DEP_2) | instskip(NEXT) | instid1(VALU_DEP_1)
	v_cmp_ge_u32_e64 s3, v49, v4
	v_cndmask_b32_e64 v4, v46, v50, s3
	s_delay_alu instid0(VALU_DEP_1) | instskip(NEXT) | instid1(VALU_DEP_1)
	v_xor_b32_e32 v4, v4, v45
	v_sub_nc_u32_e32 v4, v4, v45
	s_delay_alu instid0(VALU_DEP_1) | instskip(SKIP_1) | instid1(VALU_DEP_1)
	v_mad_u64_u32 v[45:46], null, v4, s24, v[3:4]
	v_add_co_u32 v3, s3, v41, s8
	v_add_co_ci_u32_e64 v4, s3, s9, v42, s3
	global_store_b32 v[3:4], v45, off
	s_or_b32 exec_lo, exec_lo, s4
	s_and_saveexec_b32 s3, s2
	s_cbranch_execz .LBB112_21
.LBB112_26:                             ;   in Loop: Header=BB112_4 Depth=1
	s_waitcnt vmcnt(0)
	v_sub_nc_u32_e32 v3, 0, v48
	v_sub_nc_u32_e32 v46, 0, v44
	s_delay_alu instid0(VALU_DEP_2) | instskip(NEXT) | instid1(VALU_DEP_2)
	v_max_i32_e32 v3, v48, v3
	v_max_i32_e32 v46, v44, v46
	v_xor_b32_e32 v44, v44, v48
	s_delay_alu instid0(VALU_DEP_3) | instskip(SKIP_1) | instid1(VALU_DEP_3)
	v_cvt_f32_u32_e32 v4, v3
	v_sub_nc_u32_e32 v45, 0, v3
	v_ashrrev_i32_e32 v44, 31, v44
	s_delay_alu instid0(VALU_DEP_3) | instskip(SKIP_2) | instid1(VALU_DEP_1)
	v_rcp_iflag_f32_e32 v4, v4
	s_waitcnt_depctr 0xfff
	v_mul_f32_e32 v4, 0x4f7ffffe, v4
	v_cvt_u32_f32_e32 v4, v4
	s_delay_alu instid0(VALU_DEP_1) | instskip(NEXT) | instid1(VALU_DEP_1)
	v_mul_lo_u32 v45, v45, v4
	v_mul_hi_u32 v45, v4, v45
	s_delay_alu instid0(VALU_DEP_1) | instskip(NEXT) | instid1(VALU_DEP_1)
	v_add_nc_u32_e32 v4, v4, v45
	v_mul_hi_u32 v4, v46, v4
	s_delay_alu instid0(VALU_DEP_1) | instskip(NEXT) | instid1(VALU_DEP_1)
	v_mul_lo_u32 v45, v4, v3
	v_sub_nc_u32_e32 v45, v46, v45
	v_add_nc_u32_e32 v46, 1, v4
	s_delay_alu instid0(VALU_DEP_2) | instskip(SKIP_1) | instid1(VALU_DEP_1)
	v_sub_nc_u32_e32 v49, v45, v3
	v_cmp_ge_u32_e64 s2, v45, v3
	v_cndmask_b32_e64 v4, v4, v46, s2
	s_delay_alu instid0(VALU_DEP_3) | instskip(NEXT) | instid1(VALU_DEP_2)
	v_cndmask_b32_e64 v45, v45, v49, s2
	v_add_nc_u32_e32 v46, 1, v4
	s_delay_alu instid0(VALU_DEP_2) | instskip(NEXT) | instid1(VALU_DEP_1)
	v_cmp_ge_u32_e64 s2, v45, v3
	v_cndmask_b32_e64 v3, v4, v46, s2
	s_delay_alu instid0(VALU_DEP_1) | instskip(NEXT) | instid1(VALU_DEP_1)
	v_xor_b32_e32 v3, v3, v44
	v_sub_nc_u32_e32 v44, v3, v44
	s_delay_alu instid0(VALU_DEP_1) | instskip(SKIP_1) | instid1(VALU_DEP_1)
	v_mad_u64_u32 v[3:4], null, v44, s24, v[2:3]
	v_add_co_u32 v44, s2, v30, s8
	v_add_co_ci_u32_e64 v45, s2, s9, v31, s2
	global_store_b32 v[44:45], v3, off
	s_or_b32 exec_lo, exec_lo, s3
	s_and_saveexec_b32 s2, vcc_lo
	s_cbranch_execz .LBB112_3
.LBB112_27:                             ;   in Loop: Header=BB112_4 Depth=1
	s_waitcnt vmcnt(0)
	v_sub_nc_u32_e32 v2, 0, v47
	v_sub_nc_u32_e32 v44, 0, v43
	s_delay_alu instid0(VALU_DEP_2) | instskip(NEXT) | instid1(VALU_DEP_2)
	v_max_i32_e32 v2, v47, v2
	v_max_i32_e32 v44, v43, v44
	v_xor_b32_e32 v43, v43, v47
	s_delay_alu instid0(VALU_DEP_3) | instskip(SKIP_1) | instid1(VALU_DEP_3)
	v_cvt_f32_u32_e32 v3, v2
	v_sub_nc_u32_e32 v4, 0, v2
	v_ashrrev_i32_e32 v43, 31, v43
	s_delay_alu instid0(VALU_DEP_3) | instskip(SKIP_2) | instid1(VALU_DEP_1)
	v_rcp_iflag_f32_e32 v3, v3
	s_waitcnt_depctr 0xfff
	v_mul_f32_e32 v3, 0x4f7ffffe, v3
	v_cvt_u32_f32_e32 v3, v3
	s_delay_alu instid0(VALU_DEP_1) | instskip(NEXT) | instid1(VALU_DEP_1)
	v_mul_lo_u32 v4, v4, v3
	v_mul_hi_u32 v4, v3, v4
	s_delay_alu instid0(VALU_DEP_1) | instskip(NEXT) | instid1(VALU_DEP_1)
	v_add_nc_u32_e32 v3, v3, v4
	v_mul_hi_u32 v3, v44, v3
	s_delay_alu instid0(VALU_DEP_1) | instskip(NEXT) | instid1(VALU_DEP_1)
	v_mul_lo_u32 v4, v3, v2
	v_sub_nc_u32_e32 v4, v44, v4
	v_add_nc_u32_e32 v44, 1, v3
	s_delay_alu instid0(VALU_DEP_2) | instskip(SKIP_1) | instid1(VALU_DEP_2)
	v_sub_nc_u32_e32 v45, v4, v2
	v_cmp_ge_u32_e32 vcc_lo, v4, v2
	v_dual_cndmask_b32 v4, v4, v45 :: v_dual_cndmask_b32 v3, v3, v44
	s_delay_alu instid0(VALU_DEP_1) | instskip(NEXT) | instid1(VALU_DEP_2)
	v_cmp_ge_u32_e32 vcc_lo, v4, v2
	v_add_nc_u32_e32 v44, 1, v3
	s_delay_alu instid0(VALU_DEP_1) | instskip(NEXT) | instid1(VALU_DEP_1)
	v_cndmask_b32_e32 v2, v3, v44, vcc_lo
	v_xor_b32_e32 v2, v2, v43
	s_delay_alu instid0(VALU_DEP_1) | instskip(NEXT) | instid1(VALU_DEP_1)
	v_sub_nc_u32_e32 v4, v2, v43
	v_mad_u64_u32 v[2:3], null, v4, s24, v[1:2]
	v_add_co_u32 v3, vcc_lo, v19, s8
	v_add_co_ci_u32_e32 v4, vcc_lo, s9, v20, vcc_lo
	global_store_b32 v[3:4], v2, off
	s_branch .LBB112_3
.LBB112_28:
	s_mov_b32 s10, 0
.LBB112_29:
	s_delay_alu instid0(SALU_CYCLE_1)
	s_and_not1_b32 vcc_lo, exec_lo, s10
	s_cbranch_vccnz .LBB112_33
; %bb.30:
	s_waitcnt vmcnt(1)
	v_dual_mov_b32 v2, 0 :: v_dual_lshlrev_b32 v1, 2, v0
	s_mov_b32 s3, 0
	s_mov_b32 s2, exec_lo
	s_delay_alu instid0(VALU_DEP_1)
	v_cmpx_gt_i64_e64 s[6:7], v[1:2]
	s_cbranch_execz .LBB112_33
; %bb.31:
	s_load_b32 s0, s[0:1], 0xc84
	s_waitcnt lgkmcnt(0)
	s_and_b32 s0, s0, 0xffff
	s_delay_alu instid0(SALU_CYCLE_1)
	v_add_lshl_u32 v1, v0, s0, 2
	v_lshlrev_b32_e32 v0, 4, v0
	s_lshl_b32 s4, s0, 2
	s_lshl_b32 s5, s0, 4
.LBB112_32:                             ; =>This Inner Loop Header: Depth=1
	s_delay_alu instid0(VALU_DEP_1) | instskip(NEXT) | instid1(VALU_DEP_1)
	v_add_co_u32 v3, s0, s18, v0
	v_add_co_ci_u32_e64 v4, null, s19, 0, s0
	v_add_co_u32 v7, s0, s20, v0
	s_delay_alu instid0(VALU_DEP_1) | instskip(SKIP_1) | instid1(VALU_DEP_1)
	v_add_co_ci_u32_e64 v8, null, s21, 0, s0
	v_add_co_u32 v11, s0, s16, v0
	v_add_co_ci_u32_e64 v12, null, s17, 0, s0
	global_load_b128 v[3:6], v[3:4], off
	global_load_b128 v[7:10], v[7:8], off
	;; [unrolled: 1-line block ×3, first 2 shown]
	v_cmp_le_i64_e32 vcc_lo, s[6:7], v[1:2]
	v_cmp_lt_u64_e64 s0, 0xffff, v[1:2]
	v_add_co_u32 v15, s1, s22, v0
	s_delay_alu instid0(VALU_DEP_1) | instskip(SKIP_1) | instid1(VALU_DEP_4)
	v_add_co_ci_u32_e64 v16, null, s23, 0, s1
	v_add_co_u32 v1, s1, v1, s4
	s_or_b32 s8, vcc_lo, s0
	v_add_co_ci_u32_e64 v2, s1, 0, v2, s1
	s_add_u32 s16, s16, s5
	s_addc_u32 s17, s17, 0
	s_add_u32 s22, s22, s5
	s_addc_u32 s23, s23, 0
	;; [unrolled: 2-line block ×4, first 2 shown]
	s_waitcnt vmcnt(2)
	v_sub_nc_u32_e32 v22, 0, v4
	s_waitcnt vmcnt(1)
	v_sub_nc_u32_e32 v20, 0, v7
	v_xor_b32_e32 v18, v3, v7
	v_xor_b32_e32 v21, v4, v8
	v_sub_nc_u32_e32 v23, 0, v8
	v_max_i32_e32 v4, v4, v22
	v_max_i32_e32 v7, v7, v20
	v_sub_nc_u32_e32 v29, 0, v10
	v_xor_b32_e32 v27, v6, v10
	v_max_i32_e32 v8, v8, v23
	v_sub_nc_u32_e32 v28, 0, v6
	v_cvt_f32_u32_e32 v22, v7
	v_sub_nc_u32_e32 v23, 0, v7
	v_max_i32_e32 v10, v10, v29
	v_sub_nc_u32_e32 v19, 0, v3
	v_max_i32_e32 v6, v6, v28
	v_rcp_iflag_f32_e32 v22, v22
	s_waitcnt vmcnt(0)
	v_mov_b32_e32 v17, v14
	v_cvt_f32_u32_e32 v28, v10
	v_max_i32_e32 v3, v3, v19
	v_xor_b32_e32 v24, v5, v9
	v_sub_nc_u32_e32 v29, 0, v10
	v_sub_nc_u32_e32 v26, 0, v9
	v_rcp_iflag_f32_e32 v28, v28
	v_sub_nc_u32_e32 v25, 0, v5
	v_ashrrev_i32_e32 v20, 31, v24
	v_mul_f32_e32 v22, 0x4f7ffffe, v22
	v_cvt_f32_u32_e32 v24, v8
	v_max_i32_e32 v9, v9, v26
	v_max_i32_e32 v5, v5, v25
	v_sub_nc_u32_e32 v25, 0, v8
	v_cvt_u32_f32_e32 v22, v22
	v_rcp_iflag_f32_e32 v24, v24
	v_cvt_f32_u32_e32 v26, v9
	v_ashrrev_i32_e32 v19, 31, v21
	v_ashrrev_i32_e32 v21, 31, v27
	v_mul_lo_u32 v23, v23, v22
	v_sub_nc_u32_e32 v27, 0, v9
	v_rcp_iflag_f32_e32 v26, v26
	v_ashrrev_i32_e32 v18, 31, v18
	s_delay_alu instid0(VALU_DEP_3) | instskip(NEXT) | instid1(VALU_DEP_1)
	v_mul_hi_u32 v23, v22, v23
	v_add_nc_u32_e32 v22, v22, v23
	s_delay_alu instid0(VALU_DEP_1) | instskip(SKIP_1) | instid1(VALU_DEP_1)
	v_mul_hi_u32 v22, v3, v22
	v_mul_f32_e32 v28, 0x4f7ffffe, v28
	v_cvt_u32_f32_e32 v28, v28
	s_delay_alu instid0(VALU_DEP_1) | instskip(NEXT) | instid1(VALU_DEP_1)
	v_mul_lo_u32 v29, v29, v28
	v_mul_hi_u32 v29, v28, v29
	v_mul_f32_e32 v24, 0x4f7ffffe, v24
	s_delay_alu instid0(VALU_DEP_1) | instskip(NEXT) | instid1(VALU_DEP_1)
	v_cvt_u32_f32_e32 v24, v24
	v_mul_lo_u32 v25, v25, v24
	s_delay_alu instid0(VALU_DEP_1) | instskip(NEXT) | instid1(VALU_DEP_1)
	v_mul_hi_u32 v25, v24, v25
	v_dual_mul_f32 v26, 0x4f7ffffe, v26 :: v_dual_add_nc_u32 v23, v24, v25
	s_delay_alu instid0(VALU_DEP_1) | instskip(SKIP_1) | instid1(VALU_DEP_3)
	v_cvt_u32_f32_e32 v26, v26
	v_add_nc_u32_e32 v25, v28, v29
	v_mul_hi_u32 v23, v4, v23
	s_delay_alu instid0(VALU_DEP_3) | instskip(NEXT) | instid1(VALU_DEP_3)
	v_mul_lo_u32 v27, v27, v26
	v_mul_hi_u32 v25, v6, v25
	s_delay_alu instid0(VALU_DEP_3) | instskip(NEXT) | instid1(VALU_DEP_3)
	v_mul_lo_u32 v28, v23, v8
	;; [unrolled: 3-line block ×3, first 2 shown]
	v_sub_nc_u32_e32 v4, v4, v28
	s_delay_alu instid0(VALU_DEP_3)
	v_add_nc_u32_e32 v24, v26, v27
	v_mul_lo_u32 v26, v22, v7
	v_add_nc_u32_e32 v27, 1, v22
	v_sub_nc_u32_e32 v6, v6, v30
	v_cmp_ge_u32_e64 s0, v4, v8
	v_mul_hi_u32 v24, v5, v24
	s_delay_alu instid0(VALU_DEP_3) | instskip(SKIP_1) | instid1(VALU_DEP_3)
	v_cmp_ge_u32_e64 s2, v6, v10
	v_sub_nc_u32_e32 v3, v3, v26
	v_mul_lo_u32 v29, v24, v9
	s_delay_alu instid0(VALU_DEP_2) | instskip(SKIP_2) | instid1(VALU_DEP_2)
	v_cmp_ge_u32_e32 vcc_lo, v3, v7
	v_sub_nc_u32_e32 v26, v3, v7
	v_dual_cndmask_b32 v22, v22, v27 :: v_dual_add_nc_u32 v33, 1, v25
	v_cndmask_b32_e32 v3, v3, v26, vcc_lo
	v_sub_nc_u32_e32 v5, v5, v29
	v_sub_nc_u32_e32 v29, v6, v10
	s_delay_alu instid0(VALU_DEP_4)
	v_cndmask_b32_e64 v25, v25, v33, s2
	v_add_nc_u32_e32 v26, 1, v22
	v_cmp_ge_u32_e32 vcc_lo, v3, v7
	v_cmp_ge_u32_e64 s1, v5, v9
	v_sub_nc_u32_e32 v28, v5, v9
	v_cndmask_b32_e64 v6, v6, v29, s2
	v_dual_cndmask_b32 v3, v22, v26 :: v_dual_add_nc_u32 v32, 1, v24
	v_sub_nc_u32_e32 v27, v4, v8
	s_delay_alu instid0(VALU_DEP_4)
	v_cndmask_b32_e64 v5, v5, v28, s1
	v_add_nc_u32_e32 v28, 1, v25
	v_cmp_ge_u32_e32 vcc_lo, v6, v10
	v_add_nc_u32_e32 v31, 1, v23
	v_cndmask_b32_e64 v4, v4, v27, s0
	v_cndmask_b32_e64 v24, v24, v32, s1
	v_xor_b32_e32 v3, v3, v18
	v_cndmask_b32_e32 v6, v25, v28, vcc_lo
	v_cndmask_b32_e64 v23, v23, v31, s0
	v_cmp_ge_u32_e32 vcc_lo, v4, v8
	s_and_b32 s0, exec_lo, s8
	s_delay_alu instid0(VALU_DEP_3) | instskip(NEXT) | instid1(VALU_DEP_3)
	v_xor_b32_e32 v6, v6, v21
	v_add_nc_u32_e32 v27, 1, v23
	v_add_nc_u32_e32 v29, 1, v24
	s_or_b32 s3, s0, s3
	s_delay_alu instid0(VALU_DEP_3) | instskip(NEXT) | instid1(VALU_DEP_3)
	v_sub_nc_u32_e32 v6, v6, v21
	v_cndmask_b32_e32 v4, v23, v27, vcc_lo
	v_cmp_ge_u32_e32 vcc_lo, v5, v9
	v_sub_nc_u32_e32 v9, v3, v18
	s_delay_alu instid0(VALU_DEP_3) | instskip(SKIP_1) | instid1(VALU_DEP_2)
	v_xor_b32_e32 v4, v4, v19
	v_cndmask_b32_e32 v5, v24, v29, vcc_lo
	v_sub_nc_u32_e32 v10, v4, v19
	s_delay_alu instid0(VALU_DEP_2) | instskip(SKIP_1) | instid1(VALU_DEP_2)
	v_xor_b32_e32 v5, v5, v20
	v_mad_u64_u32 v[3:4], null, v9, s24, v[11:12]
	v_sub_nc_u32_e32 v18, v5, v20
	s_delay_alu instid0(VALU_DEP_4) | instskip(NEXT) | instid1(VALU_DEP_2)
	v_mad_u64_u32 v[4:5], null, v10, s24, v[12:13]
	v_mad_u64_u32 v[7:8], null, v6, s24, v[17:18]
	;; [unrolled: 1-line block ×3, first 2 shown]
	s_delay_alu instid0(VALU_DEP_2)
	v_mov_b32_e32 v6, v7
	global_store_b128 v[15:16], v[3:6], off
	s_and_not1_b32 exec_lo, exec_lo, s3
	s_cbranch_execnz .LBB112_32
.LBB112_33:
	s_nop 0
	s_sendmsg sendmsg(MSG_DEALLOC_VGPRS)
	s_endpgm
	.section	.rodata,"a",@progbits
	.p2align	6, 0x0
	.amdhsa_kernel _ZN2at6native12_GLOBAL__N_125multi_tensor_apply_kernelINS1_28TensorListScalarListMetadataIiLi4EEENS1_28PointwiseOpScalarListFunctorIiLi4ELi3ELi3EEEJSt7dividesIiEEEEvT_T0_DpT1_
		.amdhsa_group_segment_fixed_size 0
		.amdhsa_private_segment_fixed_size 0
		.amdhsa_kernarg_size 3448
		.amdhsa_user_sgpr_count 15
		.amdhsa_user_sgpr_dispatch_ptr 0
		.amdhsa_user_sgpr_queue_ptr 0
		.amdhsa_user_sgpr_kernarg_segment_ptr 1
		.amdhsa_user_sgpr_dispatch_id 0
		.amdhsa_user_sgpr_private_segment_size 0
		.amdhsa_wavefront_size32 1
		.amdhsa_uses_dynamic_stack 0
		.amdhsa_enable_private_segment 0
		.amdhsa_system_sgpr_workgroup_id_x 1
		.amdhsa_system_sgpr_workgroup_id_y 0
		.amdhsa_system_sgpr_workgroup_id_z 0
		.amdhsa_system_sgpr_workgroup_info 0
		.amdhsa_system_vgpr_workitem_id 0
		.amdhsa_next_free_vgpr 56
		.amdhsa_next_free_sgpr 30
		.amdhsa_reserve_vcc 1
		.amdhsa_float_round_mode_32 0
		.amdhsa_float_round_mode_16_64 0
		.amdhsa_float_denorm_mode_32 3
		.amdhsa_float_denorm_mode_16_64 3
		.amdhsa_dx10_clamp 1
		.amdhsa_ieee_mode 1
		.amdhsa_fp16_overflow 0
		.amdhsa_workgroup_processor_mode 1
		.amdhsa_memory_ordered 1
		.amdhsa_forward_progress 0
		.amdhsa_shared_vgpr_count 0
		.amdhsa_exception_fp_ieee_invalid_op 0
		.amdhsa_exception_fp_denorm_src 0
		.amdhsa_exception_fp_ieee_div_zero 0
		.amdhsa_exception_fp_ieee_overflow 0
		.amdhsa_exception_fp_ieee_underflow 0
		.amdhsa_exception_fp_ieee_inexact 0
		.amdhsa_exception_int_div_zero 0
	.end_amdhsa_kernel
	.section	.text._ZN2at6native12_GLOBAL__N_125multi_tensor_apply_kernelINS1_28TensorListScalarListMetadataIiLi4EEENS1_28PointwiseOpScalarListFunctorIiLi4ELi3ELi3EEEJSt7dividesIiEEEEvT_T0_DpT1_,"axG",@progbits,_ZN2at6native12_GLOBAL__N_125multi_tensor_apply_kernelINS1_28TensorListScalarListMetadataIiLi4EEENS1_28PointwiseOpScalarListFunctorIiLi4ELi3ELi3EEEJSt7dividesIiEEEEvT_T0_DpT1_,comdat
.Lfunc_end112:
	.size	_ZN2at6native12_GLOBAL__N_125multi_tensor_apply_kernelINS1_28TensorListScalarListMetadataIiLi4EEENS1_28PointwiseOpScalarListFunctorIiLi4ELi3ELi3EEEJSt7dividesIiEEEEvT_T0_DpT1_, .Lfunc_end112-_ZN2at6native12_GLOBAL__N_125multi_tensor_apply_kernelINS1_28TensorListScalarListMetadataIiLi4EEENS1_28PointwiseOpScalarListFunctorIiLi4ELi3ELi3EEEJSt7dividesIiEEEEvT_T0_DpT1_
                                        ; -- End function
	.section	.AMDGPU.csdata,"",@progbits
; Kernel info:
; codeLenInByte = 3476
; NumSgprs: 32
; NumVgprs: 56
; ScratchSize: 0
; MemoryBound: 0
; FloatMode: 240
; IeeeMode: 1
; LDSByteSize: 0 bytes/workgroup (compile time only)
; SGPRBlocks: 3
; VGPRBlocks: 6
; NumSGPRsForWavesPerEU: 32
; NumVGPRsForWavesPerEU: 56
; Occupancy: 16
; WaveLimiterHint : 0
; COMPUTE_PGM_RSRC2:SCRATCH_EN: 0
; COMPUTE_PGM_RSRC2:USER_SGPR: 15
; COMPUTE_PGM_RSRC2:TRAP_HANDLER: 0
; COMPUTE_PGM_RSRC2:TGID_X_EN: 1
; COMPUTE_PGM_RSRC2:TGID_Y_EN: 0
; COMPUTE_PGM_RSRC2:TGID_Z_EN: 0
; COMPUTE_PGM_RSRC2:TIDIG_COMP_CNT: 0
	.section	.text._ZN2at6native12_GLOBAL__N_125multi_tensor_apply_kernelINS1_28TensorListScalarListMetadataIlLi4EEENS1_28PointwiseOpScalarListFunctorIlLi4ELi3ELi3EEEJSt7dividesIlEEEEvT_T0_DpT1_,"axG",@progbits,_ZN2at6native12_GLOBAL__N_125multi_tensor_apply_kernelINS1_28TensorListScalarListMetadataIlLi4EEENS1_28PointwiseOpScalarListFunctorIlLi4ELi3ELi3EEEJSt7dividesIlEEEEvT_T0_DpT1_,comdat
	.globl	_ZN2at6native12_GLOBAL__N_125multi_tensor_apply_kernelINS1_28TensorListScalarListMetadataIlLi4EEENS1_28PointwiseOpScalarListFunctorIlLi4ELi3ELi3EEEJSt7dividesIlEEEEvT_T0_DpT1_ ; -- Begin function _ZN2at6native12_GLOBAL__N_125multi_tensor_apply_kernelINS1_28TensorListScalarListMetadataIlLi4EEENS1_28PointwiseOpScalarListFunctorIlLi4ELi3ELi3EEEJSt7dividesIlEEEEvT_T0_DpT1_
	.p2align	8
	.type	_ZN2at6native12_GLOBAL__N_125multi_tensor_apply_kernelINS1_28TensorListScalarListMetadataIlLi4EEENS1_28PointwiseOpScalarListFunctorIlLi4ELi3ELi3EEEJSt7dividesIlEEEEvT_T0_DpT1_,@function
_ZN2at6native12_GLOBAL__N_125multi_tensor_apply_kernelINS1_28TensorListScalarListMetadataIlLi4EEENS1_28PointwiseOpScalarListFunctorIlLi4ELi3ELi3EEEJSt7dividesIlEEEEvT_T0_DpT1_: ; @_ZN2at6native12_GLOBAL__N_125multi_tensor_apply_kernelINS1_28TensorListScalarListMetadataIlLi4EEENS1_28PointwiseOpScalarListFunctorIlLi4ELi3ELi3EEEJSt7dividesIlEEEEvT_T0_DpT1_
; %bb.0:
	v_mov_b32_e32 v1, s15
	s_add_u32 s2, s0, s15
	s_mul_hi_u32 s3, s15, 3
	s_mul_i32 s15, s15, 3
	s_addc_u32 s4, s1, 0
	global_load_u8 v1, v1, s[0:1] offset:1728
	s_add_u32 s2, s2, s15
	s_addc_u32 s3, s4, s3
	s_mov_b32 s27, 0
	s_load_b32 s10, s[2:3], 0x800
	s_mov_b32 s23, s27
	s_waitcnt lgkmcnt(0)
	s_ashr_i32 s11, s10, 31
	s_delay_alu instid0(SALU_CYCLE_1) | instskip(SKIP_2) | instid1(VALU_DEP_1)
	s_lshl_b64 s[12:13], s[10:11], 19
	s_waitcnt vmcnt(0)
	v_readfirstlane_b32 s5, v1
	s_lshl_b32 s8, s5, 3
	s_clause 0x5
	s_load_b64 s[2:3], s[0:1], s8 offset:0x0
	s_load_b64 s[4:5], s[0:1], s8 offset:0x120
	;; [unrolled: 1-line block ×6, first 2 shown]
	s_waitcnt lgkmcnt(0)
	s_add_u32 s18, s2, s12
	s_addc_u32 s19, s3, s13
	s_and_b32 s26, s18, 31
	s_add_u32 s20, s4, s12
	s_addc_u32 s21, s5, s13
	s_and_b32 s22, s20, 31
	s_delay_alu instid0(SALU_CYCLE_1)
	s_cmp_eq_u64 s[22:23], 0
	s_cselect_b32 s28, -1, 0
	s_add_u32 s22, s6, s12
	s_addc_u32 s23, s7, s13
	s_add_u32 s24, s16, s12
	s_addc_u32 s25, s17, s13
	s_or_b32 s29, s24, s22
	s_delay_alu instid0(SALU_CYCLE_1) | instskip(NEXT) | instid1(SALU_CYCLE_1)
	s_and_b32 s29, s29, 31
	s_cmp_eq_u32 s29, 0
	s_cselect_b32 s29, -1, 0
	s_lshl_b64 s[10:11], s[10:11], 16
	s_and_b32 s28, s29, s28
	s_sub_u32 s10, s14, s10
	s_subb_u32 s11, s15, s11
	s_and_b32 s14, s14, 3
	s_mov_b32 s15, s27
	s_delay_alu instid0(SALU_CYCLE_1) | instskip(NEXT) | instid1(SALU_CYCLE_1)
	s_or_b64 s[14:15], s[26:27], s[14:15]
	s_cmp_eq_u64 s[14:15], 0
	s_cselect_b32 s14, -1, 0
	s_delay_alu instid0(SALU_CYCLE_1) | instskip(NEXT) | instid1(SALU_CYCLE_1)
	s_and_b32 s14, s28, s14
	s_and_b32 vcc_lo, exec_lo, s14
	s_mov_b32 s14, -1
	s_cbranch_vccnz .LBB113_45
; %bb.1:
	v_cmp_lt_i64_e64 s14, s[10:11], 1
	s_delay_alu instid0(VALU_DEP_1)
	s_and_b32 vcc_lo, exec_lo, s14
	s_cbranch_vccnz .LBB113_44
; %bb.2:
	s_load_b32 s14, s[0:1], 0xd14
	v_dual_mov_b32 v1, 0 :: v_dual_lshlrev_b32 v2, 3, v0
	v_cmp_gt_u64_e64 s15, 0x10000, s[10:11]
	s_delay_alu instid0(VALU_DEP_2) | instskip(NEXT) | instid1(VALU_DEP_1)
	v_add_co_u32 v29, s26, s2, v2
	v_add_co_ci_u32_e64 v30, null, s3, 0, s26
	v_add_co_u32 v31, s26, s4, v2
	s_delay_alu instid0(VALU_DEP_1) | instskip(SKIP_1) | instid1(VALU_DEP_1)
	v_add_co_ci_u32_e64 v32, null, s5, 0, s26
	v_add_co_u32 v33, s26, s6, v2
	v_add_co_ci_u32_e64 v34, null, s7, 0, s26
	s_waitcnt lgkmcnt(0)
	s_and_b32 s26, s14, 0xffff
	v_add_co_u32 v35, s14, s16, v2
	s_mul_i32 s28, s26, 3
	v_add_co_ci_u32_e64 v36, null, s17, 0, s14
	v_add_co_u32 v45, s28, s28, v0
	s_delay_alu instid0(VALU_DEP_1)
	v_add_co_ci_u32_e64 v46, null, 0, 0, s28
	v_add_co_u32 v53, s28, v0, s26
	v_mov_b32_e32 v3, v1
	s_and_b32 s14, s15, exec_lo
	s_cselect_b32 s15, s11, 0
	s_cselect_b32 s14, s10, 0x10000
	s_lshl_b32 s29, s26, 4
	v_mad_u64_u32 v[4:5], null, s26, 24, v[2:3]
	v_add_co_u32 v2, s29, s29, v2
	s_delay_alu instid0(VALU_DEP_1) | instskip(SKIP_2) | instid1(VALU_DEP_4)
	v_add_co_ci_u32_e64 v3, null, 0, 0, s29
	s_lshl_b32 s27, s26, 1
	v_add_co_ci_u32_e64 v56, null, 0, 0, s28
	v_add_co_u32 v37, vcc_lo, s2, v4
	v_add_co_ci_u32_e32 v38, vcc_lo, s3, v5, vcc_lo
	v_add_co_u32 v39, vcc_lo, s4, v4
	v_add_co_ci_u32_e32 v40, vcc_lo, s5, v5, vcc_lo
	;; [unrolled: 2-line block ×7, first 2 shown]
	v_add_co_u32 v54, vcc_lo, s16, v2
	v_lshlrev_b32_e32 v2, 3, v53
	v_add_co_u32 v57, s27, s27, v0
	v_add_co_ci_u32_e32 v55, vcc_lo, s17, v3, vcc_lo
	s_delay_alu instid0(VALU_DEP_3) | instskip(NEXT) | instid1(VALU_DEP_1)
	v_add_co_u32 v59, s2, s2, v2
	v_add_co_ci_u32_e64 v60, null, s3, 0, s2
	v_add_co_u32 v61, s2, s4, v2
	s_delay_alu instid0(VALU_DEP_1) | instskip(SKIP_1) | instid1(VALU_DEP_1)
	v_add_co_ci_u32_e64 v62, null, s5, 0, s2
	v_add_co_u32 v63, s2, s6, v2
	v_add_co_ci_u32_e64 v64, null, s7, 0, s2
	v_add_co_u32 v65, s2, s16, v2
	v_add_co_ci_u32_e64 v58, null, 0, 0, s27
	v_add_co_ci_u32_e64 v66, null, s17, 0, s2
	s_lshl_b32 s7, s26, 2
	s_lshl_b32 s26, s26, 5
	s_mov_b64 s[16:17], 0
	s_branch .LBB113_4
.LBB113_3:                              ;   in Loop: Header=BB113_4 Depth=1
	s_or_b32 exec_lo, exec_lo, s2
	v_add_co_u32 v29, vcc_lo, v29, s26
	v_add_co_ci_u32_e32 v30, vcc_lo, 0, v30, vcc_lo
	v_add_co_u32 v31, vcc_lo, v31, s26
	v_add_co_ci_u32_e32 v32, vcc_lo, 0, v32, vcc_lo
	;; [unrolled: 2-line block ×13, first 2 shown]
	s_add_u32 s16, s16, s7
	v_add_co_u32 v61, vcc_lo, v61, s26
	s_addc_u32 s17, s17, 0
	v_add_co_ci_u32_e32 v62, vcc_lo, 0, v62, vcc_lo
	v_cmp_lt_i64_e64 s2, s[16:17], s[10:11]
	v_cmp_gt_u64_e64 s3, 0x10000, s[16:17]
	v_add_co_u32 v63, vcc_lo, v63, s26
	v_add_co_ci_u32_e32 v64, vcc_lo, 0, v64, vcc_lo
	v_add_co_u32 v65, vcc_lo, v65, s26
	v_add_co_ci_u32_e32 v66, vcc_lo, 0, v66, vcc_lo
	s_and_b32 s2, s2, s3
	s_delay_alu instid0(SALU_CYCLE_1)
	s_and_b32 vcc_lo, exec_lo, s2
	s_cbranch_vccz .LBB113_44
.LBB113_4:                              ; =>This Inner Loop Header: Depth=1
	v_add_co_u32 v2, s2, v0, s16
	s_delay_alu instid0(VALU_DEP_1) | instskip(SKIP_2) | instid1(VALU_DEP_2)
	v_add_co_ci_u32_e64 v3, null, 0, s17, s2
	v_mov_b32_e32 v13, 0
	v_mov_b32_e32 v14, 0
	;; [unrolled: 1-line block ×3, first 2 shown]
	s_delay_alu instid0(VALU_DEP_4) | instskip(NEXT) | instid1(VALU_DEP_3)
	v_cmp_gt_u64_e64 s5, s[14:15], v[2:3]
	v_dual_mov_b32 v3, v13 :: v_dual_mov_b32 v4, v14
	v_mov_b32_e32 v12, v14
	s_delay_alu instid0(VALU_DEP_3)
	s_and_saveexec_b32 s2, s5
	s_cbranch_execz .LBB113_6
; %bb.5:                                ;   in Loop: Header=BB113_4 Depth=1
	v_add_co_u32 v2, vcc_lo, v29, s12
	v_add_co_ci_u32_e32 v3, vcc_lo, s13, v30, vcc_lo
	v_add_co_u32 v5, vcc_lo, v31, s12
	v_add_co_ci_u32_e32 v6, vcc_lo, s13, v32, vcc_lo
	global_load_b64 v[3:4], v[2:3], off
	global_load_b64 v[11:12], v[5:6], off
.LBB113_6:                              ;   in Loop: Header=BB113_4 Depth=1
	s_or_b32 exec_lo, exec_lo, s2
	s_and_saveexec_b32 s2, s5
	s_cbranch_execz .LBB113_8
; %bb.7:                                ;   in Loop: Header=BB113_4 Depth=1
	v_add_co_u32 v5, vcc_lo, v33, s12
	v_add_co_ci_u32_e32 v6, vcc_lo, s13, v34, vcc_lo
	global_load_b64 v[13:14], v[5:6], off
.LBB113_8:                              ;   in Loop: Header=BB113_4 Depth=1
	s_or_b32 exec_lo, exec_lo, s2
	v_add_co_u32 v5, vcc_lo, v53, s16
	v_add_co_ci_u32_e32 v6, vcc_lo, s17, v56, vcc_lo
	v_mov_b32_e32 v27, 0
	v_mov_b32_e32 v28, 0
	s_delay_alu instid0(VALU_DEP_2) | instskip(NEXT) | instid1(VALU_DEP_4)
	v_mov_b32_e32 v21, v27
	v_cmp_gt_u64_e64 s2, s[14:15], v[5:6]
	s_delay_alu instid0(VALU_DEP_3) | instskip(SKIP_1) | instid1(VALU_DEP_3)
	v_dual_mov_b32 v5, v27 :: v_dual_mov_b32 v6, v28
	v_mov_b32_e32 v22, v28
	s_and_saveexec_b32 s3, s2
	s_cbranch_execz .LBB113_10
; %bb.9:                                ;   in Loop: Header=BB113_4 Depth=1
	v_add_co_u32 v5, vcc_lo, v59, s12
	v_add_co_ci_u32_e32 v6, vcc_lo, s13, v60, vcc_lo
	v_add_co_u32 v7, vcc_lo, v61, s12
	v_add_co_ci_u32_e32 v8, vcc_lo, s13, v62, vcc_lo
	global_load_b64 v[5:6], v[5:6], off
	global_load_b64 v[21:22], v[7:8], off
.LBB113_10:                             ;   in Loop: Header=BB113_4 Depth=1
	s_or_b32 exec_lo, exec_lo, s3
	s_and_saveexec_b32 s3, s2
	s_cbranch_execz .LBB113_12
; %bb.11:                               ;   in Loop: Header=BB113_4 Depth=1
	v_add_co_u32 v7, vcc_lo, v63, s12
	v_add_co_ci_u32_e32 v8, vcc_lo, s13, v64, vcc_lo
	global_load_b64 v[27:28], v[7:8], off
.LBB113_12:                             ;   in Loop: Header=BB113_4 Depth=1
	s_or_b32 exec_lo, exec_lo, s3
	v_add_co_u32 v7, vcc_lo, v57, s16
	v_add_co_ci_u32_e32 v8, vcc_lo, s17, v58, vcc_lo
	v_mov_b32_e32 v25, 0
	v_mov_b32_e32 v26, 0
	s_delay_alu instid0(VALU_DEP_2) | instskip(NEXT) | instid1(VALU_DEP_4)
	v_mov_b32_e32 v23, v25
	v_cmp_gt_u64_e64 s3, s[14:15], v[7:8]
	s_delay_alu instid0(VALU_DEP_3) | instskip(SKIP_1) | instid1(VALU_DEP_3)
	v_dual_mov_b32 v7, v25 :: v_dual_mov_b32 v8, v26
	v_mov_b32_e32 v24, v26
	s_and_saveexec_b32 s4, s3
	s_cbranch_execz .LBB113_14
; %bb.13:                               ;   in Loop: Header=BB113_4 Depth=1
	v_add_co_u32 v7, vcc_lo, v47, s12
	v_add_co_ci_u32_e32 v8, vcc_lo, s13, v48, vcc_lo
	v_add_co_u32 v9, vcc_lo, v49, s12
	v_add_co_ci_u32_e32 v10, vcc_lo, s13, v50, vcc_lo
	global_load_b64 v[7:8], v[7:8], off
	global_load_b64 v[23:24], v[9:10], off
.LBB113_14:                             ;   in Loop: Header=BB113_4 Depth=1
	s_or_b32 exec_lo, exec_lo, s4
	s_and_saveexec_b32 s4, s3
	s_cbranch_execz .LBB113_16
; %bb.15:                               ;   in Loop: Header=BB113_4 Depth=1
	v_add_co_u32 v9, vcc_lo, v51, s12
	v_add_co_ci_u32_e32 v10, vcc_lo, s13, v52, vcc_lo
	global_load_b64 v[25:26], v[9:10], off
.LBB113_16:                             ;   in Loop: Header=BB113_4 Depth=1
	s_or_b32 exec_lo, exec_lo, s4
	v_add_co_u32 v9, vcc_lo, v45, s16
	v_add_co_ci_u32_e32 v10, vcc_lo, s17, v46, vcc_lo
	v_mov_b32_e32 v19, 0
	v_mov_b32_e32 v20, 0
	s_delay_alu instid0(VALU_DEP_2) | instskip(NEXT) | instid1(VALU_DEP_4)
	v_mov_b32_e32 v17, v19
	v_cmp_gt_u64_e64 s4, s[14:15], v[9:10]
	s_delay_alu instid0(VALU_DEP_3) | instskip(SKIP_1) | instid1(VALU_DEP_3)
	v_dual_mov_b32 v9, v19 :: v_dual_mov_b32 v10, v20
	v_mov_b32_e32 v18, v20
	s_and_saveexec_b32 s6, s4
	s_cbranch_execz .LBB113_18
; %bb.17:                               ;   in Loop: Header=BB113_4 Depth=1
	v_add_co_u32 v9, vcc_lo, v37, s12
	v_add_co_ci_u32_e32 v10, vcc_lo, s13, v38, vcc_lo
	v_add_co_u32 v15, vcc_lo, v39, s12
	v_add_co_ci_u32_e32 v16, vcc_lo, s13, v40, vcc_lo
	global_load_b64 v[9:10], v[9:10], off
	global_load_b64 v[17:18], v[15:16], off
.LBB113_18:                             ;   in Loop: Header=BB113_4 Depth=1
	s_or_b32 exec_lo, exec_lo, s6
	s_and_saveexec_b32 s6, s4
	s_cbranch_execz .LBB113_20
; %bb.19:                               ;   in Loop: Header=BB113_4 Depth=1
	v_add_co_u32 v15, vcc_lo, v41, s12
	v_add_co_ci_u32_e32 v16, vcc_lo, s13, v42, vcc_lo
	global_load_b64 v[19:20], v[15:16], off
.LBB113_20:                             ;   in Loop: Header=BB113_4 Depth=1
	s_or_b32 exec_lo, exec_lo, s6
	s_waitcnt vmcnt(0)
	v_or_b32_e32 v2, v22, v28
                                        ; implicit-def: $vgpr15_vgpr16
	s_mov_b32 s6, exec_lo
	s_delay_alu instid0(VALU_DEP_1)
	v_cmpx_ne_u64_e32 0, v[1:2]
	s_xor_b32 s27, exec_lo, s6
	s_cbranch_execz .LBB113_22
; %bb.21:                               ;   in Loop: Header=BB113_4 Depth=1
	v_ashrrev_i32_e32 v2, 31, v28
	s_delay_alu instid0(VALU_DEP_1) | instskip(SKIP_1) | instid1(VALU_DEP_2)
	v_add_co_u32 v15, vcc_lo, v27, v2
	v_add_co_ci_u32_e32 v16, vcc_lo, v28, v2, vcc_lo
	v_xor_b32_e32 v69, v15, v2
	s_delay_alu instid0(VALU_DEP_2) | instskip(NEXT) | instid1(VALU_DEP_2)
	v_xor_b32_e32 v70, v16, v2
	v_cvt_f32_u32_e32 v15, v69
	v_sub_co_u32 v71, vcc_lo, 0, v69
	s_delay_alu instid0(VALU_DEP_3) | instskip(SKIP_1) | instid1(VALU_DEP_2)
	v_cvt_f32_u32_e32 v16, v70
	v_sub_co_ci_u32_e32 v72, vcc_lo, 0, v70, vcc_lo
	v_fmac_f32_e32 v15, 0x4f800000, v16
	s_delay_alu instid0(VALU_DEP_1) | instskip(SKIP_2) | instid1(VALU_DEP_1)
	v_rcp_f32_e32 v15, v15
	s_waitcnt_depctr 0xfff
	v_mul_f32_e32 v15, 0x5f7ffffc, v15
	v_mul_f32_e32 v16, 0x2f800000, v15
	s_delay_alu instid0(VALU_DEP_1) | instskip(NEXT) | instid1(VALU_DEP_1)
	v_trunc_f32_e32 v16, v16
	v_fmac_f32_e32 v15, 0xcf800000, v16
	v_cvt_u32_f32_e32 v73, v16
	s_delay_alu instid0(VALU_DEP_2) | instskip(NEXT) | instid1(VALU_DEP_2)
	v_cvt_u32_f32_e32 v74, v15
	v_mul_lo_u32 v27, v71, v73
	s_delay_alu instid0(VALU_DEP_2) | instskip(SKIP_1) | instid1(VALU_DEP_1)
	v_mul_lo_u32 v28, v72, v74
	v_mad_u64_u32 v[15:16], null, v71, v74, 0
	v_add3_u32 v75, v16, v27, v28
	s_delay_alu instid0(VALU_DEP_2) | instskip(SKIP_1) | instid1(VALU_DEP_3)
	v_mul_hi_u32 v76, v74, v15
	v_mad_u64_u32 v[67:68], null, v73, v15, 0
	v_mad_u64_u32 v[27:28], null, v74, v75, 0
	;; [unrolled: 1-line block ×3, first 2 shown]
	s_delay_alu instid0(VALU_DEP_2) | instskip(NEXT) | instid1(VALU_DEP_3)
	v_add_co_u32 v27, vcc_lo, v76, v27
	v_add_co_ci_u32_e32 v28, vcc_lo, 0, v28, vcc_lo
	s_delay_alu instid0(VALU_DEP_2) | instskip(NEXT) | instid1(VALU_DEP_2)
	v_add_co_u32 v27, vcc_lo, v27, v67
	v_add_co_ci_u32_e32 v27, vcc_lo, v28, v68, vcc_lo
	v_add_co_ci_u32_e32 v16, vcc_lo, 0, v16, vcc_lo
	s_delay_alu instid0(VALU_DEP_2) | instskip(NEXT) | instid1(VALU_DEP_2)
	v_add_co_u32 v15, vcc_lo, v27, v15
	v_add_co_ci_u32_e32 v16, vcc_lo, 0, v16, vcc_lo
	s_delay_alu instid0(VALU_DEP_2) | instskip(NEXT) | instid1(VALU_DEP_2)
	v_add_co_u32 v74, vcc_lo, v74, v15
	v_add_co_ci_u32_e32 v73, vcc_lo, v73, v16, vcc_lo
	s_delay_alu instid0(VALU_DEP_2) | instskip(SKIP_1) | instid1(VALU_DEP_3)
	v_mul_lo_u32 v27, v72, v74
	v_mad_u64_u32 v[15:16], null, v71, v74, 0
	v_mul_lo_u32 v28, v71, v73
	s_delay_alu instid0(VALU_DEP_2) | instskip(SKIP_1) | instid1(VALU_DEP_3)
	v_mul_hi_u32 v72, v74, v15
	v_mad_u64_u32 v[67:68], null, v73, v15, 0
	v_add3_u32 v71, v16, v28, v27
	s_delay_alu instid0(VALU_DEP_1) | instskip(SKIP_2) | instid1(VALU_DEP_3)
	v_mad_u64_u32 v[27:28], null, v74, v71, 0
	v_mad_u64_u32 v[15:16], null, v73, v71, 0
	v_ashrrev_i32_e32 v71, 31, v22
	v_add_co_u32 v27, vcc_lo, v72, v27
	s_delay_alu instid0(VALU_DEP_4) | instskip(NEXT) | instid1(VALU_DEP_3)
	v_add_co_ci_u32_e32 v28, vcc_lo, 0, v28, vcc_lo
	v_xor_b32_e32 v2, v71, v2
	s_delay_alu instid0(VALU_DEP_3) | instskip(NEXT) | instid1(VALU_DEP_3)
	v_add_co_u32 v27, vcc_lo, v27, v67
	v_add_co_ci_u32_e32 v27, vcc_lo, v28, v68, vcc_lo
	v_add_co_ci_u32_e32 v16, vcc_lo, 0, v16, vcc_lo
	v_add_co_u32 v21, vcc_lo, v21, v71
	v_add_co_ci_u32_e32 v22, vcc_lo, v22, v71, vcc_lo
	s_delay_alu instid0(VALU_DEP_4) | instskip(NEXT) | instid1(VALU_DEP_4)
	v_add_co_u32 v15, vcc_lo, v27, v15
	v_add_co_ci_u32_e32 v16, vcc_lo, 0, v16, vcc_lo
	s_delay_alu instid0(VALU_DEP_4) | instskip(NEXT) | instid1(VALU_DEP_3)
	v_xor_b32_e32 v67, v21, v71
	v_add_co_u32 v27, vcc_lo, v74, v15
	s_delay_alu instid0(VALU_DEP_3) | instskip(SKIP_1) | instid1(VALU_DEP_3)
	v_add_co_ci_u32_e32 v68, vcc_lo, v73, v16, vcc_lo
	v_xor_b32_e32 v72, v22, v71
	v_mul_hi_u32 v73, v67, v27
	s_delay_alu instid0(VALU_DEP_3) | instskip(NEXT) | instid1(VALU_DEP_3)
	v_mad_u64_u32 v[15:16], null, v67, v68, 0
	v_mad_u64_u32 v[21:22], null, v72, v27, 0
	;; [unrolled: 1-line block ×3, first 2 shown]
	s_delay_alu instid0(VALU_DEP_3) | instskip(NEXT) | instid1(VALU_DEP_4)
	v_add_co_u32 v15, vcc_lo, v73, v15
	v_add_co_ci_u32_e32 v16, vcc_lo, 0, v16, vcc_lo
	s_delay_alu instid0(VALU_DEP_2) | instskip(NEXT) | instid1(VALU_DEP_2)
	v_add_co_u32 v15, vcc_lo, v15, v21
	v_add_co_ci_u32_e32 v15, vcc_lo, v16, v22, vcc_lo
	v_add_co_ci_u32_e32 v16, vcc_lo, 0, v28, vcc_lo
	s_delay_alu instid0(VALU_DEP_2) | instskip(NEXT) | instid1(VALU_DEP_2)
	v_add_co_u32 v21, vcc_lo, v15, v27
	v_add_co_ci_u32_e32 v22, vcc_lo, 0, v16, vcc_lo
	s_delay_alu instid0(VALU_DEP_2) | instskip(SKIP_1) | instid1(VALU_DEP_3)
	v_mul_lo_u32 v27, v70, v21
	v_mad_u64_u32 v[15:16], null, v69, v21, 0
	v_mul_lo_u32 v28, v69, v22
	s_delay_alu instid0(VALU_DEP_2) | instskip(NEXT) | instid1(VALU_DEP_2)
	v_sub_co_u32 v15, vcc_lo, v67, v15
	v_add3_u32 v16, v16, v28, v27
	s_delay_alu instid0(VALU_DEP_1) | instskip(NEXT) | instid1(VALU_DEP_1)
	v_sub_nc_u32_e32 v27, v72, v16
	v_sub_co_ci_u32_e64 v27, s6, v27, v70, vcc_lo
	v_add_co_u32 v28, s6, v21, 2
	s_delay_alu instid0(VALU_DEP_1) | instskip(SKIP_3) | instid1(VALU_DEP_3)
	v_add_co_ci_u32_e64 v67, s6, 0, v22, s6
	v_sub_co_u32 v68, s6, v15, v69
	v_sub_co_ci_u32_e32 v16, vcc_lo, v72, v16, vcc_lo
	v_subrev_co_ci_u32_e64 v27, s6, 0, v27, s6
	v_cmp_ge_u32_e32 vcc_lo, v68, v69
	s_delay_alu instid0(VALU_DEP_3) | instskip(SKIP_1) | instid1(VALU_DEP_4)
	v_cmp_eq_u32_e64 s6, v16, v70
	v_cndmask_b32_e64 v68, 0, -1, vcc_lo
	v_cmp_ge_u32_e32 vcc_lo, v27, v70
	v_cndmask_b32_e64 v72, 0, -1, vcc_lo
	v_cmp_ge_u32_e32 vcc_lo, v15, v69
	;; [unrolled: 2-line block ×3, first 2 shown]
	v_cndmask_b32_e64 v69, 0, -1, vcc_lo
	v_cmp_eq_u32_e32 vcc_lo, v27, v70
	s_delay_alu instid0(VALU_DEP_2) | instskip(SKIP_3) | instid1(VALU_DEP_3)
	v_cndmask_b32_e64 v15, v69, v15, s6
	v_cndmask_b32_e32 v27, v72, v68, vcc_lo
	v_add_co_u32 v68, vcc_lo, v21, 1
	v_add_co_ci_u32_e32 v72, vcc_lo, 0, v22, vcc_lo
	v_cmp_ne_u32_e32 vcc_lo, 0, v27
	s_delay_alu instid0(VALU_DEP_2) | instskip(NEXT) | instid1(VALU_DEP_4)
	v_cndmask_b32_e32 v16, v72, v67, vcc_lo
	v_cndmask_b32_e32 v27, v68, v28, vcc_lo
	v_cmp_ne_u32_e32 vcc_lo, 0, v15
	s_delay_alu instid0(VALU_DEP_2) | instskip(NEXT) | instid1(VALU_DEP_1)
	v_dual_cndmask_b32 v15, v22, v16 :: v_dual_cndmask_b32 v16, v21, v27
                                        ; implicit-def: $vgpr27_vgpr28
	v_xor_b32_e32 v21, v15, v2
	s_delay_alu instid0(VALU_DEP_2) | instskip(NEXT) | instid1(VALU_DEP_1)
	v_xor_b32_e32 v16, v16, v2
	v_sub_co_u32 v15, vcc_lo, v16, v2
	s_delay_alu instid0(VALU_DEP_3)
	v_sub_co_ci_u32_e32 v16, vcc_lo, v21, v2, vcc_lo
                                        ; implicit-def: $vgpr21_vgpr22
.LBB113_22:                             ;   in Loop: Header=BB113_4 Depth=1
	s_and_not1_saveexec_b32 s6, s27
	s_cbranch_execz .LBB113_24
; %bb.23:                               ;   in Loop: Header=BB113_4 Depth=1
	v_cvt_f32_u32_e32 v2, v27
	v_sub_nc_u32_e32 v15, 0, v27
	s_delay_alu instid0(VALU_DEP_2) | instskip(SKIP_2) | instid1(VALU_DEP_1)
	v_rcp_iflag_f32_e32 v2, v2
	s_waitcnt_depctr 0xfff
	v_mul_f32_e32 v2, 0x4f7ffffe, v2
	v_cvt_u32_f32_e32 v2, v2
	s_delay_alu instid0(VALU_DEP_1) | instskip(NEXT) | instid1(VALU_DEP_1)
	v_mul_lo_u32 v15, v15, v2
	v_mul_hi_u32 v15, v2, v15
	s_delay_alu instid0(VALU_DEP_1) | instskip(NEXT) | instid1(VALU_DEP_1)
	v_add_nc_u32_e32 v2, v2, v15
	v_mul_hi_u32 v2, v21, v2
	s_delay_alu instid0(VALU_DEP_1) | instskip(SKIP_1) | instid1(VALU_DEP_2)
	v_mul_lo_u32 v15, v2, v27
	v_add_nc_u32_e32 v16, 1, v2
	v_sub_nc_u32_e32 v15, v21, v15
	s_delay_alu instid0(VALU_DEP_1) | instskip(SKIP_1) | instid1(VALU_DEP_2)
	v_sub_nc_u32_e32 v21, v15, v27
	v_cmp_ge_u32_e32 vcc_lo, v15, v27
	v_dual_cndmask_b32 v15, v15, v21 :: v_dual_cndmask_b32 v2, v2, v16
	s_delay_alu instid0(VALU_DEP_1) | instskip(NEXT) | instid1(VALU_DEP_2)
	v_cmp_ge_u32_e32 vcc_lo, v15, v27
	v_add_nc_u32_e32 v16, 1, v2
	s_delay_alu instid0(VALU_DEP_1)
	v_dual_cndmask_b32 v15, v2, v16 :: v_dual_mov_b32 v16, v1
.LBB113_24:                             ;   in Loop: Header=BB113_4 Depth=1
	s_or_b32 exec_lo, exec_lo, s6
	v_or_b32_e32 v2, v24, v26
                                        ; implicit-def: $vgpr21_vgpr22
	s_mov_b32 s6, exec_lo
	s_delay_alu instid0(VALU_DEP_1)
	v_cmpx_ne_u64_e32 0, v[1:2]
	s_xor_b32 s27, exec_lo, s6
	s_cbranch_execz .LBB113_26
; %bb.25:                               ;   in Loop: Header=BB113_4 Depth=1
	v_ashrrev_i32_e32 v2, 31, v26
	s_delay_alu instid0(VALU_DEP_1) | instskip(SKIP_1) | instid1(VALU_DEP_2)
	v_add_co_u32 v21, vcc_lo, v25, v2
	v_add_co_ci_u32_e32 v22, vcc_lo, v26, v2, vcc_lo
	v_xor_b32_e32 v67, v21, v2
	s_delay_alu instid0(VALU_DEP_2) | instskip(NEXT) | instid1(VALU_DEP_2)
	v_xor_b32_e32 v68, v22, v2
	v_cvt_f32_u32_e32 v21, v67
	v_sub_co_u32 v69, vcc_lo, 0, v67
	s_delay_alu instid0(VALU_DEP_3) | instskip(SKIP_1) | instid1(VALU_DEP_2)
	v_cvt_f32_u32_e32 v22, v68
	v_sub_co_ci_u32_e32 v70, vcc_lo, 0, v68, vcc_lo
	v_fmac_f32_e32 v21, 0x4f800000, v22
	s_delay_alu instid0(VALU_DEP_1) | instskip(SKIP_2) | instid1(VALU_DEP_1)
	v_rcp_f32_e32 v21, v21
	s_waitcnt_depctr 0xfff
	v_mul_f32_e32 v21, 0x5f7ffffc, v21
	v_mul_f32_e32 v22, 0x2f800000, v21
	s_delay_alu instid0(VALU_DEP_1) | instskip(NEXT) | instid1(VALU_DEP_1)
	v_trunc_f32_e32 v22, v22
	v_fmac_f32_e32 v21, 0xcf800000, v22
	v_cvt_u32_f32_e32 v71, v22
	s_delay_alu instid0(VALU_DEP_2) | instskip(NEXT) | instid1(VALU_DEP_2)
	v_cvt_u32_f32_e32 v72, v21
	v_mul_lo_u32 v25, v69, v71
	s_delay_alu instid0(VALU_DEP_2) | instskip(SKIP_1) | instid1(VALU_DEP_1)
	v_mul_lo_u32 v26, v70, v72
	v_mad_u64_u32 v[21:22], null, v69, v72, 0
	v_add3_u32 v73, v22, v25, v26
	s_delay_alu instid0(VALU_DEP_2) | instskip(SKIP_1) | instid1(VALU_DEP_3)
	v_mul_hi_u32 v74, v72, v21
	v_mad_u64_u32 v[27:28], null, v71, v21, 0
	v_mad_u64_u32 v[25:26], null, v72, v73, 0
	;; [unrolled: 1-line block ×3, first 2 shown]
	s_delay_alu instid0(VALU_DEP_2) | instskip(NEXT) | instid1(VALU_DEP_3)
	v_add_co_u32 v25, vcc_lo, v74, v25
	v_add_co_ci_u32_e32 v26, vcc_lo, 0, v26, vcc_lo
	s_delay_alu instid0(VALU_DEP_2) | instskip(NEXT) | instid1(VALU_DEP_2)
	v_add_co_u32 v25, vcc_lo, v25, v27
	v_add_co_ci_u32_e32 v25, vcc_lo, v26, v28, vcc_lo
	v_add_co_ci_u32_e32 v22, vcc_lo, 0, v22, vcc_lo
	s_delay_alu instid0(VALU_DEP_2) | instskip(NEXT) | instid1(VALU_DEP_2)
	v_add_co_u32 v21, vcc_lo, v25, v21
	v_add_co_ci_u32_e32 v22, vcc_lo, 0, v22, vcc_lo
	s_delay_alu instid0(VALU_DEP_2) | instskip(NEXT) | instid1(VALU_DEP_2)
	v_add_co_u32 v72, vcc_lo, v72, v21
	v_add_co_ci_u32_e32 v71, vcc_lo, v71, v22, vcc_lo
	s_delay_alu instid0(VALU_DEP_2) | instskip(SKIP_1) | instid1(VALU_DEP_3)
	v_mul_lo_u32 v25, v70, v72
	v_mad_u64_u32 v[21:22], null, v69, v72, 0
	v_mul_lo_u32 v26, v69, v71
	s_delay_alu instid0(VALU_DEP_2) | instskip(SKIP_1) | instid1(VALU_DEP_3)
	v_mul_hi_u32 v70, v72, v21
	v_mad_u64_u32 v[27:28], null, v71, v21, 0
	v_add3_u32 v69, v22, v26, v25
	s_delay_alu instid0(VALU_DEP_1) | instskip(SKIP_2) | instid1(VALU_DEP_3)
	v_mad_u64_u32 v[25:26], null, v72, v69, 0
	v_mad_u64_u32 v[21:22], null, v71, v69, 0
	v_ashrrev_i32_e32 v69, 31, v24
	v_add_co_u32 v25, vcc_lo, v70, v25
	s_delay_alu instid0(VALU_DEP_4) | instskip(NEXT) | instid1(VALU_DEP_3)
	v_add_co_ci_u32_e32 v26, vcc_lo, 0, v26, vcc_lo
	v_xor_b32_e32 v2, v69, v2
	s_delay_alu instid0(VALU_DEP_3) | instskip(NEXT) | instid1(VALU_DEP_3)
	v_add_co_u32 v25, vcc_lo, v25, v27
	v_add_co_ci_u32_e32 v25, vcc_lo, v26, v28, vcc_lo
	v_add_co_ci_u32_e32 v22, vcc_lo, 0, v22, vcc_lo
	v_add_co_u32 v23, vcc_lo, v23, v69
	v_add_co_ci_u32_e32 v24, vcc_lo, v24, v69, vcc_lo
	s_delay_alu instid0(VALU_DEP_4) | instskip(NEXT) | instid1(VALU_DEP_4)
	v_add_co_u32 v21, vcc_lo, v25, v21
	v_add_co_ci_u32_e32 v22, vcc_lo, 0, v22, vcc_lo
	s_delay_alu instid0(VALU_DEP_4) | instskip(NEXT) | instid1(VALU_DEP_3)
	v_xor_b32_e32 v27, v23, v69
	v_add_co_u32 v25, vcc_lo, v72, v21
	s_delay_alu instid0(VALU_DEP_3) | instskip(SKIP_1) | instid1(VALU_DEP_3)
	v_add_co_ci_u32_e32 v28, vcc_lo, v71, v22, vcc_lo
	v_xor_b32_e32 v70, v24, v69
	v_mul_hi_u32 v71, v27, v25
	s_delay_alu instid0(VALU_DEP_3) | instskip(NEXT) | instid1(VALU_DEP_3)
	v_mad_u64_u32 v[21:22], null, v27, v28, 0
	v_mad_u64_u32 v[23:24], null, v70, v25, 0
	;; [unrolled: 1-line block ×3, first 2 shown]
	s_delay_alu instid0(VALU_DEP_3) | instskip(NEXT) | instid1(VALU_DEP_4)
	v_add_co_u32 v21, vcc_lo, v71, v21
	v_add_co_ci_u32_e32 v22, vcc_lo, 0, v22, vcc_lo
	s_delay_alu instid0(VALU_DEP_2) | instskip(NEXT) | instid1(VALU_DEP_2)
	v_add_co_u32 v21, vcc_lo, v21, v23
	v_add_co_ci_u32_e32 v21, vcc_lo, v22, v24, vcc_lo
	v_add_co_ci_u32_e32 v22, vcc_lo, 0, v26, vcc_lo
	s_delay_alu instid0(VALU_DEP_2) | instskip(NEXT) | instid1(VALU_DEP_2)
	v_add_co_u32 v23, vcc_lo, v21, v25
	v_add_co_ci_u32_e32 v24, vcc_lo, 0, v22, vcc_lo
	s_delay_alu instid0(VALU_DEP_2) | instskip(SKIP_1) | instid1(VALU_DEP_3)
	v_mul_lo_u32 v25, v68, v23
	v_mad_u64_u32 v[21:22], null, v67, v23, 0
	v_mul_lo_u32 v26, v67, v24
	s_delay_alu instid0(VALU_DEP_2) | instskip(NEXT) | instid1(VALU_DEP_2)
	v_sub_co_u32 v21, vcc_lo, v27, v21
	v_add3_u32 v22, v22, v26, v25
	s_delay_alu instid0(VALU_DEP_1) | instskip(NEXT) | instid1(VALU_DEP_1)
	v_sub_nc_u32_e32 v25, v70, v22
	v_sub_co_ci_u32_e64 v25, s6, v25, v68, vcc_lo
	v_add_co_u32 v26, s6, v23, 2
	s_delay_alu instid0(VALU_DEP_1) | instskip(SKIP_3) | instid1(VALU_DEP_3)
	v_add_co_ci_u32_e64 v27, s6, 0, v24, s6
	v_sub_co_u32 v28, s6, v21, v67
	v_sub_co_ci_u32_e32 v22, vcc_lo, v70, v22, vcc_lo
	v_subrev_co_ci_u32_e64 v25, s6, 0, v25, s6
	v_cmp_ge_u32_e32 vcc_lo, v28, v67
	s_delay_alu instid0(VALU_DEP_3) | instskip(SKIP_1) | instid1(VALU_DEP_4)
	v_cmp_eq_u32_e64 s6, v22, v68
	v_cndmask_b32_e64 v28, 0, -1, vcc_lo
	v_cmp_ge_u32_e32 vcc_lo, v25, v68
	v_cndmask_b32_e64 v70, 0, -1, vcc_lo
	v_cmp_ge_u32_e32 vcc_lo, v21, v67
	;; [unrolled: 2-line block ×3, first 2 shown]
	v_cndmask_b32_e64 v67, 0, -1, vcc_lo
	v_cmp_eq_u32_e32 vcc_lo, v25, v68
	s_delay_alu instid0(VALU_DEP_2) | instskip(SKIP_3) | instid1(VALU_DEP_3)
	v_cndmask_b32_e64 v21, v67, v21, s6
	v_cndmask_b32_e32 v25, v70, v28, vcc_lo
	v_add_co_u32 v28, vcc_lo, v23, 1
	v_add_co_ci_u32_e32 v70, vcc_lo, 0, v24, vcc_lo
	v_cmp_ne_u32_e32 vcc_lo, 0, v25
	s_delay_alu instid0(VALU_DEP_2) | instskip(SKIP_1) | instid1(VALU_DEP_2)
	v_dual_cndmask_b32 v22, v70, v27 :: v_dual_cndmask_b32 v25, v28, v26
	v_cmp_ne_u32_e32 vcc_lo, 0, v21
	v_dual_cndmask_b32 v21, v24, v22 :: v_dual_cndmask_b32 v22, v23, v25
                                        ; implicit-def: $vgpr25_vgpr26
	s_delay_alu instid0(VALU_DEP_1) | instskip(NEXT) | instid1(VALU_DEP_2)
	v_xor_b32_e32 v23, v21, v2
	v_xor_b32_e32 v22, v22, v2
	s_delay_alu instid0(VALU_DEP_1) | instskip(NEXT) | instid1(VALU_DEP_3)
	v_sub_co_u32 v21, vcc_lo, v22, v2
	v_sub_co_ci_u32_e32 v22, vcc_lo, v23, v2, vcc_lo
                                        ; implicit-def: $vgpr23_vgpr24
.LBB113_26:                             ;   in Loop: Header=BB113_4 Depth=1
	s_and_not1_saveexec_b32 s6, s27
	s_cbranch_execz .LBB113_28
; %bb.27:                               ;   in Loop: Header=BB113_4 Depth=1
	v_cvt_f32_u32_e32 v2, v25
	v_sub_nc_u32_e32 v21, 0, v25
	s_delay_alu instid0(VALU_DEP_2) | instskip(SKIP_2) | instid1(VALU_DEP_1)
	v_rcp_iflag_f32_e32 v2, v2
	s_waitcnt_depctr 0xfff
	v_mul_f32_e32 v2, 0x4f7ffffe, v2
	v_cvt_u32_f32_e32 v2, v2
	s_delay_alu instid0(VALU_DEP_1) | instskip(NEXT) | instid1(VALU_DEP_1)
	v_mul_lo_u32 v21, v21, v2
	v_mul_hi_u32 v21, v2, v21
	s_delay_alu instid0(VALU_DEP_1) | instskip(NEXT) | instid1(VALU_DEP_1)
	v_add_nc_u32_e32 v2, v2, v21
	v_mul_hi_u32 v2, v23, v2
	s_delay_alu instid0(VALU_DEP_1) | instskip(SKIP_1) | instid1(VALU_DEP_2)
	v_mul_lo_u32 v21, v2, v25
	v_add_nc_u32_e32 v22, 1, v2
	v_sub_nc_u32_e32 v21, v23, v21
	s_delay_alu instid0(VALU_DEP_1) | instskip(SKIP_1) | instid1(VALU_DEP_2)
	v_sub_nc_u32_e32 v23, v21, v25
	v_cmp_ge_u32_e32 vcc_lo, v21, v25
	v_dual_cndmask_b32 v21, v21, v23 :: v_dual_cndmask_b32 v2, v2, v22
	s_delay_alu instid0(VALU_DEP_1) | instskip(NEXT) | instid1(VALU_DEP_2)
	v_cmp_ge_u32_e32 vcc_lo, v21, v25
	v_add_nc_u32_e32 v22, 1, v2
	s_delay_alu instid0(VALU_DEP_1)
	v_dual_cndmask_b32 v21, v2, v22 :: v_dual_mov_b32 v22, v1
.LBB113_28:                             ;   in Loop: Header=BB113_4 Depth=1
	s_or_b32 exec_lo, exec_lo, s6
	v_or_b32_e32 v2, v18, v20
                                        ; implicit-def: $vgpr23_vgpr24
	s_mov_b32 s6, exec_lo
	s_delay_alu instid0(VALU_DEP_1)
	v_cmpx_ne_u64_e32 0, v[1:2]
	s_xor_b32 s27, exec_lo, s6
	s_cbranch_execnz .LBB113_34
; %bb.29:                               ;   in Loop: Header=BB113_4 Depth=1
	s_and_not1_saveexec_b32 s6, s27
	s_cbranch_execnz .LBB113_35
.LBB113_30:                             ;   in Loop: Header=BB113_4 Depth=1
	s_or_b32 exec_lo, exec_lo, s6
	s_and_saveexec_b32 s6, s5
	s_cbranch_execnz .LBB113_36
.LBB113_31:                             ;   in Loop: Header=BB113_4 Depth=1
	s_or_b32 exec_lo, exec_lo, s6
	s_and_saveexec_b32 s5, s2
	s_cbranch_execnz .LBB113_41
.LBB113_32:                             ;   in Loop: Header=BB113_4 Depth=1
	s_or_b32 exec_lo, exec_lo, s5
	s_and_saveexec_b32 s2, s3
	s_cbranch_execnz .LBB113_42
.LBB113_33:                             ;   in Loop: Header=BB113_4 Depth=1
	s_or_b32 exec_lo, exec_lo, s2
	s_and_saveexec_b32 s2, s4
	s_cbranch_execz .LBB113_3
	s_branch .LBB113_43
.LBB113_34:                             ;   in Loop: Header=BB113_4 Depth=1
	v_ashrrev_i32_e32 v2, 31, v20
	s_delay_alu instid0(VALU_DEP_1) | instskip(SKIP_1) | instid1(VALU_DEP_2)
	v_add_co_u32 v19, vcc_lo, v19, v2
	v_add_co_ci_u32_e32 v20, vcc_lo, v20, v2, vcc_lo
	v_xor_b32_e32 v27, v19, v2
	s_delay_alu instid0(VALU_DEP_2) | instskip(NEXT) | instid1(VALU_DEP_2)
	v_xor_b32_e32 v28, v20, v2
	v_cvt_f32_u32_e32 v19, v27
	v_sub_co_u32 v67, vcc_lo, 0, v27
	s_delay_alu instid0(VALU_DEP_3) | instskip(SKIP_1) | instid1(VALU_DEP_2)
	v_cvt_f32_u32_e32 v20, v28
	v_sub_co_ci_u32_e32 v68, vcc_lo, 0, v28, vcc_lo
	v_fmac_f32_e32 v19, 0x4f800000, v20
	s_delay_alu instid0(VALU_DEP_1) | instskip(SKIP_2) | instid1(VALU_DEP_1)
	v_rcp_f32_e32 v19, v19
	s_waitcnt_depctr 0xfff
	v_mul_f32_e32 v19, 0x5f7ffffc, v19
	v_mul_f32_e32 v20, 0x2f800000, v19
	s_delay_alu instid0(VALU_DEP_1) | instskip(NEXT) | instid1(VALU_DEP_1)
	v_trunc_f32_e32 v20, v20
	v_fmac_f32_e32 v19, 0xcf800000, v20
	v_cvt_u32_f32_e32 v69, v20
	s_delay_alu instid0(VALU_DEP_2) | instskip(NEXT) | instid1(VALU_DEP_2)
	v_cvt_u32_f32_e32 v70, v19
	v_mul_lo_u32 v23, v67, v69
	s_delay_alu instid0(VALU_DEP_2) | instskip(SKIP_1) | instid1(VALU_DEP_1)
	v_mul_lo_u32 v24, v68, v70
	v_mad_u64_u32 v[19:20], null, v67, v70, 0
	v_add3_u32 v71, v20, v23, v24
	s_delay_alu instid0(VALU_DEP_2) | instskip(SKIP_1) | instid1(VALU_DEP_3)
	v_mul_hi_u32 v72, v70, v19
	v_mad_u64_u32 v[25:26], null, v69, v19, 0
	v_mad_u64_u32 v[23:24], null, v70, v71, 0
	v_mad_u64_u32 v[19:20], null, v69, v71, 0
	s_delay_alu instid0(VALU_DEP_2) | instskip(NEXT) | instid1(VALU_DEP_3)
	v_add_co_u32 v23, vcc_lo, v72, v23
	v_add_co_ci_u32_e32 v24, vcc_lo, 0, v24, vcc_lo
	s_delay_alu instid0(VALU_DEP_2) | instskip(NEXT) | instid1(VALU_DEP_2)
	v_add_co_u32 v23, vcc_lo, v23, v25
	v_add_co_ci_u32_e32 v23, vcc_lo, v24, v26, vcc_lo
	v_add_co_ci_u32_e32 v20, vcc_lo, 0, v20, vcc_lo
	s_delay_alu instid0(VALU_DEP_2) | instskip(NEXT) | instid1(VALU_DEP_2)
	v_add_co_u32 v19, vcc_lo, v23, v19
	v_add_co_ci_u32_e32 v20, vcc_lo, 0, v20, vcc_lo
	s_delay_alu instid0(VALU_DEP_2) | instskip(NEXT) | instid1(VALU_DEP_2)
	v_add_co_u32 v70, vcc_lo, v70, v19
	v_add_co_ci_u32_e32 v69, vcc_lo, v69, v20, vcc_lo
	s_delay_alu instid0(VALU_DEP_2) | instskip(SKIP_1) | instid1(VALU_DEP_3)
	v_mul_lo_u32 v23, v68, v70
	v_mad_u64_u32 v[19:20], null, v67, v70, 0
	v_mul_lo_u32 v24, v67, v69
	s_delay_alu instid0(VALU_DEP_2) | instskip(SKIP_1) | instid1(VALU_DEP_3)
	v_mul_hi_u32 v68, v70, v19
	v_mad_u64_u32 v[25:26], null, v69, v19, 0
	v_add3_u32 v67, v20, v24, v23
	s_delay_alu instid0(VALU_DEP_1) | instskip(SKIP_2) | instid1(VALU_DEP_3)
	v_mad_u64_u32 v[23:24], null, v70, v67, 0
	v_mad_u64_u32 v[19:20], null, v69, v67, 0
	v_ashrrev_i32_e32 v67, 31, v18
	v_add_co_u32 v23, vcc_lo, v68, v23
	s_delay_alu instid0(VALU_DEP_4) | instskip(NEXT) | instid1(VALU_DEP_3)
	v_add_co_ci_u32_e32 v24, vcc_lo, 0, v24, vcc_lo
	v_xor_b32_e32 v2, v67, v2
	s_delay_alu instid0(VALU_DEP_3) | instskip(NEXT) | instid1(VALU_DEP_3)
	v_add_co_u32 v23, vcc_lo, v23, v25
	v_add_co_ci_u32_e32 v23, vcc_lo, v24, v26, vcc_lo
	v_add_co_ci_u32_e32 v20, vcc_lo, 0, v20, vcc_lo
	v_add_co_u32 v17, vcc_lo, v17, v67
	v_add_co_ci_u32_e32 v18, vcc_lo, v18, v67, vcc_lo
	s_delay_alu instid0(VALU_DEP_4) | instskip(NEXT) | instid1(VALU_DEP_4)
	v_add_co_u32 v19, vcc_lo, v23, v19
	v_add_co_ci_u32_e32 v20, vcc_lo, 0, v20, vcc_lo
	s_delay_alu instid0(VALU_DEP_4) | instskip(NEXT) | instid1(VALU_DEP_3)
	v_xor_b32_e32 v25, v17, v67
	v_add_co_u32 v23, vcc_lo, v70, v19
	s_delay_alu instid0(VALU_DEP_3) | instskip(SKIP_1) | instid1(VALU_DEP_3)
	v_add_co_ci_u32_e32 v26, vcc_lo, v69, v20, vcc_lo
	v_xor_b32_e32 v68, v18, v67
	v_mul_hi_u32 v69, v25, v23
	s_delay_alu instid0(VALU_DEP_3) | instskip(NEXT) | instid1(VALU_DEP_3)
	v_mad_u64_u32 v[17:18], null, v25, v26, 0
	v_mad_u64_u32 v[19:20], null, v68, v23, 0
	;; [unrolled: 1-line block ×3, first 2 shown]
	s_delay_alu instid0(VALU_DEP_3) | instskip(NEXT) | instid1(VALU_DEP_4)
	v_add_co_u32 v17, vcc_lo, v69, v17
	v_add_co_ci_u32_e32 v18, vcc_lo, 0, v18, vcc_lo
	s_delay_alu instid0(VALU_DEP_2) | instskip(NEXT) | instid1(VALU_DEP_2)
	v_add_co_u32 v17, vcc_lo, v17, v19
	v_add_co_ci_u32_e32 v17, vcc_lo, v18, v20, vcc_lo
	v_add_co_ci_u32_e32 v18, vcc_lo, 0, v24, vcc_lo
	s_delay_alu instid0(VALU_DEP_2) | instskip(NEXT) | instid1(VALU_DEP_2)
	v_add_co_u32 v19, vcc_lo, v17, v23
	v_add_co_ci_u32_e32 v20, vcc_lo, 0, v18, vcc_lo
	s_delay_alu instid0(VALU_DEP_2) | instskip(SKIP_1) | instid1(VALU_DEP_3)
	v_mul_lo_u32 v23, v28, v19
	v_mad_u64_u32 v[17:18], null, v27, v19, 0
	v_mul_lo_u32 v24, v27, v20
	s_delay_alu instid0(VALU_DEP_2) | instskip(NEXT) | instid1(VALU_DEP_2)
	v_sub_co_u32 v17, vcc_lo, v25, v17
	v_add3_u32 v18, v18, v24, v23
	s_delay_alu instid0(VALU_DEP_1) | instskip(NEXT) | instid1(VALU_DEP_1)
	v_sub_nc_u32_e32 v23, v68, v18
	v_sub_co_ci_u32_e64 v23, s6, v23, v28, vcc_lo
	v_add_co_u32 v24, s6, v19, 2
	s_delay_alu instid0(VALU_DEP_1) | instskip(SKIP_3) | instid1(VALU_DEP_3)
	v_add_co_ci_u32_e64 v25, s6, 0, v20, s6
	v_sub_co_u32 v26, s6, v17, v27
	v_sub_co_ci_u32_e32 v18, vcc_lo, v68, v18, vcc_lo
	v_subrev_co_ci_u32_e64 v23, s6, 0, v23, s6
	v_cmp_ge_u32_e32 vcc_lo, v26, v27
	s_delay_alu instid0(VALU_DEP_3) | instskip(SKIP_1) | instid1(VALU_DEP_4)
	v_cmp_eq_u32_e64 s6, v18, v28
	v_cndmask_b32_e64 v26, 0, -1, vcc_lo
	v_cmp_ge_u32_e32 vcc_lo, v23, v28
	v_cndmask_b32_e64 v68, 0, -1, vcc_lo
	v_cmp_ge_u32_e32 vcc_lo, v17, v27
	;; [unrolled: 2-line block ×3, first 2 shown]
	v_cndmask_b32_e64 v27, 0, -1, vcc_lo
	v_cmp_eq_u32_e32 vcc_lo, v23, v28
	s_delay_alu instid0(VALU_DEP_2) | instskip(SKIP_3) | instid1(VALU_DEP_3)
	v_cndmask_b32_e64 v17, v27, v17, s6
	v_cndmask_b32_e32 v23, v68, v26, vcc_lo
	v_add_co_u32 v26, vcc_lo, v19, 1
	v_add_co_ci_u32_e32 v68, vcc_lo, 0, v20, vcc_lo
	v_cmp_ne_u32_e32 vcc_lo, 0, v23
	s_delay_alu instid0(VALU_DEP_2) | instskip(SKIP_1) | instid1(VALU_DEP_2)
	v_dual_cndmask_b32 v18, v68, v25 :: v_dual_cndmask_b32 v23, v26, v24
	v_cmp_ne_u32_e32 vcc_lo, 0, v17
	v_dual_cndmask_b32 v17, v20, v18 :: v_dual_cndmask_b32 v18, v19, v23
                                        ; implicit-def: $vgpr19_vgpr20
	s_delay_alu instid0(VALU_DEP_1) | instskip(NEXT) | instid1(VALU_DEP_2)
	v_xor_b32_e32 v17, v17, v2
	v_xor_b32_e32 v18, v18, v2
	s_delay_alu instid0(VALU_DEP_1) | instskip(NEXT) | instid1(VALU_DEP_3)
	v_sub_co_u32 v23, vcc_lo, v18, v2
	v_sub_co_ci_u32_e32 v24, vcc_lo, v17, v2, vcc_lo
                                        ; implicit-def: $vgpr17_vgpr18
	s_and_not1_saveexec_b32 s6, s27
	s_cbranch_execz .LBB113_30
.LBB113_35:                             ;   in Loop: Header=BB113_4 Depth=1
	v_cvt_f32_u32_e32 v2, v19
	v_sub_nc_u32_e32 v18, 0, v19
	v_mov_b32_e32 v24, v1
	s_delay_alu instid0(VALU_DEP_3) | instskip(SKIP_2) | instid1(VALU_DEP_1)
	v_rcp_iflag_f32_e32 v2, v2
	s_waitcnt_depctr 0xfff
	v_mul_f32_e32 v2, 0x4f7ffffe, v2
	v_cvt_u32_f32_e32 v2, v2
	s_delay_alu instid0(VALU_DEP_1) | instskip(NEXT) | instid1(VALU_DEP_1)
	v_mul_lo_u32 v18, v18, v2
	v_mul_hi_u32 v18, v2, v18
	s_delay_alu instid0(VALU_DEP_1) | instskip(NEXT) | instid1(VALU_DEP_1)
	v_add_nc_u32_e32 v2, v2, v18
	v_mul_hi_u32 v2, v17, v2
	s_delay_alu instid0(VALU_DEP_1) | instskip(NEXT) | instid1(VALU_DEP_1)
	v_mul_lo_u32 v18, v2, v19
	v_sub_nc_u32_e32 v17, v17, v18
	v_add_nc_u32_e32 v18, 1, v2
	s_delay_alu instid0(VALU_DEP_2) | instskip(SKIP_1) | instid1(VALU_DEP_2)
	v_sub_nc_u32_e32 v20, v17, v19
	v_cmp_ge_u32_e32 vcc_lo, v17, v19
	v_dual_cndmask_b32 v17, v17, v20 :: v_dual_cndmask_b32 v2, v2, v18
	s_delay_alu instid0(VALU_DEP_1) | instskip(NEXT) | instid1(VALU_DEP_2)
	v_cmp_ge_u32_e32 vcc_lo, v17, v19
	v_add_nc_u32_e32 v18, 1, v2
	s_delay_alu instid0(VALU_DEP_1)
	v_cndmask_b32_e32 v23, v2, v18, vcc_lo
	s_or_b32 exec_lo, exec_lo, s6
	s_and_saveexec_b32 s6, s5
	s_cbranch_execz .LBB113_31
.LBB113_36:                             ;   in Loop: Header=BB113_4 Depth=1
	v_or_b32_e32 v2, v12, v14
                                        ; implicit-def: $vgpr17_vgpr18
	s_mov_b32 s5, exec_lo
	s_delay_alu instid0(VALU_DEP_1)
	v_cmpx_ne_u64_e32 0, v[1:2]
	s_xor_b32 s27, exec_lo, s5
	s_cbranch_execz .LBB113_38
; %bb.37:                               ;   in Loop: Header=BB113_4 Depth=1
	v_ashrrev_i32_e32 v2, 31, v14
	s_delay_alu instid0(VALU_DEP_1) | instskip(SKIP_1) | instid1(VALU_DEP_2)
	v_add_co_u32 v13, vcc_lo, v13, v2
	v_add_co_ci_u32_e32 v14, vcc_lo, v14, v2, vcc_lo
	v_xor_b32_e32 v25, v13, v2
	s_delay_alu instid0(VALU_DEP_2) | instskip(NEXT) | instid1(VALU_DEP_2)
	v_xor_b32_e32 v26, v14, v2
	v_cvt_f32_u32_e32 v13, v25
	v_sub_co_u32 v27, vcc_lo, 0, v25
	s_delay_alu instid0(VALU_DEP_3) | instskip(SKIP_1) | instid1(VALU_DEP_2)
	v_cvt_f32_u32_e32 v14, v26
	v_sub_co_ci_u32_e32 v28, vcc_lo, 0, v26, vcc_lo
	v_fmac_f32_e32 v13, 0x4f800000, v14
	s_delay_alu instid0(VALU_DEP_1) | instskip(SKIP_2) | instid1(VALU_DEP_1)
	v_rcp_f32_e32 v13, v13
	s_waitcnt_depctr 0xfff
	v_mul_f32_e32 v13, 0x5f7ffffc, v13
	v_mul_f32_e32 v14, 0x2f800000, v13
	s_delay_alu instid0(VALU_DEP_1) | instskip(NEXT) | instid1(VALU_DEP_1)
	v_trunc_f32_e32 v14, v14
	v_fmac_f32_e32 v13, 0xcf800000, v14
	v_cvt_u32_f32_e32 v67, v14
	s_delay_alu instid0(VALU_DEP_2) | instskip(NEXT) | instid1(VALU_DEP_2)
	v_cvt_u32_f32_e32 v68, v13
	v_mul_lo_u32 v17, v27, v67
	s_delay_alu instid0(VALU_DEP_2) | instskip(SKIP_1) | instid1(VALU_DEP_1)
	v_mul_lo_u32 v18, v28, v68
	v_mad_u64_u32 v[13:14], null, v27, v68, 0
	v_add3_u32 v69, v14, v17, v18
	s_delay_alu instid0(VALU_DEP_2) | instskip(SKIP_1) | instid1(VALU_DEP_3)
	v_mul_hi_u32 v70, v68, v13
	v_mad_u64_u32 v[19:20], null, v67, v13, 0
	v_mad_u64_u32 v[17:18], null, v68, v69, 0
	;; [unrolled: 1-line block ×3, first 2 shown]
	s_delay_alu instid0(VALU_DEP_2) | instskip(NEXT) | instid1(VALU_DEP_3)
	v_add_co_u32 v17, vcc_lo, v70, v17
	v_add_co_ci_u32_e32 v18, vcc_lo, 0, v18, vcc_lo
	s_delay_alu instid0(VALU_DEP_2) | instskip(NEXT) | instid1(VALU_DEP_2)
	v_add_co_u32 v17, vcc_lo, v17, v19
	v_add_co_ci_u32_e32 v17, vcc_lo, v18, v20, vcc_lo
	v_add_co_ci_u32_e32 v14, vcc_lo, 0, v14, vcc_lo
	s_delay_alu instid0(VALU_DEP_2) | instskip(NEXT) | instid1(VALU_DEP_2)
	v_add_co_u32 v13, vcc_lo, v17, v13
	v_add_co_ci_u32_e32 v14, vcc_lo, 0, v14, vcc_lo
	s_delay_alu instid0(VALU_DEP_2) | instskip(NEXT) | instid1(VALU_DEP_2)
	v_add_co_u32 v68, vcc_lo, v68, v13
	v_add_co_ci_u32_e32 v67, vcc_lo, v67, v14, vcc_lo
	s_delay_alu instid0(VALU_DEP_2) | instskip(SKIP_1) | instid1(VALU_DEP_3)
	v_mul_lo_u32 v17, v28, v68
	v_mad_u64_u32 v[13:14], null, v27, v68, 0
	v_mul_lo_u32 v18, v27, v67
	s_delay_alu instid0(VALU_DEP_2) | instskip(SKIP_1) | instid1(VALU_DEP_3)
	v_mul_hi_u32 v28, v68, v13
	v_mad_u64_u32 v[19:20], null, v67, v13, 0
	v_add3_u32 v27, v14, v18, v17
	s_delay_alu instid0(VALU_DEP_1) | instskip(SKIP_2) | instid1(VALU_DEP_3)
	v_mad_u64_u32 v[17:18], null, v68, v27, 0
	v_mad_u64_u32 v[13:14], null, v67, v27, 0
	v_ashrrev_i32_e32 v27, 31, v12
	v_add_co_u32 v17, vcc_lo, v28, v17
	s_delay_alu instid0(VALU_DEP_4) | instskip(NEXT) | instid1(VALU_DEP_3)
	v_add_co_ci_u32_e32 v18, vcc_lo, 0, v18, vcc_lo
	v_xor_b32_e32 v2, v27, v2
	s_delay_alu instid0(VALU_DEP_3) | instskip(NEXT) | instid1(VALU_DEP_3)
	v_add_co_u32 v17, vcc_lo, v17, v19
	v_add_co_ci_u32_e32 v17, vcc_lo, v18, v20, vcc_lo
	v_add_co_ci_u32_e32 v14, vcc_lo, 0, v14, vcc_lo
	v_add_co_u32 v11, vcc_lo, v11, v27
	v_add_co_ci_u32_e32 v12, vcc_lo, v12, v27, vcc_lo
	s_delay_alu instid0(VALU_DEP_4) | instskip(NEXT) | instid1(VALU_DEP_4)
	v_add_co_u32 v13, vcc_lo, v17, v13
	v_add_co_ci_u32_e32 v14, vcc_lo, 0, v14, vcc_lo
	s_delay_alu instid0(VALU_DEP_4) | instskip(NEXT) | instid1(VALU_DEP_3)
	v_xor_b32_e32 v19, v11, v27
	v_add_co_u32 v17, vcc_lo, v68, v13
	s_delay_alu instid0(VALU_DEP_3) | instskip(SKIP_1) | instid1(VALU_DEP_3)
	v_add_co_ci_u32_e32 v20, vcc_lo, v67, v14, vcc_lo
	v_xor_b32_e32 v28, v12, v27
	v_mul_hi_u32 v67, v19, v17
	s_delay_alu instid0(VALU_DEP_3) | instskip(NEXT) | instid1(VALU_DEP_3)
	v_mad_u64_u32 v[11:12], null, v19, v20, 0
	v_mad_u64_u32 v[13:14], null, v28, v17, 0
	;; [unrolled: 1-line block ×3, first 2 shown]
	s_delay_alu instid0(VALU_DEP_3) | instskip(NEXT) | instid1(VALU_DEP_4)
	v_add_co_u32 v11, vcc_lo, v67, v11
	v_add_co_ci_u32_e32 v12, vcc_lo, 0, v12, vcc_lo
	s_delay_alu instid0(VALU_DEP_2) | instskip(NEXT) | instid1(VALU_DEP_2)
	v_add_co_u32 v11, vcc_lo, v11, v13
	v_add_co_ci_u32_e32 v11, vcc_lo, v12, v14, vcc_lo
	v_add_co_ci_u32_e32 v12, vcc_lo, 0, v18, vcc_lo
	s_delay_alu instid0(VALU_DEP_2) | instskip(NEXT) | instid1(VALU_DEP_2)
	v_add_co_u32 v13, vcc_lo, v11, v17
	v_add_co_ci_u32_e32 v14, vcc_lo, 0, v12, vcc_lo
	s_delay_alu instid0(VALU_DEP_2) | instskip(SKIP_1) | instid1(VALU_DEP_3)
	v_mul_lo_u32 v17, v26, v13
	v_mad_u64_u32 v[11:12], null, v25, v13, 0
	v_mul_lo_u32 v18, v25, v14
	s_delay_alu instid0(VALU_DEP_2) | instskip(NEXT) | instid1(VALU_DEP_2)
	v_sub_co_u32 v11, vcc_lo, v19, v11
	v_add3_u32 v12, v12, v18, v17
	s_delay_alu instid0(VALU_DEP_1) | instskip(NEXT) | instid1(VALU_DEP_1)
	v_sub_nc_u32_e32 v17, v28, v12
	v_sub_co_ci_u32_e64 v17, s5, v17, v26, vcc_lo
	v_add_co_u32 v18, s5, v13, 2
	s_delay_alu instid0(VALU_DEP_1) | instskip(SKIP_3) | instid1(VALU_DEP_3)
	v_add_co_ci_u32_e64 v19, s5, 0, v14, s5
	v_sub_co_u32 v20, s5, v11, v25
	v_sub_co_ci_u32_e32 v12, vcc_lo, v28, v12, vcc_lo
	v_subrev_co_ci_u32_e64 v17, s5, 0, v17, s5
	v_cmp_ge_u32_e32 vcc_lo, v20, v25
	s_delay_alu instid0(VALU_DEP_3) | instskip(SKIP_1) | instid1(VALU_DEP_4)
	v_cmp_eq_u32_e64 s5, v12, v26
	v_cndmask_b32_e64 v20, 0, -1, vcc_lo
	v_cmp_ge_u32_e32 vcc_lo, v17, v26
	v_cndmask_b32_e64 v28, 0, -1, vcc_lo
	v_cmp_ge_u32_e32 vcc_lo, v11, v25
	;; [unrolled: 2-line block ×3, first 2 shown]
	v_cndmask_b32_e64 v25, 0, -1, vcc_lo
	v_cmp_eq_u32_e32 vcc_lo, v17, v26
	s_delay_alu instid0(VALU_DEP_2) | instskip(SKIP_3) | instid1(VALU_DEP_3)
	v_cndmask_b32_e64 v11, v25, v11, s5
	v_cndmask_b32_e32 v17, v28, v20, vcc_lo
	v_add_co_u32 v20, vcc_lo, v13, 1
	v_add_co_ci_u32_e32 v28, vcc_lo, 0, v14, vcc_lo
	v_cmp_ne_u32_e32 vcc_lo, 0, v17
	s_delay_alu instid0(VALU_DEP_2) | instskip(NEXT) | instid1(VALU_DEP_4)
	v_cndmask_b32_e32 v12, v28, v19, vcc_lo
	v_cndmask_b32_e32 v17, v20, v18, vcc_lo
	v_cmp_ne_u32_e32 vcc_lo, 0, v11
	s_delay_alu instid0(VALU_DEP_2) | instskip(NEXT) | instid1(VALU_DEP_1)
	v_dual_cndmask_b32 v11, v14, v12 :: v_dual_cndmask_b32 v12, v13, v17
                                        ; implicit-def: $vgpr13_vgpr14
	v_xor_b32_e32 v11, v11, v2
	s_delay_alu instid0(VALU_DEP_2) | instskip(NEXT) | instid1(VALU_DEP_1)
	v_xor_b32_e32 v12, v12, v2
	v_sub_co_u32 v17, vcc_lo, v12, v2
	s_delay_alu instid0(VALU_DEP_3)
	v_sub_co_ci_u32_e32 v18, vcc_lo, v11, v2, vcc_lo
                                        ; implicit-def: $vgpr11_vgpr12
.LBB113_38:                             ;   in Loop: Header=BB113_4 Depth=1
	s_and_not1_saveexec_b32 s5, s27
	s_cbranch_execz .LBB113_40
; %bb.39:                               ;   in Loop: Header=BB113_4 Depth=1
	v_cvt_f32_u32_e32 v2, v13
	v_sub_nc_u32_e32 v12, 0, v13
	v_mov_b32_e32 v18, v1
	s_delay_alu instid0(VALU_DEP_3) | instskip(SKIP_2) | instid1(VALU_DEP_1)
	v_rcp_iflag_f32_e32 v2, v2
	s_waitcnt_depctr 0xfff
	v_mul_f32_e32 v2, 0x4f7ffffe, v2
	v_cvt_u32_f32_e32 v2, v2
	s_delay_alu instid0(VALU_DEP_1) | instskip(NEXT) | instid1(VALU_DEP_1)
	v_mul_lo_u32 v12, v12, v2
	v_mul_hi_u32 v12, v2, v12
	s_delay_alu instid0(VALU_DEP_1) | instskip(NEXT) | instid1(VALU_DEP_1)
	v_add_nc_u32_e32 v2, v2, v12
	v_mul_hi_u32 v2, v11, v2
	s_delay_alu instid0(VALU_DEP_1) | instskip(NEXT) | instid1(VALU_DEP_1)
	v_mul_lo_u32 v12, v2, v13
	v_sub_nc_u32_e32 v11, v11, v12
	v_add_nc_u32_e32 v12, 1, v2
	s_delay_alu instid0(VALU_DEP_2) | instskip(SKIP_1) | instid1(VALU_DEP_2)
	v_sub_nc_u32_e32 v14, v11, v13
	v_cmp_ge_u32_e32 vcc_lo, v11, v13
	v_dual_cndmask_b32 v11, v11, v14 :: v_dual_cndmask_b32 v2, v2, v12
	s_delay_alu instid0(VALU_DEP_1) | instskip(NEXT) | instid1(VALU_DEP_2)
	v_cmp_ge_u32_e32 vcc_lo, v11, v13
	v_add_nc_u32_e32 v12, 1, v2
	s_delay_alu instid0(VALU_DEP_1)
	v_cndmask_b32_e32 v17, v2, v12, vcc_lo
.LBB113_40:                             ;   in Loop: Header=BB113_4 Depth=1
	s_or_b32 exec_lo, exec_lo, s5
	s_delay_alu instid0(VALU_DEP_1) | instskip(SKIP_4) | instid1(VALU_DEP_3)
	v_mad_u64_u32 v[11:12], null, v17, s8, v[3:4]
	v_mul_lo_u32 v4, v17, s9
	v_mul_lo_u32 v13, v18, s8
	v_add_co_u32 v2, vcc_lo, v35, s12
	v_add_co_ci_u32_e32 v3, vcc_lo, s13, v36, vcc_lo
	v_add3_u32 v12, v13, v12, v4
	global_store_b64 v[2:3], v[11:12], off
	s_or_b32 exec_lo, exec_lo, s6
	s_and_saveexec_b32 s5, s2
	s_cbranch_execz .LBB113_32
.LBB113_41:                             ;   in Loop: Header=BB113_4 Depth=1
	v_mad_u64_u32 v[2:3], null, v15, s8, v[5:6]
	v_mul_lo_u32 v4, v15, s9
	v_mul_lo_u32 v5, v16, s8
	s_delay_alu instid0(VALU_DEP_1)
	v_add3_u32 v3, v5, v3, v4
	v_add_co_u32 v4, vcc_lo, v65, s12
	v_add_co_ci_u32_e32 v5, vcc_lo, s13, v66, vcc_lo
	global_store_b64 v[4:5], v[2:3], off
	s_or_b32 exec_lo, exec_lo, s5
	s_and_saveexec_b32 s2, s3
	s_cbranch_execz .LBB113_33
.LBB113_42:                             ;   in Loop: Header=BB113_4 Depth=1
	v_mad_u64_u32 v[2:3], null, v21, s8, v[7:8]
	v_mul_lo_u32 v4, v21, s9
	v_mul_lo_u32 v5, v22, s8
	s_delay_alu instid0(VALU_DEP_1)
	v_add3_u32 v3, v5, v3, v4
	v_add_co_u32 v4, vcc_lo, v54, s12
	v_add_co_ci_u32_e32 v5, vcc_lo, s13, v55, vcc_lo
	global_store_b64 v[4:5], v[2:3], off
	s_or_b32 exec_lo, exec_lo, s2
	s_and_saveexec_b32 s2, s4
	s_cbranch_execz .LBB113_3
.LBB113_43:                             ;   in Loop: Header=BB113_4 Depth=1
	v_mad_u64_u32 v[2:3], null, v23, s8, v[9:10]
	v_mul_lo_u32 v4, v23, s9
	v_mul_lo_u32 v5, v24, s8
	s_delay_alu instid0(VALU_DEP_1)
	v_add3_u32 v3, v5, v3, v4
	v_add_co_u32 v4, vcc_lo, v43, s12
	v_add_co_ci_u32_e32 v5, vcc_lo, s13, v44, vcc_lo
	global_store_b64 v[4:5], v[2:3], off
	s_branch .LBB113_3
.LBB113_44:
	s_mov_b32 s14, 0
.LBB113_45:
	s_delay_alu instid0(SALU_CYCLE_1)
	s_and_not1_b32 vcc_lo, exec_lo, s14
	s_cbranch_vccnz .LBB113_65
; %bb.46:
	v_dual_mov_b32 v24, 0 :: v_dual_lshlrev_b32 v1, 2, v0
	s_mov_b32 s2, 0
	s_mov_b32 s3, exec_lo
	s_delay_alu instid0(VALU_DEP_1) | instskip(NEXT) | instid1(VALU_DEP_1)
	v_mov_b32_e32 v2, v24
	v_cmpx_gt_i64_e64 s[10:11], v[1:2]
	s_cbranch_execz .LBB113_65
; %bb.47:
	s_load_b32 s0, s[0:1], 0xd14
	v_dual_mov_b32 v27, v24 :: v_dual_lshlrev_b32 v30, 5, v0
	s_waitcnt lgkmcnt(0)
	s_and_b32 s0, s0, 0xffff
	s_delay_alu instid0(SALU_CYCLE_1)
	v_add_lshl_u32 v26, v0, s0, 2
	s_lshl_b32 s1, s0, 2
	s_lshl_b32 s3, s0, 5
	s_branch .LBB113_49
.LBB113_48:                             ;   in Loop: Header=BB113_49 Depth=1
	s_or_b32 exec_lo, exec_lo, s0
	v_mul_lo_u32 v14, v18, s9
	s_waitcnt vmcnt(1)
	v_mad_u64_u32 v[10:11], null, v18, s8, v[0:1]
	v_mul_lo_u32 v0, v16, s9
	v_mul_lo_u32 v1, v17, s8
	s_waitcnt vmcnt(0)
	v_mad_u64_u32 v[17:18], null, v16, s8, v[6:7]
	v_cmp_le_i64_e32 vcc_lo, s[10:11], v[26:27]
	v_cmp_lt_u64_e64 s0, 0xffff, v[26:27]
	v_mul_lo_u32 v6, v28, s9
	v_mul_lo_u32 v7, v29, s8
	v_mad_u64_u32 v[15:16], null, v28, s8, v[4:5]
	v_mul_lo_u32 v19, v19, s8
	s_or_b32 s0, vcc_lo, s0
	v_mul_lo_u32 v4, v8, s9
	v_mul_lo_u32 v5, v9, s8
	v_mad_u64_u32 v[12:13], null, v8, s8, v[2:3]
	s_add_u32 s18, s18, s3
	v_add3_u32 v18, v1, v18, v0
	v_add_co_u32 v0, s4, s24, v30
	s_addc_u32 s19, s19, 0
	s_add_u32 s24, s24, s3
	v_add_co_ci_u32_e64 v1, null, s25, 0, s4
	s_addc_u32 s25, s25, 0
	s_add_u32 s20, s20, s3
	v_add_co_u32 v26, vcc_lo, v26, s1
	s_addc_u32 s21, s21, 0
	s_add_u32 s22, s22, s3
	v_add3_u32 v16, v7, v16, v6
	v_add_co_ci_u32_e32 v27, vcc_lo, 0, v27, vcc_lo
	s_addc_u32 s23, s23, 0
	v_add3_u32 v11, v19, v11, v14
	v_add3_u32 v13, v5, v13, v4
	s_and_b32 s0, exec_lo, s0
	s_clause 0x1
	global_store_b128 v[0:1], v[15:18], off
	global_store_b128 v[0:1], v[10:13], off offset:16
	s_or_b32 s2, s0, s2
	s_delay_alu instid0(SALU_CYCLE_1)
	s_and_not1_b32 exec_lo, exec_lo, s2
	s_cbranch_execz .LBB113_65
.LBB113_49:                             ; =>This Inner Loop Header: Depth=1
	v_add_co_u32 v0, s0, s20, v30
	s_delay_alu instid0(VALU_DEP_1) | instskip(SKIP_1) | instid1(VALU_DEP_1)
	v_add_co_ci_u32_e64 v1, null, s21, 0, s0
	v_add_co_u32 v2, s0, s22, v30
	v_add_co_ci_u32_e64 v3, null, s23, 0, s0
	v_add_co_u32 v4, s0, s18, v30
	global_load_b128 v[16:19], v[0:1], off
	global_load_b128 v[20:23], v[2:3], off
	v_add_co_ci_u32_e64 v5, null, s19, 0, s0
	global_load_b128 v[8:11], v[0:1], off offset:16
	global_load_b128 v[12:15], v[2:3], off offset:16
	s_clause 0x1
	global_load_b128 v[0:3], v[4:5], off offset:16
	global_load_b128 v[4:7], v[4:5], off
                                        ; implicit-def: $vgpr28_vgpr29
	s_mov_b32 s0, exec_lo
	s_waitcnt vmcnt(4)
	v_or_b32_e32 v25, v17, v21
	s_delay_alu instid0(VALU_DEP_1)
	v_cmpx_ne_u64_e32 0, v[24:25]
	s_xor_b32 s4, exec_lo, s0
	s_cbranch_execz .LBB113_51
; %bb.50:                               ;   in Loop: Header=BB113_49 Depth=1
	v_ashrrev_i32_e32 v25, 31, v21
	s_delay_alu instid0(VALU_DEP_1) | instskip(SKIP_1) | instid1(VALU_DEP_2)
	v_add_co_u32 v20, vcc_lo, v20, v25
	v_add_co_ci_u32_e32 v21, vcc_lo, v21, v25, vcc_lo
	v_xor_b32_e32 v33, v20, v25
	s_delay_alu instid0(VALU_DEP_2) | instskip(NEXT) | instid1(VALU_DEP_2)
	v_xor_b32_e32 v34, v21, v25
	v_cvt_f32_u32_e32 v20, v33
	v_sub_co_u32 v35, vcc_lo, 0, v33
	s_delay_alu instid0(VALU_DEP_3) | instskip(SKIP_1) | instid1(VALU_DEP_2)
	v_cvt_f32_u32_e32 v21, v34
	v_sub_co_ci_u32_e32 v36, vcc_lo, 0, v34, vcc_lo
	v_fmac_f32_e32 v20, 0x4f800000, v21
	s_delay_alu instid0(VALU_DEP_1) | instskip(SKIP_2) | instid1(VALU_DEP_1)
	v_rcp_f32_e32 v20, v20
	s_waitcnt_depctr 0xfff
	v_mul_f32_e32 v20, 0x5f7ffffc, v20
	v_mul_f32_e32 v21, 0x2f800000, v20
	s_delay_alu instid0(VALU_DEP_1) | instskip(NEXT) | instid1(VALU_DEP_1)
	v_trunc_f32_e32 v21, v21
	v_fmac_f32_e32 v20, 0xcf800000, v21
	v_cvt_u32_f32_e32 v37, v21
	s_delay_alu instid0(VALU_DEP_2) | instskip(NEXT) | instid1(VALU_DEP_2)
	v_cvt_u32_f32_e32 v38, v20
	v_mul_lo_u32 v28, v35, v37
	s_delay_alu instid0(VALU_DEP_2) | instskip(SKIP_1) | instid1(VALU_DEP_1)
	v_mul_lo_u32 v29, v36, v38
	v_mad_u64_u32 v[20:21], null, v35, v38, 0
	v_add3_u32 v39, v21, v28, v29
	s_delay_alu instid0(VALU_DEP_2) | instskip(SKIP_1) | instid1(VALU_DEP_3)
	v_mul_hi_u32 v40, v38, v20
	v_mad_u64_u32 v[31:32], null, v37, v20, 0
	v_mad_u64_u32 v[28:29], null, v38, v39, 0
	;; [unrolled: 1-line block ×3, first 2 shown]
	s_delay_alu instid0(VALU_DEP_2) | instskip(NEXT) | instid1(VALU_DEP_3)
	v_add_co_u32 v28, vcc_lo, v40, v28
	v_add_co_ci_u32_e32 v29, vcc_lo, 0, v29, vcc_lo
	s_delay_alu instid0(VALU_DEP_2) | instskip(NEXT) | instid1(VALU_DEP_2)
	v_add_co_u32 v28, vcc_lo, v28, v31
	v_add_co_ci_u32_e32 v28, vcc_lo, v29, v32, vcc_lo
	v_add_co_ci_u32_e32 v21, vcc_lo, 0, v21, vcc_lo
	s_delay_alu instid0(VALU_DEP_2) | instskip(NEXT) | instid1(VALU_DEP_2)
	v_add_co_u32 v20, vcc_lo, v28, v20
	v_add_co_ci_u32_e32 v21, vcc_lo, 0, v21, vcc_lo
	s_delay_alu instid0(VALU_DEP_2) | instskip(NEXT) | instid1(VALU_DEP_2)
	v_add_co_u32 v38, vcc_lo, v38, v20
	v_add_co_ci_u32_e32 v37, vcc_lo, v37, v21, vcc_lo
	s_delay_alu instid0(VALU_DEP_2) | instskip(SKIP_1) | instid1(VALU_DEP_3)
	v_mul_lo_u32 v28, v36, v38
	v_mad_u64_u32 v[20:21], null, v35, v38, 0
	v_mul_lo_u32 v29, v35, v37
	s_delay_alu instid0(VALU_DEP_2) | instskip(SKIP_1) | instid1(VALU_DEP_3)
	v_mul_hi_u32 v36, v38, v20
	v_mad_u64_u32 v[31:32], null, v37, v20, 0
	v_add3_u32 v35, v21, v29, v28
	s_delay_alu instid0(VALU_DEP_1) | instskip(SKIP_2) | instid1(VALU_DEP_3)
	v_mad_u64_u32 v[28:29], null, v38, v35, 0
	v_mad_u64_u32 v[20:21], null, v37, v35, 0
	v_ashrrev_i32_e32 v35, 31, v17
	v_add_co_u32 v28, vcc_lo, v36, v28
	s_delay_alu instid0(VALU_DEP_4) | instskip(NEXT) | instid1(VALU_DEP_2)
	v_add_co_ci_u32_e32 v29, vcc_lo, 0, v29, vcc_lo
	v_add_co_u32 v28, vcc_lo, v28, v31
	s_delay_alu instid0(VALU_DEP_2) | instskip(SKIP_3) | instid1(VALU_DEP_4)
	v_add_co_ci_u32_e32 v28, vcc_lo, v29, v32, vcc_lo
	v_add_co_ci_u32_e32 v21, vcc_lo, 0, v21, vcc_lo
	v_add_co_u32 v16, vcc_lo, v16, v35
	v_add_co_ci_u32_e32 v17, vcc_lo, v17, v35, vcc_lo
	v_add_co_u32 v20, vcc_lo, v28, v20
	s_delay_alu instid0(VALU_DEP_4) | instskip(NEXT) | instid1(VALU_DEP_4)
	v_add_co_ci_u32_e32 v21, vcc_lo, 0, v21, vcc_lo
	v_xor_b32_e32 v31, v16, v35
	s_delay_alu instid0(VALU_DEP_3) | instskip(NEXT) | instid1(VALU_DEP_3)
	v_add_co_u32 v28, vcc_lo, v38, v20
	v_add_co_ci_u32_e32 v32, vcc_lo, v37, v21, vcc_lo
	v_xor_b32_e32 v36, v17, v35
	s_delay_alu instid0(VALU_DEP_3) | instskip(NEXT) | instid1(VALU_DEP_3)
	v_mul_hi_u32 v37, v31, v28
	v_mad_u64_u32 v[16:17], null, v31, v32, 0
	s_delay_alu instid0(VALU_DEP_3) | instskip(SKIP_1) | instid1(VALU_DEP_3)
	v_mad_u64_u32 v[20:21], null, v36, v28, 0
	v_mad_u64_u32 v[28:29], null, v36, v32, 0
	v_add_co_u32 v16, vcc_lo, v37, v16
	s_delay_alu instid0(VALU_DEP_4) | instskip(NEXT) | instid1(VALU_DEP_2)
	v_add_co_ci_u32_e32 v17, vcc_lo, 0, v17, vcc_lo
	v_add_co_u32 v16, vcc_lo, v16, v20
	s_delay_alu instid0(VALU_DEP_2) | instskip(SKIP_1) | instid1(VALU_DEP_2)
	v_add_co_ci_u32_e32 v16, vcc_lo, v17, v21, vcc_lo
	v_add_co_ci_u32_e32 v17, vcc_lo, 0, v29, vcc_lo
	v_add_co_u32 v20, vcc_lo, v16, v28
	s_delay_alu instid0(VALU_DEP_2) | instskip(NEXT) | instid1(VALU_DEP_2)
	v_add_co_ci_u32_e32 v21, vcc_lo, 0, v17, vcc_lo
	v_mul_lo_u32 v28, v34, v20
	v_mad_u64_u32 v[16:17], null, v33, v20, 0
	s_delay_alu instid0(VALU_DEP_3) | instskip(NEXT) | instid1(VALU_DEP_2)
	v_mul_lo_u32 v29, v33, v21
	v_sub_co_u32 v16, vcc_lo, v31, v16
	s_delay_alu instid0(VALU_DEP_2) | instskip(NEXT) | instid1(VALU_DEP_1)
	v_add3_u32 v17, v17, v29, v28
	v_sub_nc_u32_e32 v28, v36, v17
	s_delay_alu instid0(VALU_DEP_1) | instskip(SKIP_1) | instid1(VALU_DEP_1)
	v_sub_co_ci_u32_e64 v28, s0, v28, v34, vcc_lo
	v_add_co_u32 v29, s0, v20, 2
	v_add_co_ci_u32_e64 v31, s0, 0, v21, s0
	v_sub_co_u32 v32, s0, v16, v33
	v_sub_co_ci_u32_e32 v17, vcc_lo, v36, v17, vcc_lo
	v_subrev_co_ci_u32_e64 v28, s0, 0, v28, s0
	s_delay_alu instid0(VALU_DEP_3) | instskip(NEXT) | instid1(VALU_DEP_3)
	v_cmp_ge_u32_e32 vcc_lo, v32, v33
	v_cmp_eq_u32_e64 s0, v17, v34
	v_cndmask_b32_e64 v32, 0, -1, vcc_lo
	s_delay_alu instid0(VALU_DEP_4)
	v_cmp_ge_u32_e32 vcc_lo, v28, v34
	v_cndmask_b32_e64 v36, 0, -1, vcc_lo
	v_cmp_ge_u32_e32 vcc_lo, v16, v33
	v_cndmask_b32_e64 v16, 0, -1, vcc_lo
	;; [unrolled: 2-line block ×3, first 2 shown]
	v_cmp_eq_u32_e32 vcc_lo, v28, v34
	s_delay_alu instid0(VALU_DEP_2) | instskip(SKIP_3) | instid1(VALU_DEP_3)
	v_cndmask_b32_e64 v16, v33, v16, s0
	v_cndmask_b32_e32 v28, v36, v32, vcc_lo
	v_add_co_u32 v32, vcc_lo, v20, 1
	v_add_co_ci_u32_e32 v36, vcc_lo, 0, v21, vcc_lo
	v_cmp_ne_u32_e32 vcc_lo, 0, v28
	s_delay_alu instid0(VALU_DEP_3) | instskip(NEXT) | instid1(VALU_DEP_3)
	v_cndmask_b32_e32 v28, v32, v29, vcc_lo
	v_cndmask_b32_e32 v17, v36, v31, vcc_lo
	v_cmp_ne_u32_e32 vcc_lo, 0, v16
	v_xor_b32_e32 v16, v35, v25
	s_delay_alu instid0(VALU_DEP_3) | instskip(NEXT) | instid1(VALU_DEP_1)
	v_dual_cndmask_b32 v20, v20, v28 :: v_dual_cndmask_b32 v17, v21, v17
	v_xor_b32_e32 v20, v20, v16
	s_delay_alu instid0(VALU_DEP_2) | instskip(NEXT) | instid1(VALU_DEP_2)
	v_xor_b32_e32 v17, v17, v16
	v_sub_co_u32 v28, vcc_lo, v20, v16
	s_delay_alu instid0(VALU_DEP_2)
	v_sub_co_ci_u32_e32 v29, vcc_lo, v17, v16, vcc_lo
.LBB113_51:                             ;   in Loop: Header=BB113_49 Depth=1
	s_and_not1_saveexec_b32 s0, s4
	s_cbranch_execz .LBB113_53
; %bb.52:                               ;   in Loop: Header=BB113_49 Depth=1
	v_cvt_f32_u32_e32 v17, v20
	v_sub_nc_u32_e32 v21, 0, v20
	v_mov_b32_e32 v29, v24
	s_delay_alu instid0(VALU_DEP_3) | instskip(SKIP_2) | instid1(VALU_DEP_1)
	v_rcp_iflag_f32_e32 v17, v17
	s_waitcnt_depctr 0xfff
	v_mul_f32_e32 v17, 0x4f7ffffe, v17
	v_cvt_u32_f32_e32 v17, v17
	s_delay_alu instid0(VALU_DEP_1) | instskip(NEXT) | instid1(VALU_DEP_1)
	v_mul_lo_u32 v21, v21, v17
	v_mul_hi_u32 v21, v17, v21
	s_delay_alu instid0(VALU_DEP_1) | instskip(NEXT) | instid1(VALU_DEP_1)
	v_add_nc_u32_e32 v17, v17, v21
	v_mul_hi_u32 v17, v16, v17
	s_delay_alu instid0(VALU_DEP_1) | instskip(NEXT) | instid1(VALU_DEP_1)
	v_mul_lo_u32 v21, v17, v20
	v_sub_nc_u32_e32 v16, v16, v21
	v_add_nc_u32_e32 v21, 1, v17
	s_delay_alu instid0(VALU_DEP_2) | instskip(SKIP_1) | instid1(VALU_DEP_2)
	v_sub_nc_u32_e32 v25, v16, v20
	v_cmp_ge_u32_e32 vcc_lo, v16, v20
	v_cndmask_b32_e32 v16, v16, v25, vcc_lo
	s_delay_alu instid0(VALU_DEP_4) | instskip(NEXT) | instid1(VALU_DEP_2)
	v_cndmask_b32_e32 v17, v17, v21, vcc_lo
	v_cmp_ge_u32_e32 vcc_lo, v16, v20
	s_delay_alu instid0(VALU_DEP_2) | instskip(NEXT) | instid1(VALU_DEP_1)
	v_add_nc_u32_e32 v21, 1, v17
	v_cndmask_b32_e32 v28, v17, v21, vcc_lo
.LBB113_53:                             ;   in Loop: Header=BB113_49 Depth=1
	s_or_b32 exec_lo, exec_lo, s0
	v_or_b32_e32 v25, v19, v23
                                        ; implicit-def: $vgpr16_vgpr17
	s_mov_b32 s0, exec_lo
	s_delay_alu instid0(VALU_DEP_1)
	v_cmpx_ne_u64_e32 0, v[24:25]
	s_xor_b32 s4, exec_lo, s0
	s_cbranch_execz .LBB113_55
; %bb.54:                               ;   in Loop: Header=BB113_49 Depth=1
	v_ashrrev_i32_e32 v25, 31, v23
	s_delay_alu instid0(VALU_DEP_1) | instskip(SKIP_1) | instid1(VALU_DEP_2)
	v_add_co_u32 v16, vcc_lo, v22, v25
	v_add_co_ci_u32_e32 v17, vcc_lo, v23, v25, vcc_lo
	v_xor_b32_e32 v31, v16, v25
	s_delay_alu instid0(VALU_DEP_2) | instskip(NEXT) | instid1(VALU_DEP_2)
	v_xor_b32_e32 v32, v17, v25
	v_cvt_f32_u32_e32 v16, v31
	v_sub_co_u32 v33, vcc_lo, 0, v31
	s_delay_alu instid0(VALU_DEP_3) | instskip(SKIP_1) | instid1(VALU_DEP_2)
	v_cvt_f32_u32_e32 v17, v32
	v_sub_co_ci_u32_e32 v34, vcc_lo, 0, v32, vcc_lo
	v_fmac_f32_e32 v16, 0x4f800000, v17
	s_delay_alu instid0(VALU_DEP_1) | instskip(SKIP_2) | instid1(VALU_DEP_1)
	v_rcp_f32_e32 v16, v16
	s_waitcnt_depctr 0xfff
	v_mul_f32_e32 v16, 0x5f7ffffc, v16
	v_mul_f32_e32 v17, 0x2f800000, v16
	s_delay_alu instid0(VALU_DEP_1) | instskip(NEXT) | instid1(VALU_DEP_1)
	v_trunc_f32_e32 v17, v17
	v_fmac_f32_e32 v16, 0xcf800000, v17
	v_cvt_u32_f32_e32 v35, v17
	s_delay_alu instid0(VALU_DEP_2) | instskip(NEXT) | instid1(VALU_DEP_2)
	v_cvt_u32_f32_e32 v36, v16
	v_mul_lo_u32 v20, v33, v35
	s_delay_alu instid0(VALU_DEP_2) | instskip(SKIP_1) | instid1(VALU_DEP_1)
	v_mul_lo_u32 v21, v34, v36
	v_mad_u64_u32 v[16:17], null, v33, v36, 0
	v_add3_u32 v37, v17, v20, v21
	s_delay_alu instid0(VALU_DEP_2) | instskip(SKIP_1) | instid1(VALU_DEP_3)
	v_mul_hi_u32 v38, v36, v16
	v_mad_u64_u32 v[22:23], null, v35, v16, 0
	v_mad_u64_u32 v[20:21], null, v36, v37, 0
	;; [unrolled: 1-line block ×3, first 2 shown]
	s_delay_alu instid0(VALU_DEP_2) | instskip(NEXT) | instid1(VALU_DEP_3)
	v_add_co_u32 v20, vcc_lo, v38, v20
	v_add_co_ci_u32_e32 v21, vcc_lo, 0, v21, vcc_lo
	s_delay_alu instid0(VALU_DEP_2) | instskip(NEXT) | instid1(VALU_DEP_2)
	v_add_co_u32 v20, vcc_lo, v20, v22
	v_add_co_ci_u32_e32 v20, vcc_lo, v21, v23, vcc_lo
	v_add_co_ci_u32_e32 v17, vcc_lo, 0, v17, vcc_lo
	s_delay_alu instid0(VALU_DEP_2) | instskip(NEXT) | instid1(VALU_DEP_2)
	v_add_co_u32 v16, vcc_lo, v20, v16
	v_add_co_ci_u32_e32 v17, vcc_lo, 0, v17, vcc_lo
	s_delay_alu instid0(VALU_DEP_2) | instskip(NEXT) | instid1(VALU_DEP_2)
	v_add_co_u32 v36, vcc_lo, v36, v16
	v_add_co_ci_u32_e32 v35, vcc_lo, v35, v17, vcc_lo
	s_delay_alu instid0(VALU_DEP_2) | instskip(SKIP_1) | instid1(VALU_DEP_3)
	v_mul_lo_u32 v20, v34, v36
	v_mad_u64_u32 v[16:17], null, v33, v36, 0
	v_mul_lo_u32 v21, v33, v35
	s_delay_alu instid0(VALU_DEP_2) | instskip(SKIP_1) | instid1(VALU_DEP_3)
	v_mul_hi_u32 v34, v36, v16
	v_mad_u64_u32 v[22:23], null, v35, v16, 0
	v_add3_u32 v33, v17, v21, v20
	s_delay_alu instid0(VALU_DEP_1) | instskip(SKIP_2) | instid1(VALU_DEP_3)
	v_mad_u64_u32 v[20:21], null, v36, v33, 0
	v_mad_u64_u32 v[16:17], null, v35, v33, 0
	v_ashrrev_i32_e32 v33, 31, v19
	v_add_co_u32 v20, vcc_lo, v34, v20
	s_delay_alu instid0(VALU_DEP_4) | instskip(NEXT) | instid1(VALU_DEP_2)
	v_add_co_ci_u32_e32 v21, vcc_lo, 0, v21, vcc_lo
	v_add_co_u32 v20, vcc_lo, v20, v22
	s_delay_alu instid0(VALU_DEP_2) | instskip(SKIP_3) | instid1(VALU_DEP_4)
	v_add_co_ci_u32_e32 v20, vcc_lo, v21, v23, vcc_lo
	v_add_co_ci_u32_e32 v17, vcc_lo, 0, v17, vcc_lo
	v_add_co_u32 v18, vcc_lo, v18, v33
	v_add_co_ci_u32_e32 v19, vcc_lo, v19, v33, vcc_lo
	v_add_co_u32 v16, vcc_lo, v20, v16
	s_delay_alu instid0(VALU_DEP_4) | instskip(NEXT) | instid1(VALU_DEP_4)
	v_add_co_ci_u32_e32 v17, vcc_lo, 0, v17, vcc_lo
	v_xor_b32_e32 v22, v18, v33
	s_delay_alu instid0(VALU_DEP_3) | instskip(NEXT) | instid1(VALU_DEP_3)
	v_add_co_u32 v20, vcc_lo, v36, v16
	v_add_co_ci_u32_e32 v23, vcc_lo, v35, v17, vcc_lo
	v_xor_b32_e32 v34, v19, v33
	s_delay_alu instid0(VALU_DEP_3) | instskip(NEXT) | instid1(VALU_DEP_3)
	v_mul_hi_u32 v35, v22, v20
	v_mad_u64_u32 v[16:17], null, v22, v23, 0
	s_delay_alu instid0(VALU_DEP_3) | instskip(SKIP_1) | instid1(VALU_DEP_3)
	v_mad_u64_u32 v[18:19], null, v34, v20, 0
	v_mad_u64_u32 v[20:21], null, v34, v23, 0
	v_add_co_u32 v16, vcc_lo, v35, v16
	s_delay_alu instid0(VALU_DEP_4) | instskip(NEXT) | instid1(VALU_DEP_2)
	v_add_co_ci_u32_e32 v17, vcc_lo, 0, v17, vcc_lo
	v_add_co_u32 v16, vcc_lo, v16, v18
	s_delay_alu instid0(VALU_DEP_2) | instskip(SKIP_1) | instid1(VALU_DEP_2)
	v_add_co_ci_u32_e32 v16, vcc_lo, v17, v19, vcc_lo
	v_add_co_ci_u32_e32 v17, vcc_lo, 0, v21, vcc_lo
	v_add_co_u32 v18, vcc_lo, v16, v20
	s_delay_alu instid0(VALU_DEP_2) | instskip(NEXT) | instid1(VALU_DEP_2)
	v_add_co_ci_u32_e32 v19, vcc_lo, 0, v17, vcc_lo
	v_mul_lo_u32 v20, v32, v18
	v_mad_u64_u32 v[16:17], null, v31, v18, 0
	s_delay_alu instid0(VALU_DEP_3) | instskip(NEXT) | instid1(VALU_DEP_2)
	v_mul_lo_u32 v21, v31, v19
	v_sub_co_u32 v16, vcc_lo, v22, v16
	s_delay_alu instid0(VALU_DEP_2) | instskip(NEXT) | instid1(VALU_DEP_1)
	v_add3_u32 v17, v17, v21, v20
	v_sub_nc_u32_e32 v20, v34, v17
	s_delay_alu instid0(VALU_DEP_1) | instskip(SKIP_1) | instid1(VALU_DEP_1)
	v_sub_co_ci_u32_e64 v20, s0, v20, v32, vcc_lo
	v_add_co_u32 v21, s0, v18, 2
	v_add_co_ci_u32_e64 v22, s0, 0, v19, s0
	v_sub_co_u32 v23, s0, v16, v31
	v_sub_co_ci_u32_e32 v17, vcc_lo, v34, v17, vcc_lo
	v_subrev_co_ci_u32_e64 v20, s0, 0, v20, s0
	s_delay_alu instid0(VALU_DEP_3) | instskip(NEXT) | instid1(VALU_DEP_3)
	v_cmp_ge_u32_e32 vcc_lo, v23, v31
	v_cmp_eq_u32_e64 s0, v17, v32
	v_cndmask_b32_e64 v23, 0, -1, vcc_lo
	s_delay_alu instid0(VALU_DEP_4)
	v_cmp_ge_u32_e32 vcc_lo, v20, v32
	v_cndmask_b32_e64 v34, 0, -1, vcc_lo
	v_cmp_ge_u32_e32 vcc_lo, v16, v31
	v_cndmask_b32_e64 v16, 0, -1, vcc_lo
	;; [unrolled: 2-line block ×3, first 2 shown]
	v_cmp_eq_u32_e32 vcc_lo, v20, v32
	s_delay_alu instid0(VALU_DEP_2) | instskip(SKIP_3) | instid1(VALU_DEP_3)
	v_cndmask_b32_e64 v16, v31, v16, s0
	v_cndmask_b32_e32 v20, v34, v23, vcc_lo
	v_add_co_u32 v23, vcc_lo, v18, 1
	v_add_co_ci_u32_e32 v34, vcc_lo, 0, v19, vcc_lo
	v_cmp_ne_u32_e32 vcc_lo, 0, v20
	s_delay_alu instid0(VALU_DEP_2) | instskip(SKIP_2) | instid1(VALU_DEP_3)
	v_dual_cndmask_b32 v17, v34, v22 :: v_dual_cndmask_b32 v20, v23, v21
	v_cmp_ne_u32_e32 vcc_lo, 0, v16
	v_xor_b32_e32 v21, v33, v25
                                        ; implicit-def: $vgpr22_vgpr23
	v_dual_cndmask_b32 v16, v19, v17 :: v_dual_cndmask_b32 v17, v18, v20
	s_delay_alu instid0(VALU_DEP_1) | instskip(NEXT) | instid1(VALU_DEP_2)
	v_xor_b32_e32 v18, v16, v21
	v_xor_b32_e32 v17, v17, v21
	s_delay_alu instid0(VALU_DEP_1) | instskip(NEXT) | instid1(VALU_DEP_3)
	v_sub_co_u32 v16, vcc_lo, v17, v21
	v_sub_co_ci_u32_e32 v17, vcc_lo, v18, v21, vcc_lo
                                        ; implicit-def: $vgpr18_vgpr19
.LBB113_55:                             ;   in Loop: Header=BB113_49 Depth=1
	s_and_not1_saveexec_b32 s0, s4
	s_cbranch_execz .LBB113_57
; %bb.56:                               ;   in Loop: Header=BB113_49 Depth=1
	v_cvt_f32_u32_e32 v16, v22
	v_sub_nc_u32_e32 v17, 0, v22
	s_delay_alu instid0(VALU_DEP_2) | instskip(SKIP_2) | instid1(VALU_DEP_1)
	v_rcp_iflag_f32_e32 v16, v16
	s_waitcnt_depctr 0xfff
	v_mul_f32_e32 v16, 0x4f7ffffe, v16
	v_cvt_u32_f32_e32 v16, v16
	s_delay_alu instid0(VALU_DEP_1) | instskip(NEXT) | instid1(VALU_DEP_1)
	v_mul_lo_u32 v17, v17, v16
	v_mul_hi_u32 v17, v16, v17
	s_delay_alu instid0(VALU_DEP_1) | instskip(NEXT) | instid1(VALU_DEP_1)
	v_add_nc_u32_e32 v16, v16, v17
	v_mul_hi_u32 v16, v18, v16
	s_delay_alu instid0(VALU_DEP_1) | instskip(NEXT) | instid1(VALU_DEP_1)
	v_mul_lo_u32 v17, v16, v22
	v_sub_nc_u32_e32 v17, v18, v17
	v_add_nc_u32_e32 v18, 1, v16
	s_delay_alu instid0(VALU_DEP_2) | instskip(SKIP_1) | instid1(VALU_DEP_2)
	v_sub_nc_u32_e32 v19, v17, v22
	v_cmp_ge_u32_e32 vcc_lo, v17, v22
	v_dual_cndmask_b32 v17, v17, v19 :: v_dual_cndmask_b32 v16, v16, v18
	s_delay_alu instid0(VALU_DEP_1) | instskip(NEXT) | instid1(VALU_DEP_2)
	v_cmp_ge_u32_e32 vcc_lo, v17, v22
	v_dual_mov_b32 v17, v24 :: v_dual_add_nc_u32 v18, 1, v16
	s_delay_alu instid0(VALU_DEP_1)
	v_cndmask_b32_e32 v16, v16, v18, vcc_lo
.LBB113_57:                             ;   in Loop: Header=BB113_49 Depth=1
	s_or_b32 exec_lo, exec_lo, s0
	s_waitcnt vmcnt(2)
	v_or_b32_e32 v25, v9, v13
                                        ; implicit-def: $vgpr18_vgpr19
	s_mov_b32 s0, exec_lo
	s_delay_alu instid0(VALU_DEP_1)
	v_cmpx_ne_u64_e32 0, v[24:25]
	s_xor_b32 s4, exec_lo, s0
	s_cbranch_execz .LBB113_59
; %bb.58:                               ;   in Loop: Header=BB113_49 Depth=1
	v_ashrrev_i32_e32 v22, 31, v13
	s_delay_alu instid0(VALU_DEP_1) | instskip(SKIP_1) | instid1(VALU_DEP_2)
	v_add_co_u32 v12, vcc_lo, v12, v22
	v_add_co_ci_u32_e32 v13, vcc_lo, v13, v22, vcc_lo
	v_xor_b32_e32 v23, v12, v22
	s_delay_alu instid0(VALU_DEP_2) | instskip(NEXT) | instid1(VALU_DEP_2)
	v_xor_b32_e32 v25, v13, v22
	v_cvt_f32_u32_e32 v12, v23
	v_sub_co_u32 v31, vcc_lo, 0, v23
	s_delay_alu instid0(VALU_DEP_3) | instskip(SKIP_1) | instid1(VALU_DEP_2)
	v_cvt_f32_u32_e32 v13, v25
	v_sub_co_ci_u32_e32 v32, vcc_lo, 0, v25, vcc_lo
	v_fmac_f32_e32 v12, 0x4f800000, v13
	s_delay_alu instid0(VALU_DEP_1) | instskip(SKIP_2) | instid1(VALU_DEP_1)
	v_rcp_f32_e32 v12, v12
	s_waitcnt_depctr 0xfff
	v_mul_f32_e32 v12, 0x5f7ffffc, v12
	v_mul_f32_e32 v13, 0x2f800000, v12
	s_delay_alu instid0(VALU_DEP_1) | instskip(NEXT) | instid1(VALU_DEP_1)
	v_trunc_f32_e32 v13, v13
	v_fmac_f32_e32 v12, 0xcf800000, v13
	v_cvt_u32_f32_e32 v33, v13
	s_delay_alu instid0(VALU_DEP_2) | instskip(NEXT) | instid1(VALU_DEP_2)
	v_cvt_u32_f32_e32 v34, v12
	v_mul_lo_u32 v18, v31, v33
	s_delay_alu instid0(VALU_DEP_2) | instskip(SKIP_1) | instid1(VALU_DEP_1)
	v_mul_lo_u32 v19, v32, v34
	v_mad_u64_u32 v[12:13], null, v31, v34, 0
	v_add3_u32 v35, v13, v18, v19
	s_delay_alu instid0(VALU_DEP_2) | instskip(SKIP_1) | instid1(VALU_DEP_3)
	v_mul_hi_u32 v36, v34, v12
	v_mad_u64_u32 v[20:21], null, v33, v12, 0
	v_mad_u64_u32 v[18:19], null, v34, v35, 0
	;; [unrolled: 1-line block ×3, first 2 shown]
	s_delay_alu instid0(VALU_DEP_2) | instskip(NEXT) | instid1(VALU_DEP_3)
	v_add_co_u32 v18, vcc_lo, v36, v18
	v_add_co_ci_u32_e32 v19, vcc_lo, 0, v19, vcc_lo
	s_delay_alu instid0(VALU_DEP_2) | instskip(NEXT) | instid1(VALU_DEP_2)
	v_add_co_u32 v18, vcc_lo, v18, v20
	v_add_co_ci_u32_e32 v18, vcc_lo, v19, v21, vcc_lo
	v_add_co_ci_u32_e32 v13, vcc_lo, 0, v13, vcc_lo
	s_delay_alu instid0(VALU_DEP_2) | instskip(NEXT) | instid1(VALU_DEP_2)
	v_add_co_u32 v12, vcc_lo, v18, v12
	v_add_co_ci_u32_e32 v13, vcc_lo, 0, v13, vcc_lo
	s_delay_alu instid0(VALU_DEP_2) | instskip(NEXT) | instid1(VALU_DEP_2)
	v_add_co_u32 v34, vcc_lo, v34, v12
	v_add_co_ci_u32_e32 v33, vcc_lo, v33, v13, vcc_lo
	s_delay_alu instid0(VALU_DEP_2) | instskip(SKIP_1) | instid1(VALU_DEP_3)
	v_mul_lo_u32 v18, v32, v34
	v_mad_u64_u32 v[12:13], null, v31, v34, 0
	v_mul_lo_u32 v19, v31, v33
	s_delay_alu instid0(VALU_DEP_2) | instskip(SKIP_1) | instid1(VALU_DEP_3)
	v_mul_hi_u32 v32, v34, v12
	v_mad_u64_u32 v[20:21], null, v33, v12, 0
	v_add3_u32 v31, v13, v19, v18
	s_delay_alu instid0(VALU_DEP_1) | instskip(SKIP_2) | instid1(VALU_DEP_3)
	v_mad_u64_u32 v[18:19], null, v34, v31, 0
	v_mad_u64_u32 v[12:13], null, v33, v31, 0
	v_ashrrev_i32_e32 v31, 31, v9
	v_add_co_u32 v18, vcc_lo, v32, v18
	s_delay_alu instid0(VALU_DEP_4) | instskip(NEXT) | instid1(VALU_DEP_2)
	v_add_co_ci_u32_e32 v19, vcc_lo, 0, v19, vcc_lo
	v_add_co_u32 v18, vcc_lo, v18, v20
	s_delay_alu instid0(VALU_DEP_2) | instskip(SKIP_3) | instid1(VALU_DEP_4)
	v_add_co_ci_u32_e32 v18, vcc_lo, v19, v21, vcc_lo
	v_add_co_ci_u32_e32 v13, vcc_lo, 0, v13, vcc_lo
	v_add_co_u32 v8, vcc_lo, v8, v31
	v_add_co_ci_u32_e32 v9, vcc_lo, v9, v31, vcc_lo
	v_add_co_u32 v12, vcc_lo, v18, v12
	s_delay_alu instid0(VALU_DEP_4) | instskip(NEXT) | instid1(VALU_DEP_4)
	v_add_co_ci_u32_e32 v13, vcc_lo, 0, v13, vcc_lo
	v_xor_b32_e32 v20, v8, v31
	s_delay_alu instid0(VALU_DEP_3) | instskip(NEXT) | instid1(VALU_DEP_3)
	v_add_co_u32 v18, vcc_lo, v34, v12
	v_add_co_ci_u32_e32 v21, vcc_lo, v33, v13, vcc_lo
	v_xor_b32_e32 v32, v9, v31
	s_delay_alu instid0(VALU_DEP_3) | instskip(NEXT) | instid1(VALU_DEP_3)
	v_mul_hi_u32 v33, v20, v18
	v_mad_u64_u32 v[8:9], null, v20, v21, 0
	s_delay_alu instid0(VALU_DEP_3) | instskip(SKIP_1) | instid1(VALU_DEP_3)
	v_mad_u64_u32 v[12:13], null, v32, v18, 0
	v_mad_u64_u32 v[18:19], null, v32, v21, 0
	v_add_co_u32 v8, vcc_lo, v33, v8
	s_delay_alu instid0(VALU_DEP_4) | instskip(NEXT) | instid1(VALU_DEP_2)
	v_add_co_ci_u32_e32 v9, vcc_lo, 0, v9, vcc_lo
	v_add_co_u32 v8, vcc_lo, v8, v12
	s_delay_alu instid0(VALU_DEP_2) | instskip(SKIP_1) | instid1(VALU_DEP_2)
	v_add_co_ci_u32_e32 v8, vcc_lo, v9, v13, vcc_lo
	v_add_co_ci_u32_e32 v9, vcc_lo, 0, v19, vcc_lo
	v_add_co_u32 v12, vcc_lo, v8, v18
	s_delay_alu instid0(VALU_DEP_2) | instskip(NEXT) | instid1(VALU_DEP_2)
	v_add_co_ci_u32_e32 v13, vcc_lo, 0, v9, vcc_lo
	v_mul_lo_u32 v18, v25, v12
	v_mad_u64_u32 v[8:9], null, v23, v12, 0
	s_delay_alu instid0(VALU_DEP_3) | instskip(NEXT) | instid1(VALU_DEP_2)
	v_mul_lo_u32 v19, v23, v13
	v_sub_co_u32 v8, vcc_lo, v20, v8
	s_delay_alu instid0(VALU_DEP_2) | instskip(NEXT) | instid1(VALU_DEP_1)
	v_add3_u32 v9, v9, v19, v18
	v_sub_nc_u32_e32 v18, v32, v9
	s_delay_alu instid0(VALU_DEP_1) | instskip(SKIP_1) | instid1(VALU_DEP_1)
	v_sub_co_ci_u32_e64 v18, s0, v18, v25, vcc_lo
	v_add_co_u32 v19, s0, v12, 2
	v_add_co_ci_u32_e64 v20, s0, 0, v13, s0
	v_sub_co_u32 v21, s0, v8, v23
	v_sub_co_ci_u32_e32 v9, vcc_lo, v32, v9, vcc_lo
	v_subrev_co_ci_u32_e64 v18, s0, 0, v18, s0
	s_delay_alu instid0(VALU_DEP_3) | instskip(NEXT) | instid1(VALU_DEP_3)
	v_cmp_ge_u32_e32 vcc_lo, v21, v23
	v_cmp_eq_u32_e64 s0, v9, v25
	v_cndmask_b32_e64 v21, 0, -1, vcc_lo
	s_delay_alu instid0(VALU_DEP_4)
	v_cmp_ge_u32_e32 vcc_lo, v18, v25
	v_cndmask_b32_e64 v32, 0, -1, vcc_lo
	v_cmp_ge_u32_e32 vcc_lo, v8, v23
	v_cndmask_b32_e64 v8, 0, -1, vcc_lo
	;; [unrolled: 2-line block ×3, first 2 shown]
	v_cmp_eq_u32_e32 vcc_lo, v18, v25
	s_delay_alu instid0(VALU_DEP_2) | instskip(SKIP_3) | instid1(VALU_DEP_3)
	v_cndmask_b32_e64 v8, v23, v8, s0
	v_cndmask_b32_e32 v18, v32, v21, vcc_lo
	v_add_co_u32 v21, vcc_lo, v12, 1
	v_add_co_ci_u32_e32 v32, vcc_lo, 0, v13, vcc_lo
	v_cmp_ne_u32_e32 vcc_lo, 0, v18
	s_delay_alu instid0(VALU_DEP_2) | instskip(SKIP_2) | instid1(VALU_DEP_3)
	v_dual_cndmask_b32 v9, v32, v20 :: v_dual_cndmask_b32 v18, v21, v19
	v_cmp_ne_u32_e32 vcc_lo, 0, v8
	v_xor_b32_e32 v8, v31, v22
	v_dual_cndmask_b32 v12, v12, v18 :: v_dual_cndmask_b32 v9, v13, v9
	s_delay_alu instid0(VALU_DEP_1) | instskip(NEXT) | instid1(VALU_DEP_2)
	v_xor_b32_e32 v12, v12, v8
	v_xor_b32_e32 v9, v9, v8
	s_delay_alu instid0(VALU_DEP_2) | instskip(NEXT) | instid1(VALU_DEP_2)
	v_sub_co_u32 v18, vcc_lo, v12, v8
	v_sub_co_ci_u32_e32 v19, vcc_lo, v9, v8, vcc_lo
.LBB113_59:                             ;   in Loop: Header=BB113_49 Depth=1
	s_and_not1_saveexec_b32 s0, s4
	s_cbranch_execz .LBB113_61
; %bb.60:                               ;   in Loop: Header=BB113_49 Depth=1
	v_cvt_f32_u32_e32 v9, v12
	v_sub_nc_u32_e32 v13, 0, v12
	v_mov_b32_e32 v19, v24
	s_delay_alu instid0(VALU_DEP_3) | instskip(SKIP_2) | instid1(VALU_DEP_1)
	v_rcp_iflag_f32_e32 v9, v9
	s_waitcnt_depctr 0xfff
	v_mul_f32_e32 v9, 0x4f7ffffe, v9
	v_cvt_u32_f32_e32 v9, v9
	s_delay_alu instid0(VALU_DEP_1) | instskip(NEXT) | instid1(VALU_DEP_1)
	v_mul_lo_u32 v13, v13, v9
	v_mul_hi_u32 v13, v9, v13
	s_delay_alu instid0(VALU_DEP_1) | instskip(NEXT) | instid1(VALU_DEP_1)
	v_add_nc_u32_e32 v9, v9, v13
	v_mul_hi_u32 v9, v8, v9
	s_delay_alu instid0(VALU_DEP_1) | instskip(NEXT) | instid1(VALU_DEP_1)
	v_mul_lo_u32 v13, v9, v12
	v_sub_nc_u32_e32 v8, v8, v13
	v_add_nc_u32_e32 v13, 1, v9
	s_delay_alu instid0(VALU_DEP_2) | instskip(SKIP_1) | instid1(VALU_DEP_2)
	v_sub_nc_u32_e32 v18, v8, v12
	v_cmp_ge_u32_e32 vcc_lo, v8, v12
	v_dual_cndmask_b32 v8, v8, v18 :: v_dual_cndmask_b32 v9, v9, v13
	s_delay_alu instid0(VALU_DEP_1) | instskip(NEXT) | instid1(VALU_DEP_2)
	v_cmp_ge_u32_e32 vcc_lo, v8, v12
	v_add_nc_u32_e32 v13, 1, v9
	s_delay_alu instid0(VALU_DEP_1)
	v_cndmask_b32_e32 v18, v9, v13, vcc_lo
.LBB113_61:                             ;   in Loop: Header=BB113_49 Depth=1
	s_or_b32 exec_lo, exec_lo, s0
	v_or_b32_e32 v25, v11, v15
                                        ; implicit-def: $vgpr8_vgpr9
	s_mov_b32 s0, exec_lo
	s_delay_alu instid0(VALU_DEP_1)
	v_cmpx_ne_u64_e32 0, v[24:25]
	s_xor_b32 s4, exec_lo, s0
	s_cbranch_execz .LBB113_63
; %bb.62:                               ;   in Loop: Header=BB113_49 Depth=1
	v_ashrrev_i32_e32 v20, 31, v15
	s_delay_alu instid0(VALU_DEP_1) | instskip(SKIP_1) | instid1(VALU_DEP_2)
	v_add_co_u32 v8, vcc_lo, v14, v20
	v_add_co_ci_u32_e32 v9, vcc_lo, v15, v20, vcc_lo
	v_xor_b32_e32 v21, v8, v20
	s_delay_alu instid0(VALU_DEP_2) | instskip(NEXT) | instid1(VALU_DEP_2)
	v_xor_b32_e32 v22, v9, v20
	v_cvt_f32_u32_e32 v8, v21
	v_sub_co_u32 v23, vcc_lo, 0, v21
	s_delay_alu instid0(VALU_DEP_3) | instskip(SKIP_1) | instid1(VALU_DEP_2)
	v_cvt_f32_u32_e32 v9, v22
	v_sub_co_ci_u32_e32 v25, vcc_lo, 0, v22, vcc_lo
	v_fmac_f32_e32 v8, 0x4f800000, v9
	s_delay_alu instid0(VALU_DEP_1) | instskip(SKIP_2) | instid1(VALU_DEP_1)
	v_rcp_f32_e32 v8, v8
	s_waitcnt_depctr 0xfff
	v_mul_f32_e32 v8, 0x5f7ffffc, v8
	v_mul_f32_e32 v9, 0x2f800000, v8
	s_delay_alu instid0(VALU_DEP_1) | instskip(NEXT) | instid1(VALU_DEP_1)
	v_trunc_f32_e32 v9, v9
	v_fmac_f32_e32 v8, 0xcf800000, v9
	v_cvt_u32_f32_e32 v31, v9
	s_delay_alu instid0(VALU_DEP_2) | instskip(NEXT) | instid1(VALU_DEP_2)
	v_cvt_u32_f32_e32 v32, v8
	v_mul_lo_u32 v12, v23, v31
	s_delay_alu instid0(VALU_DEP_2) | instskip(SKIP_1) | instid1(VALU_DEP_1)
	v_mul_lo_u32 v13, v25, v32
	v_mad_u64_u32 v[8:9], null, v23, v32, 0
	v_add3_u32 v33, v9, v12, v13
	s_delay_alu instid0(VALU_DEP_2) | instskip(SKIP_1) | instid1(VALU_DEP_3)
	v_mul_hi_u32 v34, v32, v8
	v_mad_u64_u32 v[14:15], null, v31, v8, 0
	v_mad_u64_u32 v[12:13], null, v32, v33, 0
	v_mad_u64_u32 v[8:9], null, v31, v33, 0
	s_delay_alu instid0(VALU_DEP_2) | instskip(NEXT) | instid1(VALU_DEP_3)
	v_add_co_u32 v12, vcc_lo, v34, v12
	v_add_co_ci_u32_e32 v13, vcc_lo, 0, v13, vcc_lo
	s_delay_alu instid0(VALU_DEP_2) | instskip(NEXT) | instid1(VALU_DEP_2)
	v_add_co_u32 v12, vcc_lo, v12, v14
	v_add_co_ci_u32_e32 v12, vcc_lo, v13, v15, vcc_lo
	v_add_co_ci_u32_e32 v9, vcc_lo, 0, v9, vcc_lo
	s_delay_alu instid0(VALU_DEP_2) | instskip(NEXT) | instid1(VALU_DEP_2)
	v_add_co_u32 v8, vcc_lo, v12, v8
	v_add_co_ci_u32_e32 v9, vcc_lo, 0, v9, vcc_lo
	s_delay_alu instid0(VALU_DEP_2) | instskip(NEXT) | instid1(VALU_DEP_2)
	v_add_co_u32 v32, vcc_lo, v32, v8
	v_add_co_ci_u32_e32 v31, vcc_lo, v31, v9, vcc_lo
	s_delay_alu instid0(VALU_DEP_2) | instskip(SKIP_1) | instid1(VALU_DEP_3)
	v_mul_lo_u32 v12, v25, v32
	v_mad_u64_u32 v[8:9], null, v23, v32, 0
	v_mul_lo_u32 v13, v23, v31
	s_delay_alu instid0(VALU_DEP_2) | instskip(SKIP_1) | instid1(VALU_DEP_3)
	v_mul_hi_u32 v25, v32, v8
	v_mad_u64_u32 v[14:15], null, v31, v8, 0
	v_add3_u32 v23, v9, v13, v12
	s_delay_alu instid0(VALU_DEP_1) | instskip(SKIP_2) | instid1(VALU_DEP_3)
	v_mad_u64_u32 v[12:13], null, v32, v23, 0
	v_mad_u64_u32 v[8:9], null, v31, v23, 0
	v_ashrrev_i32_e32 v23, 31, v11
	v_add_co_u32 v12, vcc_lo, v25, v12
	s_delay_alu instid0(VALU_DEP_4) | instskip(NEXT) | instid1(VALU_DEP_2)
	v_add_co_ci_u32_e32 v13, vcc_lo, 0, v13, vcc_lo
	v_add_co_u32 v12, vcc_lo, v12, v14
	s_delay_alu instid0(VALU_DEP_2) | instskip(SKIP_3) | instid1(VALU_DEP_4)
	v_add_co_ci_u32_e32 v12, vcc_lo, v13, v15, vcc_lo
	v_add_co_ci_u32_e32 v9, vcc_lo, 0, v9, vcc_lo
	v_add_co_u32 v10, vcc_lo, v10, v23
	v_add_co_ci_u32_e32 v11, vcc_lo, v11, v23, vcc_lo
	v_add_co_u32 v8, vcc_lo, v12, v8
	s_delay_alu instid0(VALU_DEP_4) | instskip(NEXT) | instid1(VALU_DEP_4)
	v_add_co_ci_u32_e32 v9, vcc_lo, 0, v9, vcc_lo
	v_xor_b32_e32 v14, v10, v23
	s_delay_alu instid0(VALU_DEP_3) | instskip(NEXT) | instid1(VALU_DEP_3)
	v_add_co_u32 v12, vcc_lo, v32, v8
	v_add_co_ci_u32_e32 v15, vcc_lo, v31, v9, vcc_lo
	v_xor_b32_e32 v25, v11, v23
	s_delay_alu instid0(VALU_DEP_3) | instskip(NEXT) | instid1(VALU_DEP_3)
	v_mul_hi_u32 v31, v14, v12
	v_mad_u64_u32 v[8:9], null, v14, v15, 0
	s_delay_alu instid0(VALU_DEP_3) | instskip(SKIP_1) | instid1(VALU_DEP_3)
	v_mad_u64_u32 v[10:11], null, v25, v12, 0
	v_mad_u64_u32 v[12:13], null, v25, v15, 0
	v_add_co_u32 v8, vcc_lo, v31, v8
	s_delay_alu instid0(VALU_DEP_4) | instskip(NEXT) | instid1(VALU_DEP_2)
	v_add_co_ci_u32_e32 v9, vcc_lo, 0, v9, vcc_lo
	v_add_co_u32 v8, vcc_lo, v8, v10
	s_delay_alu instid0(VALU_DEP_2) | instskip(SKIP_1) | instid1(VALU_DEP_2)
	v_add_co_ci_u32_e32 v8, vcc_lo, v9, v11, vcc_lo
	v_add_co_ci_u32_e32 v9, vcc_lo, 0, v13, vcc_lo
	v_add_co_u32 v10, vcc_lo, v8, v12
	s_delay_alu instid0(VALU_DEP_2) | instskip(NEXT) | instid1(VALU_DEP_2)
	v_add_co_ci_u32_e32 v11, vcc_lo, 0, v9, vcc_lo
	v_mul_lo_u32 v12, v22, v10
	v_mad_u64_u32 v[8:9], null, v21, v10, 0
	s_delay_alu instid0(VALU_DEP_3) | instskip(NEXT) | instid1(VALU_DEP_2)
	v_mul_lo_u32 v13, v21, v11
	v_sub_co_u32 v8, vcc_lo, v14, v8
	s_delay_alu instid0(VALU_DEP_2) | instskip(NEXT) | instid1(VALU_DEP_1)
	v_add3_u32 v9, v9, v13, v12
	v_sub_nc_u32_e32 v12, v25, v9
	s_delay_alu instid0(VALU_DEP_1) | instskip(SKIP_1) | instid1(VALU_DEP_1)
	v_sub_co_ci_u32_e64 v12, s0, v12, v22, vcc_lo
	v_add_co_u32 v13, s0, v10, 2
	v_add_co_ci_u32_e64 v14, s0, 0, v11, s0
	v_sub_co_u32 v15, s0, v8, v21
	v_sub_co_ci_u32_e32 v9, vcc_lo, v25, v9, vcc_lo
	v_subrev_co_ci_u32_e64 v12, s0, 0, v12, s0
	s_delay_alu instid0(VALU_DEP_3) | instskip(NEXT) | instid1(VALU_DEP_3)
	v_cmp_ge_u32_e32 vcc_lo, v15, v21
	v_cmp_eq_u32_e64 s0, v9, v22
	v_cndmask_b32_e64 v15, 0, -1, vcc_lo
	s_delay_alu instid0(VALU_DEP_4)
	v_cmp_ge_u32_e32 vcc_lo, v12, v22
	v_cndmask_b32_e64 v25, 0, -1, vcc_lo
	v_cmp_ge_u32_e32 vcc_lo, v8, v21
	v_cndmask_b32_e64 v8, 0, -1, vcc_lo
	;; [unrolled: 2-line block ×3, first 2 shown]
	v_cmp_eq_u32_e32 vcc_lo, v12, v22
	s_delay_alu instid0(VALU_DEP_2) | instskip(SKIP_3) | instid1(VALU_DEP_3)
	v_cndmask_b32_e64 v8, v21, v8, s0
	v_cndmask_b32_e32 v12, v25, v15, vcc_lo
	v_add_co_u32 v15, vcc_lo, v10, 1
	v_add_co_ci_u32_e32 v25, vcc_lo, 0, v11, vcc_lo
	v_cmp_ne_u32_e32 vcc_lo, 0, v12
	s_delay_alu instid0(VALU_DEP_2) | instskip(SKIP_2) | instid1(VALU_DEP_3)
	v_dual_cndmask_b32 v9, v25, v14 :: v_dual_cndmask_b32 v12, v15, v13
	v_cmp_ne_u32_e32 vcc_lo, 0, v8
	v_xor_b32_e32 v13, v23, v20
                                        ; implicit-def: $vgpr14_vgpr15
	v_dual_cndmask_b32 v8, v11, v9 :: v_dual_cndmask_b32 v9, v10, v12
	s_delay_alu instid0(VALU_DEP_1) | instskip(NEXT) | instid1(VALU_DEP_2)
	v_xor_b32_e32 v10, v8, v13
	v_xor_b32_e32 v9, v9, v13
	s_delay_alu instid0(VALU_DEP_1) | instskip(NEXT) | instid1(VALU_DEP_3)
	v_sub_co_u32 v8, vcc_lo, v9, v13
	v_sub_co_ci_u32_e32 v9, vcc_lo, v10, v13, vcc_lo
                                        ; implicit-def: $vgpr10_vgpr11
.LBB113_63:                             ;   in Loop: Header=BB113_49 Depth=1
	s_and_not1_saveexec_b32 s0, s4
	s_cbranch_execz .LBB113_48
; %bb.64:                               ;   in Loop: Header=BB113_49 Depth=1
	v_cvt_f32_u32_e32 v8, v14
	v_sub_nc_u32_e32 v9, 0, v14
	s_delay_alu instid0(VALU_DEP_2) | instskip(SKIP_2) | instid1(VALU_DEP_1)
	v_rcp_iflag_f32_e32 v8, v8
	s_waitcnt_depctr 0xfff
	v_mul_f32_e32 v8, 0x4f7ffffe, v8
	v_cvt_u32_f32_e32 v8, v8
	s_delay_alu instid0(VALU_DEP_1) | instskip(NEXT) | instid1(VALU_DEP_1)
	v_mul_lo_u32 v9, v9, v8
	v_mul_hi_u32 v9, v8, v9
	s_delay_alu instid0(VALU_DEP_1) | instskip(NEXT) | instid1(VALU_DEP_1)
	v_add_nc_u32_e32 v8, v8, v9
	v_mul_hi_u32 v8, v10, v8
	s_delay_alu instid0(VALU_DEP_1) | instskip(NEXT) | instid1(VALU_DEP_1)
	v_mul_lo_u32 v9, v8, v14
	v_sub_nc_u32_e32 v9, v10, v9
	v_add_nc_u32_e32 v10, 1, v8
	s_delay_alu instid0(VALU_DEP_2) | instskip(SKIP_1) | instid1(VALU_DEP_2)
	v_sub_nc_u32_e32 v11, v9, v14
	v_cmp_ge_u32_e32 vcc_lo, v9, v14
	v_dual_cndmask_b32 v9, v9, v11 :: v_dual_cndmask_b32 v8, v8, v10
	s_delay_alu instid0(VALU_DEP_1) | instskip(NEXT) | instid1(VALU_DEP_2)
	v_cmp_ge_u32_e32 vcc_lo, v9, v14
	v_dual_mov_b32 v9, v24 :: v_dual_add_nc_u32 v10, 1, v8
	s_delay_alu instid0(VALU_DEP_1)
	v_cndmask_b32_e32 v8, v8, v10, vcc_lo
	s_branch .LBB113_48
.LBB113_65:
	s_nop 0
	s_sendmsg sendmsg(MSG_DEALLOC_VGPRS)
	s_endpgm
	.section	.rodata,"a",@progbits
	.p2align	6, 0x0
	.amdhsa_kernel _ZN2at6native12_GLOBAL__N_125multi_tensor_apply_kernelINS1_28TensorListScalarListMetadataIlLi4EEENS1_28PointwiseOpScalarListFunctorIlLi4ELi3ELi3EEEJSt7dividesIlEEEEvT_T0_DpT1_
		.amdhsa_group_segment_fixed_size 0
		.amdhsa_private_segment_fixed_size 0
		.amdhsa_kernarg_size 3592
		.amdhsa_user_sgpr_count 15
		.amdhsa_user_sgpr_dispatch_ptr 0
		.amdhsa_user_sgpr_queue_ptr 0
		.amdhsa_user_sgpr_kernarg_segment_ptr 1
		.amdhsa_user_sgpr_dispatch_id 0
		.amdhsa_user_sgpr_private_segment_size 0
		.amdhsa_wavefront_size32 1
		.amdhsa_uses_dynamic_stack 0
		.amdhsa_enable_private_segment 0
		.amdhsa_system_sgpr_workgroup_id_x 1
		.amdhsa_system_sgpr_workgroup_id_y 0
		.amdhsa_system_sgpr_workgroup_id_z 0
		.amdhsa_system_sgpr_workgroup_info 0
		.amdhsa_system_vgpr_workitem_id 0
		.amdhsa_next_free_vgpr 77
		.amdhsa_next_free_sgpr 30
		.amdhsa_reserve_vcc 1
		.amdhsa_float_round_mode_32 0
		.amdhsa_float_round_mode_16_64 0
		.amdhsa_float_denorm_mode_32 3
		.amdhsa_float_denorm_mode_16_64 3
		.amdhsa_dx10_clamp 1
		.amdhsa_ieee_mode 1
		.amdhsa_fp16_overflow 0
		.amdhsa_workgroup_processor_mode 1
		.amdhsa_memory_ordered 1
		.amdhsa_forward_progress 0
		.amdhsa_shared_vgpr_count 0
		.amdhsa_exception_fp_ieee_invalid_op 0
		.amdhsa_exception_fp_denorm_src 0
		.amdhsa_exception_fp_ieee_div_zero 0
		.amdhsa_exception_fp_ieee_overflow 0
		.amdhsa_exception_fp_ieee_underflow 0
		.amdhsa_exception_fp_ieee_inexact 0
		.amdhsa_exception_int_div_zero 0
	.end_amdhsa_kernel
	.section	.text._ZN2at6native12_GLOBAL__N_125multi_tensor_apply_kernelINS1_28TensorListScalarListMetadataIlLi4EEENS1_28PointwiseOpScalarListFunctorIlLi4ELi3ELi3EEEJSt7dividesIlEEEEvT_T0_DpT1_,"axG",@progbits,_ZN2at6native12_GLOBAL__N_125multi_tensor_apply_kernelINS1_28TensorListScalarListMetadataIlLi4EEENS1_28PointwiseOpScalarListFunctorIlLi4ELi3ELi3EEEJSt7dividesIlEEEEvT_T0_DpT1_,comdat
.Lfunc_end113:
	.size	_ZN2at6native12_GLOBAL__N_125multi_tensor_apply_kernelINS1_28TensorListScalarListMetadataIlLi4EEENS1_28PointwiseOpScalarListFunctorIlLi4ELi3ELi3EEEJSt7dividesIlEEEEvT_T0_DpT1_, .Lfunc_end113-_ZN2at6native12_GLOBAL__N_125multi_tensor_apply_kernelINS1_28TensorListScalarListMetadataIlLi4EEENS1_28PointwiseOpScalarListFunctorIlLi4ELi3ELi3EEEJSt7dividesIlEEEEvT_T0_DpT1_
                                        ; -- End function
	.section	.AMDGPU.csdata,"",@progbits
; Kernel info:
; codeLenInByte = 9880
; NumSgprs: 32
; NumVgprs: 77
; ScratchSize: 0
; MemoryBound: 1
; FloatMode: 240
; IeeeMode: 1
; LDSByteSize: 0 bytes/workgroup (compile time only)
; SGPRBlocks: 3
; VGPRBlocks: 9
; NumSGPRsForWavesPerEU: 32
; NumVGPRsForWavesPerEU: 77
; Occupancy: 16
; WaveLimiterHint : 1
; COMPUTE_PGM_RSRC2:SCRATCH_EN: 0
; COMPUTE_PGM_RSRC2:USER_SGPR: 15
; COMPUTE_PGM_RSRC2:TRAP_HANDLER: 0
; COMPUTE_PGM_RSRC2:TGID_X_EN: 1
; COMPUTE_PGM_RSRC2:TGID_Y_EN: 0
; COMPUTE_PGM_RSRC2:TGID_Z_EN: 0
; COMPUTE_PGM_RSRC2:TIDIG_COMP_CNT: 0
	.section	.text._ZN2at6native12_GLOBAL__N_125multi_tensor_apply_kernelINS1_28TensorListScalarListMetadataIsLi4EEENS1_28PointwiseOpScalarListFunctorIsLi4ELi3ELi3EEEJSt7dividesIsEEEEvT_T0_DpT1_,"axG",@progbits,_ZN2at6native12_GLOBAL__N_125multi_tensor_apply_kernelINS1_28TensorListScalarListMetadataIsLi4EEENS1_28PointwiseOpScalarListFunctorIsLi4ELi3ELi3EEEJSt7dividesIsEEEEvT_T0_DpT1_,comdat
	.globl	_ZN2at6native12_GLOBAL__N_125multi_tensor_apply_kernelINS1_28TensorListScalarListMetadataIsLi4EEENS1_28PointwiseOpScalarListFunctorIsLi4ELi3ELi3EEEJSt7dividesIsEEEEvT_T0_DpT1_ ; -- Begin function _ZN2at6native12_GLOBAL__N_125multi_tensor_apply_kernelINS1_28TensorListScalarListMetadataIsLi4EEENS1_28PointwiseOpScalarListFunctorIsLi4ELi3ELi3EEEJSt7dividesIsEEEEvT_T0_DpT1_
	.p2align	8
	.type	_ZN2at6native12_GLOBAL__N_125multi_tensor_apply_kernelINS1_28TensorListScalarListMetadataIsLi4EEENS1_28PointwiseOpScalarListFunctorIsLi4ELi3ELi3EEEJSt7dividesIsEEEEvT_T0_DpT1_,@function
_ZN2at6native12_GLOBAL__N_125multi_tensor_apply_kernelINS1_28TensorListScalarListMetadataIsLi4EEENS1_28PointwiseOpScalarListFunctorIsLi4ELi3ELi3EEEJSt7dividesIsEEEEvT_T0_DpT1_: ; @_ZN2at6native12_GLOBAL__N_125multi_tensor_apply_kernelINS1_28TensorListScalarListMetadataIsLi4EEENS1_28PointwiseOpScalarListFunctorIsLi4ELi3ELi3EEEJSt7dividesIsEEEEvT_T0_DpT1_
; %bb.0:
	v_mov_b32_e32 v1, s15
	s_add_u32 s2, s0, s15
	s_mul_i32 s3, s15, 3
	s_mul_hi_u32 s4, s15, 3
	s_addc_u32 s5, s1, 0
	global_load_u8 v1, v1, s[0:1] offset:1512
	s_add_u32 s2, s2, s3
	s_addc_u32 s3, s5, s4
	s_mov_b32 s19, 0
	s_load_b32 s2, s[2:3], 0x728
	s_waitcnt vmcnt(0)
	v_readfirstlane_b32 s3, v1
	v_mul_lo_u32 v2, v1, -6
	v_mul_hi_i32 v3, v1, -6
	s_delay_alu instid0(VALU_DEP_3) | instskip(SKIP_4) | instid1(VALU_DEP_2)
	s_lshl_b32 s12, s3, 3
	s_waitcnt lgkmcnt(0)
	s_ashr_i32 s3, s2, 31
	s_add_u32 s6, s0, s12
	s_addc_u32 s7, s1, 0
	v_add_co_u32 v1, vcc_lo, s6, v2
	s_delay_alu instid0(VALU_DEP_2)
	v_add_co_ci_u32_e32 v2, vcc_lo, s7, v3, vcc_lo
	s_load_b64 s[4:5], s[0:1], s12 offset:0x480
	s_lshl_b64 s[16:17], s[2:3], 17
	global_load_u16 v3, v[1:2], off offset:1440
	s_clause 0x3
	s_load_b64 s[6:7], s[0:1], s12 offset:0x120
	s_load_b64 s[8:9], s[0:1], s12 offset:0x0
	;; [unrolled: 1-line block ×4, first 2 shown]
	s_waitcnt lgkmcnt(0)
	s_add_u32 s14, s6, s16
	s_and_b32 s20, s8, 7
	s_and_b32 s18, s14, 7
	s_delay_alu instid0(SALU_CYCLE_1) | instskip(SKIP_2) | instid1(SALU_CYCLE_1)
	s_cmp_eq_u64 s[18:19], 0
	s_cselect_b32 s14, -1, 0
	s_add_u32 s15, s10, s16
	s_or_b32 s15, s12, s15
	s_delay_alu instid0(SALU_CYCLE_1) | instskip(NEXT) | instid1(SALU_CYCLE_1)
	s_and_b32 s15, s15, 7
	s_cmp_eq_u32 s15, 0
	s_cselect_b32 s15, -1, 0
	s_lshl_b64 s[2:3], s[2:3], 16
	s_and_b32 s21, s15, s14
	s_sub_u32 s14, s4, s2
	s_subb_u32 s15, s5, s3
	s_and_b32 s2, s4, 3
	s_delay_alu instid0(SALU_CYCLE_1) | instskip(NEXT) | instid1(SALU_CYCLE_1)
	s_or_b32 s18, s20, s2
	s_cmp_eq_u64 s[18:19], 0
	s_cselect_b32 s2, -1, 0
	s_delay_alu instid0(SALU_CYCLE_1) | instskip(NEXT) | instid1(SALU_CYCLE_1)
	s_and_b32 s2, s21, s2
	s_and_b32 vcc_lo, exec_lo, s2
	s_mov_b32 s2, -1
	s_cbranch_vccnz .LBB114_29
; %bb.1:
	v_cmp_lt_i64_e64 s2, s[14:15], 1
	s_delay_alu instid0(VALU_DEP_1)
	s_and_b32 vcc_lo, exec_lo, s2
	s_cbranch_vccnz .LBB114_28
; %bb.2:
	s_load_b32 s2, s[0:1], 0xc3c
	v_dual_mov_b32 v19, 0 :: v_dual_lshlrev_b32 v18, 1, v0
	v_cmp_gt_u64_e64 s3, 0x10000, s[14:15]
	s_mov_b64 s[20:21], 0
	s_delay_alu instid0(VALU_DEP_2) | instskip(NEXT) | instid1(VALU_DEP_1)
	v_add_co_u32 v1, s4, s8, v18
	v_add_co_ci_u32_e64 v2, null, s9, 0, s4
	v_add_co_u32 v4, s4, s6, v18
	s_delay_alu instid0(VALU_DEP_1) | instskip(SKIP_1) | instid1(VALU_DEP_1)
	v_add_co_ci_u32_e64 v5, null, s7, 0, s4
	v_add_co_u32 v6, s4, s10, v18
	v_add_co_ci_u32_e64 v7, null, s11, 0, s4
	v_add_co_u32 v8, s4, s12, v18
	s_waitcnt lgkmcnt(0)
	s_and_b32 s2, s2, 0xffff
	s_and_b32 s3, s3, exec_lo
	v_mad_u64_u32 v[16:17], null, s2, 6, v[18:19]
	v_add_co_ci_u32_e64 v9, null, s13, 0, s4
	s_cselect_b32 s19, s15, 0
	s_cselect_b32 s18, s14, 0x10000
	s_mul_i32 s4, s2, 3
	s_lshl_b32 s22, s2, 2
	s_delay_alu instid0(VALU_DEP_2) | instskip(NEXT) | instid1(VALU_DEP_3)
	v_add_co_u32 v10, vcc_lo, s8, v16
	v_add_co_ci_u32_e32 v11, vcc_lo, s9, v17, vcc_lo
	v_add_co_u32 v12, vcc_lo, s6, v16
	v_add_co_u32 v27, s5, s22, v18
	v_add_co_u32 v18, s4, s4, v0
	v_add_co_ci_u32_e32 v13, vcc_lo, s7, v17, vcc_lo
	v_add_co_ci_u32_e64 v19, null, 0, 0, s4
	v_add_co_u32 v26, s4, v0, s2
	v_add_co_u32 v14, vcc_lo, s10, v16
	v_add_co_ci_u32_e32 v15, vcc_lo, s11, v17, vcc_lo
	v_add_co_u32 v16, vcc_lo, s12, v16
	v_add_co_ci_u32_e64 v28, null, 0, 0, s5
	v_lshlrev_b32_e32 v38, 1, v26
	s_lshl_b32 s3, s2, 1
	v_add_co_ci_u32_e32 v17, vcc_lo, s13, v17, vcc_lo
	v_add_co_u32 v20, vcc_lo, s8, v27
	v_add_co_u32 v30, s3, s3, v0
	v_add_co_ci_u32_e32 v21, vcc_lo, s9, v28, vcc_lo
	v_add_co_u32 v22, vcc_lo, s6, v27
	v_add_co_ci_u32_e64 v31, null, 0, 0, s3
	v_add_co_u32 v32, s3, s8, v38
	v_add_co_ci_u32_e32 v23, vcc_lo, s7, v28, vcc_lo
	v_add_co_ci_u32_e64 v33, null, s9, 0, s3
	v_add_co_u32 v34, s3, s6, v38
	v_add_co_u32 v24, vcc_lo, s10, v27
	v_add_co_ci_u32_e64 v35, null, s7, 0, s3
	v_add_co_u32 v36, s3, s10, v38
	v_add_co_ci_u32_e32 v25, vcc_lo, s11, v28, vcc_lo
	v_add_co_u32 v27, vcc_lo, s12, v27
	v_add_co_ci_u32_e64 v37, null, s11, 0, s3
	v_add_co_u32 v38, s3, s12, v38
	v_add_co_ci_u32_e32 v28, vcc_lo, s13, v28, vcc_lo
	v_add_co_ci_u32_e64 v29, null, 0, 0, s4
	v_add_co_ci_u32_e64 v39, null, s13, 0, s3
	s_lshl_b32 s23, s2, 3
	s_branch .LBB114_4
.LBB114_3:                              ;   in Loop: Header=BB114_4 Depth=1
	s_or_b32 exec_lo, exec_lo, s2
	v_add_co_u32 v1, vcc_lo, v1, s23
	v_add_co_ci_u32_e32 v2, vcc_lo, 0, v2, vcc_lo
	v_add_co_u32 v4, vcc_lo, v4, s23
	v_add_co_ci_u32_e32 v5, vcc_lo, 0, v5, vcc_lo
	;; [unrolled: 2-line block ×13, first 2 shown]
	s_add_u32 s20, s20, s22
	v_add_co_u32 v34, vcc_lo, v34, s23
	s_addc_u32 s21, s21, 0
	v_add_co_ci_u32_e32 v35, vcc_lo, 0, v35, vcc_lo
	v_cmp_lt_i64_e64 s2, s[20:21], s[14:15]
	v_cmp_gt_u64_e64 s3, 0x10000, s[20:21]
	v_add_co_u32 v36, vcc_lo, v36, s23
	v_add_co_ci_u32_e32 v37, vcc_lo, 0, v37, vcc_lo
	v_add_co_u32 v38, vcc_lo, v38, s23
	v_add_co_ci_u32_e32 v39, vcc_lo, 0, v39, vcc_lo
	s_and_b32 s2, s2, s3
	s_delay_alu instid0(SALU_CYCLE_1)
	s_and_b32 vcc_lo, exec_lo, s2
	s_cbranch_vccz .LBB114_28
.LBB114_4:                              ; =>This Inner Loop Header: Depth=1
	s_waitcnt vmcnt(1)
	v_add_co_u32 v40, s2, v0, s20
	s_delay_alu instid0(VALU_DEP_1) | instskip(SKIP_2) | instid1(VALU_DEP_2)
	v_add_co_ci_u32_e64 v41, null, 0, s21, s2
	s_waitcnt vmcnt(0)
	v_mov_b32_e32 v43, 0
	v_cmp_gt_u64_e32 vcc_lo, s[18:19], v[40:41]
	v_mov_b32_e32 v41, 0
	s_and_saveexec_b32 s3, vcc_lo
	s_cbranch_execz .LBB114_6
; %bb.5:                                ;   in Loop: Header=BB114_4 Depth=1
	v_add_co_u32 v40, s2, v1, s16
	s_delay_alu instid0(VALU_DEP_1) | instskip(SKIP_1) | instid1(VALU_DEP_1)
	v_add_co_ci_u32_e64 v41, s2, s17, v2, s2
	v_add_co_u32 v42, s2, v4, s16
	v_add_co_ci_u32_e64 v43, s2, s17, v5, s2
	global_load_u16 v41, v[40:41], off
	global_load_u16 v43, v[42:43], off
.LBB114_6:                              ;   in Loop: Header=BB114_4 Depth=1
	s_or_b32 exec_lo, exec_lo, s3
	v_mov_b32_e32 v40, 0
	v_mov_b32_e32 v46, 0
	s_and_saveexec_b32 s3, vcc_lo
	s_cbranch_execz .LBB114_8
; %bb.7:                                ;   in Loop: Header=BB114_4 Depth=1
	v_add_co_u32 v44, s2, v6, s16
	s_delay_alu instid0(VALU_DEP_1)
	v_add_co_ci_u32_e64 v45, s2, s17, v7, s2
	global_load_u16 v46, v[44:45], off
.LBB114_8:                              ;   in Loop: Header=BB114_4 Depth=1
	s_or_b32 exec_lo, exec_lo, s3
	v_add_co_u32 v44, s2, v26, s20
	s_delay_alu instid0(VALU_DEP_1) | instskip(NEXT) | instid1(VALU_DEP_1)
	v_add_co_ci_u32_e64 v45, s2, s21, v29, s2
	v_cmp_gt_u64_e64 s2, s[18:19], v[44:45]
	v_mov_b32_e32 v45, 0
	s_delay_alu instid0(VALU_DEP_2)
	s_and_saveexec_b32 s4, s2
	s_cbranch_execz .LBB114_10
; %bb.9:                                ;   in Loop: Header=BB114_4 Depth=1
	v_add_co_u32 v44, s3, v32, s16
	s_delay_alu instid0(VALU_DEP_1) | instskip(SKIP_1) | instid1(VALU_DEP_1)
	v_add_co_ci_u32_e64 v45, s3, s17, v33, s3
	v_add_co_u32 v47, s3, v34, s16
	v_add_co_ci_u32_e64 v48, s3, s17, v35, s3
	global_load_u16 v40, v[44:45], off
	global_load_u16 v45, v[47:48], off
.LBB114_10:                             ;   in Loop: Header=BB114_4 Depth=1
	s_or_b32 exec_lo, exec_lo, s4
	v_mov_b32_e32 v42, 0
	v_mov_b32_e32 v48, 0
	s_and_saveexec_b32 s4, s2
	s_cbranch_execz .LBB114_12
; %bb.11:                               ;   in Loop: Header=BB114_4 Depth=1
	v_add_co_u32 v47, s3, v36, s16
	s_delay_alu instid0(VALU_DEP_1)
	v_add_co_ci_u32_e64 v48, s3, s17, v37, s3
	global_load_u16 v48, v[47:48], off
.LBB114_12:                             ;   in Loop: Header=BB114_4 Depth=1
	s_or_b32 exec_lo, exec_lo, s4
	v_add_co_u32 v49, s3, v30, s20
	s_delay_alu instid0(VALU_DEP_1) | instskip(SKIP_1) | instid1(VALU_DEP_2)
	v_add_co_ci_u32_e64 v50, s3, s21, v31, s3
	v_mov_b32_e32 v47, 0
	v_cmp_gt_u64_e64 s3, s[18:19], v[49:50]
	s_delay_alu instid0(VALU_DEP_1)
	s_and_saveexec_b32 s5, s3
	s_cbranch_execz .LBB114_14
; %bb.13:                               ;   in Loop: Header=BB114_4 Depth=1
	v_add_co_u32 v49, s4, v20, s16
	s_delay_alu instid0(VALU_DEP_1) | instskip(SKIP_1) | instid1(VALU_DEP_1)
	v_add_co_ci_u32_e64 v50, s4, s17, v21, s4
	v_add_co_u32 v51, s4, v22, s16
	v_add_co_ci_u32_e64 v52, s4, s17, v23, s4
	global_load_u16 v42, v[49:50], off
	global_load_u16 v47, v[51:52], off
.LBB114_14:                             ;   in Loop: Header=BB114_4 Depth=1
	s_or_b32 exec_lo, exec_lo, s5
	v_mov_b32_e32 v44, 0
	v_mov_b32_e32 v50, 0
	s_and_saveexec_b32 s5, s3
	s_cbranch_execz .LBB114_16
; %bb.15:                               ;   in Loop: Header=BB114_4 Depth=1
	v_add_co_u32 v49, s4, v24, s16
	s_delay_alu instid0(VALU_DEP_1)
	v_add_co_ci_u32_e64 v50, s4, s17, v25, s4
	global_load_u16 v50, v[49:50], off
.LBB114_16:                             ;   in Loop: Header=BB114_4 Depth=1
	s_or_b32 exec_lo, exec_lo, s5
	v_add_co_u32 v51, s4, v18, s20
	s_delay_alu instid0(VALU_DEP_1) | instskip(SKIP_1) | instid1(VALU_DEP_2)
	v_add_co_ci_u32_e64 v52, s4, s21, v19, s4
	v_mov_b32_e32 v49, 0
	v_cmp_gt_u64_e64 s4, s[18:19], v[51:52]
	s_delay_alu instid0(VALU_DEP_1)
	s_and_saveexec_b32 s24, s4
	s_cbranch_execnz .LBB114_22
; %bb.17:                               ;   in Loop: Header=BB114_4 Depth=1
	s_or_b32 exec_lo, exec_lo, s24
	v_mov_b32_e32 v51, 0
	s_and_saveexec_b32 s24, s4
	s_cbranch_execnz .LBB114_23
.LBB114_18:                             ;   in Loop: Header=BB114_4 Depth=1
	s_or_b32 exec_lo, exec_lo, s24
	s_and_saveexec_b32 s5, vcc_lo
	s_cbranch_execnz .LBB114_24
.LBB114_19:                             ;   in Loop: Header=BB114_4 Depth=1
	s_or_b32 exec_lo, exec_lo, s5
	s_and_saveexec_b32 s5, s2
	s_cbranch_execnz .LBB114_25
.LBB114_20:                             ;   in Loop: Header=BB114_4 Depth=1
	s_or_b32 exec_lo, exec_lo, s5
	s_and_saveexec_b32 s2, s3
	s_cbranch_execnz .LBB114_26
.LBB114_21:                             ;   in Loop: Header=BB114_4 Depth=1
	s_or_b32 exec_lo, exec_lo, s2
	s_and_saveexec_b32 s2, s4
	s_cbranch_execz .LBB114_3
	s_branch .LBB114_27
.LBB114_22:                             ;   in Loop: Header=BB114_4 Depth=1
	v_add_co_u32 v51, s5, v10, s16
	s_delay_alu instid0(VALU_DEP_1) | instskip(SKIP_1) | instid1(VALU_DEP_1)
	v_add_co_ci_u32_e64 v52, s5, s17, v11, s5
	v_add_co_u32 v53, s5, v12, s16
	v_add_co_ci_u32_e64 v54, s5, s17, v13, s5
	global_load_u16 v44, v[51:52], off
	global_load_u16 v49, v[53:54], off
	s_or_b32 exec_lo, exec_lo, s24
	v_mov_b32_e32 v51, 0
	s_and_saveexec_b32 s24, s4
	s_cbranch_execz .LBB114_18
.LBB114_23:                             ;   in Loop: Header=BB114_4 Depth=1
	v_add_co_u32 v51, s5, v14, s16
	s_delay_alu instid0(VALU_DEP_1)
	v_add_co_ci_u32_e64 v52, s5, s17, v15, s5
	global_load_u16 v51, v[51:52], off
	s_or_b32 exec_lo, exec_lo, s24
	s_and_saveexec_b32 s5, vcc_lo
	s_cbranch_execz .LBB114_19
.LBB114_24:                             ;   in Loop: Header=BB114_4 Depth=1
	s_waitcnt vmcnt(0)
	v_bfe_i32 v46, v46, 0, 16
	v_bfe_i32 v43, v43, 0, 16
	s_delay_alu instid0(VALU_DEP_2) | instskip(NEXT) | instid1(VALU_DEP_2)
	v_cvt_f32_i32_e32 v52, v46
	v_cvt_f32_i32_e32 v54, v43
	v_xor_b32_e32 v43, v43, v46
	s_delay_alu instid0(VALU_DEP_3) | instskip(NEXT) | instid1(VALU_DEP_1)
	v_rcp_iflag_f32_e32 v53, v52
	v_ashrrev_i32_e32 v43, 30, v43
	s_delay_alu instid0(VALU_DEP_1) | instskip(SKIP_2) | instid1(VALU_DEP_1)
	v_or_b32_e32 v43, 1, v43
	s_waitcnt_depctr 0xfff
	v_mul_f32_e32 v53, v54, v53
	v_trunc_f32_e32 v46, v53
	s_delay_alu instid0(VALU_DEP_1) | instskip(SKIP_1) | instid1(VALU_DEP_2)
	v_fma_f32 v53, -v46, v52, v54
	v_cvt_i32_f32_e32 v46, v46
	v_cmp_ge_f32_e64 vcc_lo, |v53|, |v52|
	v_cndmask_b32_e32 v43, 0, v43, vcc_lo
	v_add_co_u32 v52, vcc_lo, v8, s16
	v_add_co_ci_u32_e32 v53, vcc_lo, s17, v9, vcc_lo
	s_delay_alu instid0(VALU_DEP_3) | instskip(NEXT) | instid1(VALU_DEP_1)
	v_add_nc_u32_e32 v43, v46, v43
	v_mad_u16 v41, v3, v43, v41
	global_store_b16 v[52:53], v41, off
	s_or_b32 exec_lo, exec_lo, s5
	s_and_saveexec_b32 s5, s2
	s_cbranch_execz .LBB114_20
.LBB114_25:                             ;   in Loop: Header=BB114_4 Depth=1
	s_waitcnt vmcnt(0)
	v_bfe_i32 v41, v48, 0, 16
	v_bfe_i32 v45, v45, 0, 16
	s_delay_alu instid0(VALU_DEP_2) | instskip(NEXT) | instid1(VALU_DEP_2)
	v_cvt_f32_i32_e32 v43, v41
	v_xor_b32_e32 v41, v45, v41
	v_cvt_f32_i32_e32 v48, v45
	s_delay_alu instid0(VALU_DEP_3) | instskip(NEXT) | instid1(VALU_DEP_2)
	v_rcp_iflag_f32_e32 v46, v43
	v_ashrrev_i32_e32 v41, 30, v41
	s_delay_alu instid0(VALU_DEP_1) | instskip(SKIP_2) | instid1(VALU_DEP_1)
	v_or_b32_e32 v41, 1, v41
	s_waitcnt_depctr 0xfff
	v_mul_f32_e32 v46, v48, v46
	v_trunc_f32_e32 v45, v46
	s_delay_alu instid0(VALU_DEP_1) | instskip(SKIP_1) | instid1(VALU_DEP_2)
	v_fma_f32 v46, -v45, v43, v48
	v_cvt_i32_f32_e32 v45, v45
	v_cmp_ge_f32_e64 vcc_lo, |v46|, |v43|
	v_cndmask_b32_e32 v41, 0, v41, vcc_lo
	s_delay_alu instid0(VALU_DEP_1) | instskip(NEXT) | instid1(VALU_DEP_1)
	v_add_nc_u32_e32 v41, v45, v41
	v_mad_u16 v43, v3, v41, v40
	v_add_co_u32 v40, vcc_lo, v38, s16
	v_add_co_ci_u32_e32 v41, vcc_lo, s17, v39, vcc_lo
	global_store_b16 v[40:41], v43, off
	s_or_b32 exec_lo, exec_lo, s5
	s_and_saveexec_b32 s2, s3
	s_cbranch_execz .LBB114_21
.LBB114_26:                             ;   in Loop: Header=BB114_4 Depth=1
	s_waitcnt vmcnt(0)
	v_bfe_i32 v40, v50, 0, 16
	v_bfe_i32 v43, v47, 0, 16
	s_delay_alu instid0(VALU_DEP_2) | instskip(NEXT) | instid1(VALU_DEP_2)
	v_cvt_f32_i32_e32 v41, v40
	v_xor_b32_e32 v40, v43, v40
	v_cvt_f32_i32_e32 v46, v43
	s_delay_alu instid0(VALU_DEP_3) | instskip(NEXT) | instid1(VALU_DEP_2)
	v_rcp_iflag_f32_e32 v45, v41
	v_ashrrev_i32_e32 v40, 30, v40
	s_delay_alu instid0(VALU_DEP_1) | instskip(SKIP_2) | instid1(VALU_DEP_1)
	v_or_b32_e32 v40, 1, v40
	s_waitcnt_depctr 0xfff
	v_mul_f32_e32 v45, v46, v45
	v_trunc_f32_e32 v43, v45
	s_delay_alu instid0(VALU_DEP_1) | instskip(SKIP_1) | instid1(VALU_DEP_2)
	v_fma_f32 v45, -v43, v41, v46
	v_cvt_i32_f32_e32 v43, v43
	v_cmp_ge_f32_e64 vcc_lo, |v45|, |v41|
	v_cndmask_b32_e32 v40, 0, v40, vcc_lo
	s_delay_alu instid0(VALU_DEP_1) | instskip(NEXT) | instid1(VALU_DEP_1)
	v_add_nc_u32_e32 v40, v43, v40
	v_mad_u16 v42, v3, v40, v42
	v_add_co_u32 v40, vcc_lo, v27, s16
	v_add_co_ci_u32_e32 v41, vcc_lo, s17, v28, vcc_lo
	global_store_b16 v[40:41], v42, off
	s_or_b32 exec_lo, exec_lo, s2
	s_and_saveexec_b32 s2, s4
	s_cbranch_execz .LBB114_3
.LBB114_27:                             ;   in Loop: Header=BB114_4 Depth=1
	s_waitcnt vmcnt(0)
	v_bfe_i32 v40, v51, 0, 16
	v_bfe_i32 v42, v49, 0, 16
	s_delay_alu instid0(VALU_DEP_2) | instskip(NEXT) | instid1(VALU_DEP_2)
	v_cvt_f32_i32_e32 v41, v40
	v_xor_b32_e32 v40, v42, v40
	v_cvt_f32_i32_e32 v45, v42
	s_delay_alu instid0(VALU_DEP_3) | instskip(NEXT) | instid1(VALU_DEP_2)
	v_rcp_iflag_f32_e32 v43, v41
	v_ashrrev_i32_e32 v40, 30, v40
	s_delay_alu instid0(VALU_DEP_1) | instskip(SKIP_2) | instid1(VALU_DEP_1)
	v_or_b32_e32 v40, 1, v40
	s_waitcnt_depctr 0xfff
	v_mul_f32_e32 v43, v45, v43
	v_trunc_f32_e32 v42, v43
	s_delay_alu instid0(VALU_DEP_1) | instskip(SKIP_1) | instid1(VALU_DEP_2)
	v_fma_f32 v43, -v42, v41, v45
	v_cvt_i32_f32_e32 v42, v42
	v_cmp_ge_f32_e64 vcc_lo, |v43|, |v41|
	v_cndmask_b32_e32 v40, 0, v40, vcc_lo
	s_delay_alu instid0(VALU_DEP_1) | instskip(NEXT) | instid1(VALU_DEP_1)
	v_add_nc_u32_e32 v40, v42, v40
	v_mad_u16 v42, v3, v40, v44
	v_add_co_u32 v40, vcc_lo, v16, s16
	v_add_co_ci_u32_e32 v41, vcc_lo, s17, v17, vcc_lo
	global_store_b16 v[40:41], v42, off
	s_branch .LBB114_3
.LBB114_28:
	s_mov_b32 s2, 0
.LBB114_29:
	s_delay_alu instid0(SALU_CYCLE_1)
	s_and_not1_b32 vcc_lo, exec_lo, s2
	s_cbranch_vccnz .LBB114_33
; %bb.30:
	v_dual_mov_b32 v2, 0 :: v_dual_lshlrev_b32 v1, 2, v0
	s_mov_b32 s3, 0
	s_mov_b32 s2, exec_lo
	s_delay_alu instid0(VALU_DEP_1)
	v_cmpx_gt_i64_e64 s[14:15], v[1:2]
	s_cbranch_execz .LBB114_33
; %bb.31:
	s_load_b32 s0, s[0:1], 0xc3c
	v_lshlrev_b32_e32 v1, 3, v0
	s_delay_alu instid0(VALU_DEP_1) | instskip(NEXT) | instid1(VALU_DEP_1)
	v_add_co_u32 v4, s1, s16, v1
	v_add_co_ci_u32_e64 v5, null, s17, 0, s1
	s_waitcnt lgkmcnt(0)
	s_and_b32 s0, s0, 0xffff
	s_delay_alu instid0(SALU_CYCLE_1)
	v_add_lshl_u32 v1, v0, s0, 2
	s_lshl_b32 s4, s0, 3
	s_lshl_b32 s5, s0, 2
.LBB114_32:                             ; =>This Inner Loop Header: Depth=1
	v_add_co_u32 v6, vcc_lo, s6, v4
	v_add_co_ci_u32_e32 v7, vcc_lo, s7, v5, vcc_lo
	v_add_co_u32 v8, vcc_lo, s10, v4
	v_add_co_ci_u32_e32 v9, vcc_lo, s11, v5, vcc_lo
	;; [unrolled: 2-line block ×3, first 2 shown]
	global_load_b64 v[6:7], v[6:7], off
	global_load_b64 v[8:9], v[8:9], off
	;; [unrolled: 1-line block ×3, first 2 shown]
	v_add_co_u32 v12, vcc_lo, s12, v4
	v_add_co_ci_u32_e32 v13, vcc_lo, s13, v5, vcc_lo
	v_cmp_le_i64_e32 vcc_lo, s[14:15], v[1:2]
	v_cmp_lt_u64_e64 s0, 0xffff, v[1:2]
	v_add_co_u32 v4, s1, v4, s4
	s_delay_alu instid0(VALU_DEP_1) | instskip(SKIP_1) | instid1(VALU_DEP_4)
	v_add_co_ci_u32_e64 v5, s1, 0, v5, s1
	v_add_co_u32 v1, s1, v1, s5
	s_or_b32 s0, vcc_lo, s0
	v_add_co_ci_u32_e64 v2, s1, 0, v2, s1
	s_and_b32 s0, exec_lo, s0
	s_delay_alu instid0(SALU_CYCLE_1)
	s_or_b32 s3, s0, s3
	s_waitcnt vmcnt(2)
	v_bfe_i32 v0, v6, 0, 16
	s_waitcnt vmcnt(1)
	v_bfe_i32 v14, v8, 0, 16
	v_ashrrev_i32_e32 v16, 16, v6
	v_ashrrev_i32_e32 v17, 16, v8
	v_alignbit_b32 v6, v7, v6, 16
	v_alignbit_b32 v8, v9, v8, 16
	v_ashrrev_i32_e32 v7, 16, v7
	v_ashrrev_i32_e32 v9, 16, v9
	v_xor_b32_e32 v19, v0, v14
	v_cvt_f32_i32_e32 v14, v14
	v_xor_b32_e32 v20, v16, v17
	v_cvt_f32_i32_e32 v17, v17
	v_ashrrev_i32_e32 v6, 16, v6
	v_ashrrev_i32_e32 v8, 16, v8
	v_xor_b32_e32 v21, v7, v9
	v_cvt_f32_i32_e32 v9, v9
	v_rcp_iflag_f32_e32 v22, v14
	v_cvt_f32_i32_e32 v0, v0
	v_rcp_iflag_f32_e32 v23, v17
	v_xor_b32_e32 v24, v6, v8
	v_cvt_f32_i32_e32 v8, v8
	v_rcp_iflag_f32_e32 v25, v9
	v_cvt_f32_i32_e32 v16, v16
	v_cvt_f32_i32_e32 v7, v7
	;; [unrolled: 1-line block ×3, first 2 shown]
	v_rcp_iflag_f32_e32 v26, v8
	v_mul_f32_e32 v22, v0, v22
	v_ashrrev_i32_e32 v19, 30, v19
	v_mul_f32_e32 v23, v16, v23
	v_ashrrev_i32_e32 v20, 30, v20
	v_ashrrev_i32_e32 v21, 30, v21
	v_mul_f32_e32 v25, v7, v25
	v_trunc_f32_e32 v22, v22
	v_or_b32_e32 v19, 1, v19
	v_or_b32_e32 v20, 1, v20
	v_mul_f32_e32 v26, v6, v26
	v_trunc_f32_e32 v23, v23
	v_fma_f32 v0, -v22, v14, v0
	v_trunc_f32_e32 v25, v25
	v_ashrrev_i32_e32 v24, 30, v24
	v_trunc_f32_e32 v26, v26
	v_fma_f32 v16, -v23, v17, v16
	v_cmp_ge_f32_e64 s2, |v0|, |v14|
	v_fma_f32 v7, -v25, v9, v7
	v_or_b32_e32 v21, 1, v21
	v_fma_f32 v6, -v26, v8, v6
	v_or_b32_e32 v24, 1, v24
	v_cndmask_b32_e64 v0, 0, v19, s2
	v_cmp_ge_f32_e64 s2, |v16|, |v17|
	v_cvt_i32_f32_e32 v22, v22
	v_cvt_i32_f32_e32 v23, v23
	s_waitcnt vmcnt(0)
	v_lshrrev_b32_e32 v15, 16, v10
	v_cvt_i32_f32_e32 v25, v25
	v_cndmask_b32_e64 v14, 0, v20, s2
	v_cmp_ge_f32_e64 s2, |v7|, |v9|
	v_cvt_i32_f32_e32 v16, v26
	v_add_nc_u32_e32 v0, v22, v0
	v_lshrrev_b32_e32 v18, 16, v11
	v_add_nc_u32_e32 v9, v23, v14
	v_cndmask_b32_e64 v7, 0, v21, s2
	v_cmp_ge_f32_e64 s2, |v6|, |v8|
	v_mad_u16 v0, v3, v0, v10
	s_delay_alu instid0(VALU_DEP_4) | instskip(NEXT) | instid1(VALU_DEP_4)
	v_mad_u16 v8, v3, v9, v15
	v_add_nc_u32_e32 v7, v25, v7
	s_delay_alu instid0(VALU_DEP_4) | instskip(NEXT) | instid1(VALU_DEP_4)
	v_cndmask_b32_e64 v6, 0, v24, s2
	v_and_b32_e32 v0, 0xffff, v0
	s_delay_alu instid0(VALU_DEP_4) | instskip(NEXT) | instid1(VALU_DEP_4)
	v_lshlrev_b32_e32 v8, 16, v8
	v_mad_u16 v7, v3, v7, v18
	s_delay_alu instid0(VALU_DEP_4) | instskip(NEXT) | instid1(VALU_DEP_3)
	v_add_nc_u32_e32 v6, v16, v6
	v_or_b32_e32 v0, v8, v0
	s_delay_alu instid0(VALU_DEP_3) | instskip(NEXT) | instid1(VALU_DEP_3)
	v_lshlrev_b32_e32 v7, 16, v7
	v_mad_u16 v6, v3, v6, v11
	s_delay_alu instid0(VALU_DEP_1) | instskip(NEXT) | instid1(VALU_DEP_1)
	v_and_b32_e32 v6, 0xffff, v6
	v_or3_b32 v7, 0, v6, v7
	v_or3_b32 v6, v0, 0, 0
	global_store_b64 v[12:13], v[6:7], off
	s_and_not1_b32 exec_lo, exec_lo, s3
	s_cbranch_execnz .LBB114_32
.LBB114_33:
	s_nop 0
	s_sendmsg sendmsg(MSG_DEALLOC_VGPRS)
	s_endpgm
	.section	.rodata,"a",@progbits
	.p2align	6, 0x0
	.amdhsa_kernel _ZN2at6native12_GLOBAL__N_125multi_tensor_apply_kernelINS1_28TensorListScalarListMetadataIsLi4EEENS1_28PointwiseOpScalarListFunctorIsLi4ELi3ELi3EEEJSt7dividesIsEEEEvT_T0_DpT1_
		.amdhsa_group_segment_fixed_size 0
		.amdhsa_private_segment_fixed_size 0
		.amdhsa_kernarg_size 3376
		.amdhsa_user_sgpr_count 15
		.amdhsa_user_sgpr_dispatch_ptr 0
		.amdhsa_user_sgpr_queue_ptr 0
		.amdhsa_user_sgpr_kernarg_segment_ptr 1
		.amdhsa_user_sgpr_dispatch_id 0
		.amdhsa_user_sgpr_private_segment_size 0
		.amdhsa_wavefront_size32 1
		.amdhsa_uses_dynamic_stack 0
		.amdhsa_enable_private_segment 0
		.amdhsa_system_sgpr_workgroup_id_x 1
		.amdhsa_system_sgpr_workgroup_id_y 0
		.amdhsa_system_sgpr_workgroup_id_z 0
		.amdhsa_system_sgpr_workgroup_info 0
		.amdhsa_system_vgpr_workitem_id 0
		.amdhsa_next_free_vgpr 55
		.amdhsa_next_free_sgpr 25
		.amdhsa_reserve_vcc 1
		.amdhsa_float_round_mode_32 0
		.amdhsa_float_round_mode_16_64 0
		.amdhsa_float_denorm_mode_32 3
		.amdhsa_float_denorm_mode_16_64 3
		.amdhsa_dx10_clamp 1
		.amdhsa_ieee_mode 1
		.amdhsa_fp16_overflow 0
		.amdhsa_workgroup_processor_mode 1
		.amdhsa_memory_ordered 1
		.amdhsa_forward_progress 0
		.amdhsa_shared_vgpr_count 0
		.amdhsa_exception_fp_ieee_invalid_op 0
		.amdhsa_exception_fp_denorm_src 0
		.amdhsa_exception_fp_ieee_div_zero 0
		.amdhsa_exception_fp_ieee_overflow 0
		.amdhsa_exception_fp_ieee_underflow 0
		.amdhsa_exception_fp_ieee_inexact 0
		.amdhsa_exception_int_div_zero 0
	.end_amdhsa_kernel
	.section	.text._ZN2at6native12_GLOBAL__N_125multi_tensor_apply_kernelINS1_28TensorListScalarListMetadataIsLi4EEENS1_28PointwiseOpScalarListFunctorIsLi4ELi3ELi3EEEJSt7dividesIsEEEEvT_T0_DpT1_,"axG",@progbits,_ZN2at6native12_GLOBAL__N_125multi_tensor_apply_kernelINS1_28TensorListScalarListMetadataIsLi4EEENS1_28PointwiseOpScalarListFunctorIsLi4ELi3ELi3EEEJSt7dividesIsEEEEvT_T0_DpT1_,comdat
.Lfunc_end114:
	.size	_ZN2at6native12_GLOBAL__N_125multi_tensor_apply_kernelINS1_28TensorListScalarListMetadataIsLi4EEENS1_28PointwiseOpScalarListFunctorIsLi4ELi3ELi3EEEJSt7dividesIsEEEEvT_T0_DpT1_, .Lfunc_end114-_ZN2at6native12_GLOBAL__N_125multi_tensor_apply_kernelINS1_28TensorListScalarListMetadataIsLi4EEENS1_28PointwiseOpScalarListFunctorIsLi4ELi3ELi3EEEJSt7dividesIsEEEEvT_T0_DpT1_
                                        ; -- End function
	.section	.AMDGPU.csdata,"",@progbits
; Kernel info:
; codeLenInByte = 2876
; NumSgprs: 27
; NumVgprs: 55
; ScratchSize: 0
; MemoryBound: 0
; FloatMode: 240
; IeeeMode: 1
; LDSByteSize: 0 bytes/workgroup (compile time only)
; SGPRBlocks: 3
; VGPRBlocks: 6
; NumSGPRsForWavesPerEU: 27
; NumVGPRsForWavesPerEU: 55
; Occupancy: 16
; WaveLimiterHint : 0
; COMPUTE_PGM_RSRC2:SCRATCH_EN: 0
; COMPUTE_PGM_RSRC2:USER_SGPR: 15
; COMPUTE_PGM_RSRC2:TRAP_HANDLER: 0
; COMPUTE_PGM_RSRC2:TGID_X_EN: 1
; COMPUTE_PGM_RSRC2:TGID_Y_EN: 0
; COMPUTE_PGM_RSRC2:TGID_Z_EN: 0
; COMPUTE_PGM_RSRC2:TIDIG_COMP_CNT: 0
	.section	.text._ZN2at6native12_GLOBAL__N_125multi_tensor_apply_kernelINS1_28TensorListScalarListMetadataIdLi4EEENS1_28PointwiseOpScalarListFunctorIdLi4ELi3ELi3EEEJSt7dividesIdEEEEvT_T0_DpT1_,"axG",@progbits,_ZN2at6native12_GLOBAL__N_125multi_tensor_apply_kernelINS1_28TensorListScalarListMetadataIdLi4EEENS1_28PointwiseOpScalarListFunctorIdLi4ELi3ELi3EEEJSt7dividesIdEEEEvT_T0_DpT1_,comdat
	.globl	_ZN2at6native12_GLOBAL__N_125multi_tensor_apply_kernelINS1_28TensorListScalarListMetadataIdLi4EEENS1_28PointwiseOpScalarListFunctorIdLi4ELi3ELi3EEEJSt7dividesIdEEEEvT_T0_DpT1_ ; -- Begin function _ZN2at6native12_GLOBAL__N_125multi_tensor_apply_kernelINS1_28TensorListScalarListMetadataIdLi4EEENS1_28PointwiseOpScalarListFunctorIdLi4ELi3ELi3EEEJSt7dividesIdEEEEvT_T0_DpT1_
	.p2align	8
	.type	_ZN2at6native12_GLOBAL__N_125multi_tensor_apply_kernelINS1_28TensorListScalarListMetadataIdLi4EEENS1_28PointwiseOpScalarListFunctorIdLi4ELi3ELi3EEEJSt7dividesIdEEEEvT_T0_DpT1_,@function
_ZN2at6native12_GLOBAL__N_125multi_tensor_apply_kernelINS1_28TensorListScalarListMetadataIdLi4EEENS1_28PointwiseOpScalarListFunctorIdLi4ELi3ELi3EEEJSt7dividesIdEEEEvT_T0_DpT1_: ; @_ZN2at6native12_GLOBAL__N_125multi_tensor_apply_kernelINS1_28TensorListScalarListMetadataIdLi4EEENS1_28PointwiseOpScalarListFunctorIdLi4ELi3ELi3EEEJSt7dividesIdEEEEvT_T0_DpT1_
; %bb.0:
	v_mov_b32_e32 v1, s15
	s_add_u32 s2, s0, s15
	s_mul_hi_u32 s3, s15, 3
	s_mul_i32 s15, s15, 3
	s_addc_u32 s4, s1, 0
	global_load_u8 v1, v1, s[0:1] offset:1728
	s_add_u32 s2, s2, s15
	s_addc_u32 s3, s4, s3
	s_mov_b32 s27, 0
	s_load_b32 s8, s[2:3], 0x800
	s_mov_b32 s23, s27
	s_waitcnt lgkmcnt(0)
	s_ashr_i32 s9, s8, 31
	s_delay_alu instid0(SALU_CYCLE_1) | instskip(SKIP_2) | instid1(VALU_DEP_1)
	s_lshl_b64 s[10:11], s[8:9], 19
	s_waitcnt vmcnt(0)
	v_readfirstlane_b32 s5, v1
	s_lshl_b32 s6, s5, 3
	s_clause 0x5
	s_load_b64 s[2:3], s[0:1], s6 offset:0x0
	s_load_b64 s[4:5], s[0:1], s6 offset:0x120
	;; [unrolled: 1-line block ×6, first 2 shown]
	s_waitcnt lgkmcnt(0)
	s_add_u32 s18, s2, s10
	s_addc_u32 s19, s3, s11
	s_and_b32 s26, s18, 31
	s_add_u32 s20, s4, s10
	s_addc_u32 s21, s5, s11
	s_and_b32 s22, s20, 31
	s_delay_alu instid0(SALU_CYCLE_1)
	s_cmp_eq_u64 s[22:23], 0
	s_cselect_b32 s28, -1, 0
	s_add_u32 s22, s14, s10
	s_addc_u32 s23, s15, s11
	s_add_u32 s24, s16, s10
	s_addc_u32 s25, s17, s11
	s_or_b32 s29, s24, s22
	s_delay_alu instid0(SALU_CYCLE_1) | instskip(NEXT) | instid1(SALU_CYCLE_1)
	s_and_b32 s29, s29, 31
	s_cmp_eq_u32 s29, 0
	s_cselect_b32 s29, -1, 0
	s_lshl_b64 s[8:9], s[8:9], 16
	s_and_b32 s28, s29, s28
	s_sub_u32 s8, s12, s8
	s_subb_u32 s9, s13, s9
	s_and_b32 s12, s12, 3
	s_mov_b32 s13, s27
	s_delay_alu instid0(SALU_CYCLE_1) | instskip(NEXT) | instid1(SALU_CYCLE_1)
	s_or_b64 s[12:13], s[26:27], s[12:13]
	s_cmp_eq_u64 s[12:13], 0
	s_cselect_b32 s12, -1, 0
	s_delay_alu instid0(SALU_CYCLE_1) | instskip(NEXT) | instid1(SALU_CYCLE_1)
	s_and_b32 s12, s28, s12
	s_and_b32 vcc_lo, exec_lo, s12
	s_mov_b32 s12, -1
	s_cbranch_vccnz .LBB115_45
; %bb.1:
	v_cmp_lt_i64_e64 s12, s[8:9], 1
	s_delay_alu instid0(VALU_DEP_1)
	s_and_b32 vcc_lo, exec_lo, s12
	s_cbranch_vccnz .LBB115_44
; %bb.2:
	s_load_b32 s12, s[0:1], 0xd14
	v_dual_mov_b32 v2, 0 :: v_dual_lshlrev_b32 v1, 3, v0
	v_cmp_gt_u64_e64 s13, 0x10000, s[8:9]
	v_cmp_neq_f64_e64 s26, s[6:7], 1.0
	s_delay_alu instid0(VALU_DEP_3) | instskip(NEXT) | instid1(VALU_DEP_1)
	v_add_co_u32 v25, s27, s2, v1
	v_add_co_ci_u32_e64 v26, null, s3, 0, s27
	v_add_co_u32 v27, s27, s4, v1
	s_delay_alu instid0(VALU_DEP_1) | instskip(SKIP_1) | instid1(VALU_DEP_1)
	v_add_co_ci_u32_e64 v28, null, s5, 0, s27
	v_add_co_u32 v29, s27, s14, v1
	v_add_co_ci_u32_e64 v30, null, s15, 0, s27
	s_waitcnt lgkmcnt(0)
	s_and_b32 s27, s12, 0xffff
	v_add_co_u32 v31, s12, s16, v1
	v_mad_u64_u32 v[3:4], null, s27, 24, v[1:2]
	v_add_co_ci_u32_e64 v32, null, s17, 0, s12
	s_and_b32 s12, s13, exec_lo
	s_cselect_b32 s13, s9, 0
	s_cselect_b32 s12, s8, 0x10000
	s_lshl_b32 s30, s27, 4
	s_delay_alu instid0(VALU_DEP_2) | instskip(NEXT) | instid1(VALU_DEP_3)
	v_add_co_u32 v33, vcc_lo, s2, v3
	v_add_co_ci_u32_e32 v34, vcc_lo, s3, v4, vcc_lo
	v_add_co_u32 v35, vcc_lo, s4, v3
	v_add_co_ci_u32_e32 v36, vcc_lo, s5, v4, vcc_lo
	v_add_co_u32 v37, vcc_lo, s14, v3
	v_add_co_u32 v1, s30, s30, v1
	v_add_co_ci_u32_e32 v38, vcc_lo, s15, v4, vcc_lo
	v_add_co_u32 v39, vcc_lo, s16, v3
	v_add_co_ci_u32_e64 v2, null, 0, 0, s30
	v_add_co_ci_u32_e32 v40, vcc_lo, s17, v4, vcc_lo
	s_mul_i32 s29, s27, 3
	v_add_co_u32 v43, vcc_lo, s2, v1
	v_add_co_u32 v41, s29, s29, v0
	v_add_co_ci_u32_e32 v44, vcc_lo, s3, v2, vcc_lo
	v_add_co_u32 v45, vcc_lo, s4, v1
	v_add_co_ci_u32_e64 v42, null, 0, 0, s29
	v_add_co_u32 v49, s29, v0, s27
	v_add_co_ci_u32_e32 v46, vcc_lo, s5, v2, vcc_lo
	v_add_co_u32 v47, vcc_lo, s14, v1
	v_add_co_ci_u32_e32 v48, vcc_lo, s15, v2, vcc_lo
	v_add_co_u32 v50, vcc_lo, s16, v1
	v_lshlrev_b32_e32 v1, 3, v49
	s_lshl_b32 s28, s27, 1
	v_add_co_ci_u32_e32 v51, vcc_lo, s17, v2, vcc_lo
	v_add_co_u32 v53, s28, s28, v0
	s_delay_alu instid0(VALU_DEP_3) | instskip(NEXT) | instid1(VALU_DEP_1)
	v_add_co_u32 v55, s2, s2, v1
	v_add_co_ci_u32_e64 v56, null, s3, 0, s2
	v_add_co_u32 v57, s2, s4, v1
	s_delay_alu instid0(VALU_DEP_1) | instskip(SKIP_1) | instid1(VALU_DEP_1)
	v_add_co_ci_u32_e64 v58, null, s5, 0, s2
	v_add_co_u32 v59, s2, s14, v1
	v_add_co_ci_u32_e64 v60, null, s15, 0, s2
	v_add_co_u32 v61, s2, s16, v1
	v_add_co_ci_u32_e64 v52, null, 0, 0, s29
	v_add_co_ci_u32_e64 v54, null, 0, 0, s28
	;; [unrolled: 1-line block ×3, first 2 shown]
	s_lshl_b32 s16, s27, 2
	s_lshl_b32 s17, s27, 5
	s_mov_b64 s[14:15], 0
	s_branch .LBB115_4
.LBB115_3:                              ;   in Loop: Header=BB115_4 Depth=1
	s_or_b32 exec_lo, exec_lo, s2
	v_add_co_u32 v25, vcc_lo, v25, s17
	v_add_co_ci_u32_e32 v26, vcc_lo, 0, v26, vcc_lo
	v_add_co_u32 v27, vcc_lo, v27, s17
	v_add_co_ci_u32_e32 v28, vcc_lo, 0, v28, vcc_lo
	;; [unrolled: 2-line block ×13, first 2 shown]
	s_add_u32 s14, s14, s16
	v_add_co_u32 v57, vcc_lo, v57, s17
	s_addc_u32 s15, s15, 0
	v_add_co_ci_u32_e32 v58, vcc_lo, 0, v58, vcc_lo
	v_cmp_ge_i64_e64 s2, s[14:15], s[8:9]
	v_cmp_lt_u64_e64 s3, 0xffff, s[14:15]
	v_add_co_u32 v59, vcc_lo, v59, s17
	v_add_co_ci_u32_e32 v60, vcc_lo, 0, v60, vcc_lo
	v_add_co_u32 v61, vcc_lo, v61, s17
	v_add_co_ci_u32_e32 v62, vcc_lo, 0, v62, vcc_lo
	s_or_b32 s2, s2, s3
	s_delay_alu instid0(SALU_CYCLE_1)
	s_and_b32 vcc_lo, exec_lo, s2
	s_cbranch_vccnz .LBB115_44
.LBB115_4:                              ; =>This Inner Loop Header: Depth=1
	v_add_co_u32 v1, s2, v0, s14
	s_delay_alu instid0(VALU_DEP_1) | instskip(SKIP_2) | instid1(VALU_DEP_3)
	v_add_co_ci_u32_e64 v2, null, 0, s15, s2
	v_mov_b32_e32 v7, 0
	v_mov_b32_e32 v8, 0
	v_cmp_gt_u64_e64 s2, s[12:13], v[1:2]
	s_delay_alu instid0(VALU_DEP_2) | instskip(SKIP_1) | instid1(VALU_DEP_3)
	v_dual_mov_b32 v1, v7 :: v_dual_mov_b32 v2, v8
	v_dual_mov_b32 v14, v8 :: v_dual_mov_b32 v13, v7
	s_and_saveexec_b32 s3, s2
	s_cbranch_execz .LBB115_6
; %bb.5:                                ;   in Loop: Header=BB115_4 Depth=1
	v_add_co_u32 v1, vcc_lo, v25, s10
	v_add_co_ci_u32_e32 v2, vcc_lo, s11, v26, vcc_lo
	v_add_co_u32 v3, vcc_lo, v27, s10
	v_add_co_ci_u32_e32 v4, vcc_lo, s11, v28, vcc_lo
	global_load_b64 v[1:2], v[1:2], off
	global_load_b64 v[13:14], v[3:4], off
.LBB115_6:                              ;   in Loop: Header=BB115_4 Depth=1
	s_or_b32 exec_lo, exec_lo, s3
	s_and_saveexec_b32 s3, s2
	s_cbranch_execz .LBB115_8
; %bb.7:                                ;   in Loop: Header=BB115_4 Depth=1
	v_add_co_u32 v3, vcc_lo, v29, s10
	v_add_co_ci_u32_e32 v4, vcc_lo, s11, v30, vcc_lo
	global_load_b64 v[7:8], v[3:4], off
.LBB115_8:                              ;   in Loop: Header=BB115_4 Depth=1
	s_or_b32 exec_lo, exec_lo, s3
	v_add_co_u32 v3, vcc_lo, v49, s14
	v_add_co_ci_u32_e32 v4, vcc_lo, s15, v52, vcc_lo
	v_mov_b32_e32 v11, 0
	v_mov_b32_e32 v12, 0
	s_delay_alu instid0(VALU_DEP_3) | instskip(NEXT) | instid1(VALU_DEP_2)
	v_cmp_gt_u64_e64 s3, s[12:13], v[3:4]
	v_dual_mov_b32 v3, v11 :: v_dual_mov_b32 v4, v12
	v_dual_mov_b32 v18, v12 :: v_dual_mov_b32 v17, v11
	s_delay_alu instid0(VALU_DEP_3)
	s_and_saveexec_b32 s4, s3
	s_cbranch_execz .LBB115_10
; %bb.9:                                ;   in Loop: Header=BB115_4 Depth=1
	v_add_co_u32 v3, vcc_lo, v55, s10
	v_add_co_ci_u32_e32 v4, vcc_lo, s11, v56, vcc_lo
	v_add_co_u32 v5, vcc_lo, v57, s10
	v_add_co_ci_u32_e32 v6, vcc_lo, s11, v58, vcc_lo
	global_load_b64 v[3:4], v[3:4], off
	global_load_b64 v[17:18], v[5:6], off
.LBB115_10:                             ;   in Loop: Header=BB115_4 Depth=1
	s_or_b32 exec_lo, exec_lo, s4
	s_and_saveexec_b32 s4, s3
	s_cbranch_execz .LBB115_12
; %bb.11:                               ;   in Loop: Header=BB115_4 Depth=1
	v_add_co_u32 v5, vcc_lo, v59, s10
	v_add_co_ci_u32_e32 v6, vcc_lo, s11, v60, vcc_lo
	global_load_b64 v[11:12], v[5:6], off
.LBB115_12:                             ;   in Loop: Header=BB115_4 Depth=1
	s_or_b32 exec_lo, exec_lo, s4
	v_add_co_u32 v5, vcc_lo, v53, s14
	v_add_co_ci_u32_e32 v6, vcc_lo, s15, v54, vcc_lo
	v_mov_b32_e32 v15, 0
	v_mov_b32_e32 v16, 0
	s_delay_alu instid0(VALU_DEP_3) | instskip(NEXT) | instid1(VALU_DEP_2)
	v_cmp_gt_u64_e64 s4, s[12:13], v[5:6]
	v_dual_mov_b32 v5, v15 :: v_dual_mov_b32 v6, v16
	v_dual_mov_b32 v20, v16 :: v_dual_mov_b32 v19, v15
	s_delay_alu instid0(VALU_DEP_3)
	s_and_saveexec_b32 s5, s4
	s_cbranch_execz .LBB115_14
; %bb.13:                               ;   in Loop: Header=BB115_4 Depth=1
	v_add_co_u32 v5, vcc_lo, v43, s10
	v_add_co_ci_u32_e32 v6, vcc_lo, s11, v44, vcc_lo
	v_add_co_u32 v9, vcc_lo, v45, s10
	v_add_co_ci_u32_e32 v10, vcc_lo, s11, v46, vcc_lo
	global_load_b64 v[5:6], v[5:6], off
	global_load_b64 v[19:20], v[9:10], off
.LBB115_14:                             ;   in Loop: Header=BB115_4 Depth=1
	s_or_b32 exec_lo, exec_lo, s5
	s_and_saveexec_b32 s5, s4
	s_cbranch_execz .LBB115_16
; %bb.15:                               ;   in Loop: Header=BB115_4 Depth=1
	v_add_co_u32 v9, vcc_lo, v47, s10
	v_add_co_ci_u32_e32 v10, vcc_lo, s11, v48, vcc_lo
	global_load_b64 v[15:16], v[9:10], off
.LBB115_16:                             ;   in Loop: Header=BB115_4 Depth=1
	s_or_b32 exec_lo, exec_lo, s5
	v_add_co_u32 v9, vcc_lo, v41, s14
	v_add_co_ci_u32_e32 v10, vcc_lo, s15, v42, vcc_lo
	v_mov_b32_e32 v21, 0
	v_mov_b32_e32 v22, 0
	s_delay_alu instid0(VALU_DEP_3) | instskip(NEXT) | instid1(VALU_DEP_2)
	v_cmp_gt_u64_e64 s5, s[12:13], v[9:10]
	v_dual_mov_b32 v9, v21 :: v_dual_mov_b32 v10, v22
	v_dual_mov_b32 v24, v22 :: v_dual_mov_b32 v23, v21
	s_delay_alu instid0(VALU_DEP_3)
	s_and_saveexec_b32 s27, s5
	s_cbranch_execz .LBB115_18
; %bb.17:                               ;   in Loop: Header=BB115_4 Depth=1
	v_add_co_u32 v9, vcc_lo, v33, s10
	v_add_co_ci_u32_e32 v10, vcc_lo, s11, v34, vcc_lo
	v_add_co_u32 v23, vcc_lo, v35, s10
	v_add_co_ci_u32_e32 v24, vcc_lo, s11, v36, vcc_lo
	global_load_b64 v[9:10], v[9:10], off
	global_load_b64 v[23:24], v[23:24], off
.LBB115_18:                             ;   in Loop: Header=BB115_4 Depth=1
	s_or_b32 exec_lo, exec_lo, s27
	s_and_saveexec_b32 s27, s5
	s_cbranch_execz .LBB115_20
; %bb.19:                               ;   in Loop: Header=BB115_4 Depth=1
	v_add_co_u32 v21, vcc_lo, v37, s10
	v_add_co_ci_u32_e32 v22, vcc_lo, s11, v38, vcc_lo
	global_load_b64 v[21:22], v[21:22], off
.LBB115_20:                             ;   in Loop: Header=BB115_4 Depth=1
	s_or_b32 exec_lo, exec_lo, s27
	s_waitcnt vmcnt(0)
	v_div_scale_f64 v[63:64], null, v[7:8], v[7:8], v[13:14]
	s_delay_alu instid0(VALU_DEP_1) | instskip(SKIP_2) | instid1(VALU_DEP_1)
	v_rcp_f64_e32 v[65:66], v[63:64]
	s_waitcnt_depctr 0xfff
	v_fma_f64 v[67:68], -v[63:64], v[65:66], 1.0
	v_fma_f64 v[65:66], v[65:66], v[67:68], v[65:66]
	s_delay_alu instid0(VALU_DEP_1) | instskip(NEXT) | instid1(VALU_DEP_1)
	v_fma_f64 v[67:68], -v[63:64], v[65:66], 1.0
	v_fma_f64 v[65:66], v[65:66], v[67:68], v[65:66]
	v_div_scale_f64 v[67:68], vcc_lo, v[13:14], v[7:8], v[13:14]
	s_delay_alu instid0(VALU_DEP_1) | instskip(NEXT) | instid1(VALU_DEP_1)
	v_mul_f64 v[69:70], v[67:68], v[65:66]
	v_fma_f64 v[63:64], -v[63:64], v[69:70], v[67:68]
	s_delay_alu instid0(VALU_DEP_1) | instskip(SKIP_1) | instid1(VALU_DEP_1)
	v_div_fmas_f64 v[63:64], v[63:64], v[65:66], v[69:70]
	s_and_b32 vcc_lo, exec_lo, s26
	v_div_fixup_f64 v[13:14], v[63:64], v[7:8], v[13:14]
	s_cbranch_vccz .LBB115_40
; %bb.21:                               ;   in Loop: Header=BB115_4 Depth=1
	s_delay_alu instid0(VALU_DEP_1)
	v_fma_f64 v[7:8], s[6:7], v[13:14], v[1:2]
	s_cbranch_execnz .LBB115_23
.LBB115_22:                             ;   in Loop: Header=BB115_4 Depth=1
	s_delay_alu instid0(VALU_DEP_1)
	v_add_f64 v[7:8], v[1:2], v[13:14]
.LBB115_23:                             ;   in Loop: Header=BB115_4 Depth=1
	v_div_scale_f64 v[1:2], null, v[11:12], v[11:12], v[17:18]
	s_delay_alu instid0(VALU_DEP_1) | instskip(SKIP_2) | instid1(VALU_DEP_1)
	v_rcp_f64_e32 v[13:14], v[1:2]
	s_waitcnt_depctr 0xfff
	v_fma_f64 v[63:64], -v[1:2], v[13:14], 1.0
	v_fma_f64 v[13:14], v[13:14], v[63:64], v[13:14]
	s_delay_alu instid0(VALU_DEP_1) | instskip(NEXT) | instid1(VALU_DEP_1)
	v_fma_f64 v[63:64], -v[1:2], v[13:14], 1.0
	v_fma_f64 v[13:14], v[13:14], v[63:64], v[13:14]
	v_div_scale_f64 v[63:64], vcc_lo, v[17:18], v[11:12], v[17:18]
	s_delay_alu instid0(VALU_DEP_1) | instskip(NEXT) | instid1(VALU_DEP_1)
	v_mul_f64 v[65:66], v[63:64], v[13:14]
	v_fma_f64 v[1:2], -v[1:2], v[65:66], v[63:64]
	s_delay_alu instid0(VALU_DEP_1) | instskip(SKIP_1) | instid1(VALU_DEP_1)
	v_div_fmas_f64 v[1:2], v[1:2], v[13:14], v[65:66]
	s_and_not1_b32 vcc_lo, exec_lo, s26
	v_div_fixup_f64 v[11:12], v[1:2], v[11:12], v[17:18]
	s_cbranch_vccnz .LBB115_41
; %bb.24:                               ;   in Loop: Header=BB115_4 Depth=1
	s_delay_alu instid0(VALU_DEP_1)
	v_fma_f64 v[1:2], s[6:7], v[11:12], v[3:4]
	s_cbranch_execnz .LBB115_26
.LBB115_25:                             ;   in Loop: Header=BB115_4 Depth=1
	s_delay_alu instid0(VALU_DEP_1)
	v_add_f64 v[1:2], v[3:4], v[11:12]
.LBB115_26:                             ;   in Loop: Header=BB115_4 Depth=1
	v_div_scale_f64 v[3:4], null, v[15:16], v[15:16], v[19:20]
	s_delay_alu instid0(VALU_DEP_1) | instskip(SKIP_2) | instid1(VALU_DEP_1)
	v_rcp_f64_e32 v[11:12], v[3:4]
	s_waitcnt_depctr 0xfff
	v_fma_f64 v[13:14], -v[3:4], v[11:12], 1.0
	v_fma_f64 v[11:12], v[11:12], v[13:14], v[11:12]
	s_delay_alu instid0(VALU_DEP_1) | instskip(NEXT) | instid1(VALU_DEP_1)
	v_fma_f64 v[13:14], -v[3:4], v[11:12], 1.0
	v_fma_f64 v[11:12], v[11:12], v[13:14], v[11:12]
	v_div_scale_f64 v[13:14], vcc_lo, v[19:20], v[15:16], v[19:20]
	s_delay_alu instid0(VALU_DEP_1) | instskip(NEXT) | instid1(VALU_DEP_1)
	v_mul_f64 v[17:18], v[13:14], v[11:12]
	v_fma_f64 v[3:4], -v[3:4], v[17:18], v[13:14]
	s_delay_alu instid0(VALU_DEP_1) | instskip(SKIP_1) | instid1(VALU_DEP_1)
	v_div_fmas_f64 v[3:4], v[3:4], v[11:12], v[17:18]
	s_and_not1_b32 vcc_lo, exec_lo, s26
	v_div_fixup_f64 v[11:12], v[3:4], v[15:16], v[19:20]
	s_cbranch_vccnz .LBB115_42
; %bb.27:                               ;   in Loop: Header=BB115_4 Depth=1
	s_delay_alu instid0(VALU_DEP_1)
	v_fma_f64 v[3:4], s[6:7], v[11:12], v[5:6]
	s_cbranch_execnz .LBB115_29
.LBB115_28:                             ;   in Loop: Header=BB115_4 Depth=1
	s_delay_alu instid0(VALU_DEP_1)
	v_add_f64 v[3:4], v[5:6], v[11:12]
.LBB115_29:                             ;   in Loop: Header=BB115_4 Depth=1
	v_div_scale_f64 v[5:6], null, v[21:22], v[21:22], v[23:24]
	s_delay_alu instid0(VALU_DEP_1) | instskip(SKIP_2) | instid1(VALU_DEP_1)
	v_rcp_f64_e32 v[11:12], v[5:6]
	s_waitcnt_depctr 0xfff
	v_fma_f64 v[13:14], -v[5:6], v[11:12], 1.0
	v_fma_f64 v[11:12], v[11:12], v[13:14], v[11:12]
	s_delay_alu instid0(VALU_DEP_1) | instskip(NEXT) | instid1(VALU_DEP_1)
	v_fma_f64 v[13:14], -v[5:6], v[11:12], 1.0
	v_fma_f64 v[11:12], v[11:12], v[13:14], v[11:12]
	v_div_scale_f64 v[13:14], vcc_lo, v[23:24], v[21:22], v[23:24]
	s_delay_alu instid0(VALU_DEP_1) | instskip(NEXT) | instid1(VALU_DEP_1)
	v_mul_f64 v[15:16], v[13:14], v[11:12]
	v_fma_f64 v[5:6], -v[5:6], v[15:16], v[13:14]
	s_delay_alu instid0(VALU_DEP_1) | instskip(SKIP_1) | instid1(VALU_DEP_1)
	v_div_fmas_f64 v[5:6], v[5:6], v[11:12], v[15:16]
	s_and_not1_b32 vcc_lo, exec_lo, s26
	v_div_fixup_f64 v[11:12], v[5:6], v[21:22], v[23:24]
	s_cbranch_vccnz .LBB115_43
; %bb.30:                               ;   in Loop: Header=BB115_4 Depth=1
	s_delay_alu instid0(VALU_DEP_1)
	v_fma_f64 v[5:6], s[6:7], v[11:12], v[9:10]
	s_cbranch_execnz .LBB115_32
.LBB115_31:                             ;   in Loop: Header=BB115_4 Depth=1
	s_delay_alu instid0(VALU_DEP_1)
	v_add_f64 v[5:6], v[9:10], v[11:12]
.LBB115_32:                             ;   in Loop: Header=BB115_4 Depth=1
	s_and_saveexec_b32 s27, s2
	s_delay_alu instid0(SALU_CYCLE_1)
	s_xor_b32 s2, exec_lo, s27
	s_cbranch_execnz .LBB115_36
; %bb.33:                               ;   in Loop: Header=BB115_4 Depth=1
	s_or_b32 exec_lo, exec_lo, s2
	s_and_saveexec_b32 s2, s3
	s_cbranch_execnz .LBB115_37
.LBB115_34:                             ;   in Loop: Header=BB115_4 Depth=1
	s_or_b32 exec_lo, exec_lo, s2
	s_and_saveexec_b32 s2, s4
	s_cbranch_execnz .LBB115_38
.LBB115_35:                             ;   in Loop: Header=BB115_4 Depth=1
	s_or_b32 exec_lo, exec_lo, s2
	s_and_saveexec_b32 s2, s5
	s_cbranch_execz .LBB115_3
	s_branch .LBB115_39
.LBB115_36:                             ;   in Loop: Header=BB115_4 Depth=1
	v_add_co_u32 v9, vcc_lo, v31, s10
	v_add_co_ci_u32_e32 v10, vcc_lo, s11, v32, vcc_lo
	global_store_b64 v[9:10], v[7:8], off
	s_or_b32 exec_lo, exec_lo, s2
	s_and_saveexec_b32 s2, s3
	s_cbranch_execz .LBB115_34
.LBB115_37:                             ;   in Loop: Header=BB115_4 Depth=1
	v_add_co_u32 v7, vcc_lo, v61, s10
	v_add_co_ci_u32_e32 v8, vcc_lo, s11, v62, vcc_lo
	global_store_b64 v[7:8], v[1:2], off
	s_or_b32 exec_lo, exec_lo, s2
	s_and_saveexec_b32 s2, s4
	s_cbranch_execz .LBB115_35
.LBB115_38:                             ;   in Loop: Header=BB115_4 Depth=1
	v_add_co_u32 v1, vcc_lo, v50, s10
	v_add_co_ci_u32_e32 v2, vcc_lo, s11, v51, vcc_lo
	global_store_b64 v[1:2], v[3:4], off
	s_or_b32 exec_lo, exec_lo, s2
	s_and_saveexec_b32 s2, s5
	s_cbranch_execz .LBB115_3
.LBB115_39:                             ;   in Loop: Header=BB115_4 Depth=1
	v_add_co_u32 v1, vcc_lo, v39, s10
	v_add_co_ci_u32_e32 v2, vcc_lo, s11, v40, vcc_lo
	global_store_b64 v[1:2], v[5:6], off
	s_branch .LBB115_3
.LBB115_40:                             ;   in Loop: Header=BB115_4 Depth=1
                                        ; implicit-def: $vgpr7_vgpr8
	s_branch .LBB115_22
.LBB115_41:                             ;   in Loop: Header=BB115_4 Depth=1
                                        ; implicit-def: $vgpr1_vgpr2
	s_branch .LBB115_25
.LBB115_42:                             ;   in Loop: Header=BB115_4 Depth=1
                                        ; implicit-def: $vgpr3_vgpr4
	s_branch .LBB115_28
.LBB115_43:                             ;   in Loop: Header=BB115_4 Depth=1
                                        ; implicit-def: $vgpr5_vgpr6
	s_branch .LBB115_31
.LBB115_44:
	s_mov_b32 s12, 0
.LBB115_45:
	s_delay_alu instid0(SALU_CYCLE_1)
	s_and_not1_b32 vcc_lo, exec_lo, s12
	s_cbranch_vccnz .LBB115_65
; %bb.46:
	v_dual_mov_b32 v25, 0 :: v_dual_lshlrev_b32 v24, 2, v0
	s_mov_b32 s2, 0
	s_mov_b32 s3, exec_lo
	s_delay_alu instid0(VALU_DEP_1)
	v_cmpx_gt_i64_e64 s[8:9], v[24:25]
	s_cbranch_execz .LBB115_65
; %bb.47:
	s_load_b32 s0, s[0:1], 0xd14
	v_cmp_neq_f64_e64 s1, s[6:7], 1.0
	v_lshlrev_b32_e32 v26, 5, v0
	s_waitcnt lgkmcnt(0)
	s_and_b32 s0, s0, 0xffff
	s_delay_alu instid0(SALU_CYCLE_1)
	v_add_lshl_u32 v24, v0, s0, 2
	s_lshl_b32 s3, s0, 2
	s_lshl_b32 s4, s0, 5
	s_branch .LBB115_49
.LBB115_48:                             ;   in Loop: Header=BB115_49 Depth=1
	v_cmp_le_i64_e32 vcc_lo, s[8:9], v[24:25]
	v_cmp_lt_u64_e64 s0, 0xffff, v[24:25]
	v_add_co_u32 v4, s5, s24, v26
	s_delay_alu instid0(VALU_DEP_1)
	v_add_co_ci_u32_e64 v5, null, s25, 0, s5
	s_clause 0x1
	global_store_b128 v[4:5], v[0:3], off
	global_store_b128 v[4:5], v[8:11], off offset:16
	s_or_b32 s0, vcc_lo, s0
	s_add_u32 s18, s18, s4
	s_addc_u32 s19, s19, 0
	s_add_u32 s24, s24, s4
	s_addc_u32 s25, s25, 0
	s_add_u32 s20, s20, s4
	v_add_co_u32 v24, vcc_lo, v24, s3
	s_addc_u32 s21, s21, 0
	s_add_u32 s22, s22, s4
	v_add_co_ci_u32_e32 v25, vcc_lo, 0, v25, vcc_lo
	s_addc_u32 s23, s23, 0
	s_and_b32 s0, exec_lo, s0
	s_delay_alu instid0(SALU_CYCLE_1) | instskip(NEXT) | instid1(SALU_CYCLE_1)
	s_or_b32 s2, s0, s2
	s_and_not1_b32 exec_lo, exec_lo, s2
	s_cbranch_execz .LBB115_65
.LBB115_49:                             ; =>This Inner Loop Header: Depth=1
	v_add_co_u32 v4, s0, s20, v26
	s_delay_alu instid0(VALU_DEP_1) | instskip(SKIP_1) | instid1(VALU_DEP_1)
	v_add_co_ci_u32_e64 v5, null, s21, 0, s0
	v_add_co_u32 v6, s0, s22, v26
	v_add_co_ci_u32_e64 v7, null, s23, 0, s0
	global_load_b128 v[0:3], v[4:5], off
	global_load_b128 v[20:23], v[6:7], off
	v_add_co_u32 v16, s0, s18, v26
	s_delay_alu instid0(VALU_DEP_1)
	v_add_co_ci_u32_e64 v17, null, s19, 0, s0
	global_load_b128 v[8:11], v[4:5], off offset:16
	global_load_b128 v[12:15], v[6:7], off offset:16
	s_clause 0x1
	global_load_b128 v[4:7], v[16:17], off offset:16
	global_load_b128 v[16:19], v[16:17], off
	s_waitcnt vmcnt(4)
	v_div_scale_f64 v[27:28], null, v[20:21], v[20:21], v[0:1]
	s_delay_alu instid0(VALU_DEP_1) | instskip(SKIP_2) | instid1(VALU_DEP_1)
	v_rcp_f64_e32 v[29:30], v[27:28]
	s_waitcnt_depctr 0xfff
	v_fma_f64 v[31:32], -v[27:28], v[29:30], 1.0
	v_fma_f64 v[29:30], v[29:30], v[31:32], v[29:30]
	s_delay_alu instid0(VALU_DEP_1) | instskip(NEXT) | instid1(VALU_DEP_1)
	v_fma_f64 v[31:32], -v[27:28], v[29:30], 1.0
	v_fma_f64 v[29:30], v[29:30], v[31:32], v[29:30]
	v_div_scale_f64 v[31:32], vcc_lo, v[0:1], v[20:21], v[0:1]
	s_delay_alu instid0(VALU_DEP_1) | instskip(NEXT) | instid1(VALU_DEP_1)
	v_mul_f64 v[33:34], v[31:32], v[29:30]
	v_fma_f64 v[27:28], -v[27:28], v[33:34], v[31:32]
	s_delay_alu instid0(VALU_DEP_1) | instskip(SKIP_1) | instid1(VALU_DEP_1)
	v_div_fmas_f64 v[27:28], v[27:28], v[29:30], v[33:34]
	s_and_b32 vcc_lo, exec_lo, s1
	v_div_fixup_f64 v[20:21], v[27:28], v[20:21], v[0:1]
	s_cbranch_vccz .LBB115_60
; %bb.50:                               ;   in Loop: Header=BB115_49 Depth=1
	s_waitcnt vmcnt(0)
	s_delay_alu instid0(VALU_DEP_1)
	v_fma_f64 v[0:1], s[6:7], v[20:21], v[16:17]
	s_cbranch_execnz .LBB115_52
.LBB115_51:                             ;   in Loop: Header=BB115_49 Depth=1
	s_waitcnt vmcnt(0)
	s_delay_alu instid0(VALU_DEP_1)
	v_add_f64 v[0:1], v[16:17], v[20:21]
.LBB115_52:                             ;   in Loop: Header=BB115_49 Depth=1
	s_waitcnt vmcnt(0)
	v_div_scale_f64 v[16:17], null, v[22:23], v[22:23], v[2:3]
	s_delay_alu instid0(VALU_DEP_1) | instskip(SKIP_2) | instid1(VALU_DEP_1)
	v_rcp_f64_e32 v[20:21], v[16:17]
	s_waitcnt_depctr 0xfff
	v_fma_f64 v[27:28], -v[16:17], v[20:21], 1.0
	v_fma_f64 v[20:21], v[20:21], v[27:28], v[20:21]
	s_delay_alu instid0(VALU_DEP_1) | instskip(NEXT) | instid1(VALU_DEP_1)
	v_fma_f64 v[27:28], -v[16:17], v[20:21], 1.0
	v_fma_f64 v[20:21], v[20:21], v[27:28], v[20:21]
	v_div_scale_f64 v[27:28], vcc_lo, v[2:3], v[22:23], v[2:3]
	s_delay_alu instid0(VALU_DEP_1) | instskip(NEXT) | instid1(VALU_DEP_1)
	v_mul_f64 v[29:30], v[27:28], v[20:21]
	v_fma_f64 v[16:17], -v[16:17], v[29:30], v[27:28]
	s_delay_alu instid0(VALU_DEP_1) | instskip(SKIP_1) | instid1(VALU_DEP_1)
	v_div_fmas_f64 v[16:17], v[16:17], v[20:21], v[29:30]
	s_and_not1_b32 vcc_lo, exec_lo, s1
	v_div_fixup_f64 v[16:17], v[16:17], v[22:23], v[2:3]
	s_cbranch_vccnz .LBB115_61
; %bb.53:                               ;   in Loop: Header=BB115_49 Depth=1
	s_delay_alu instid0(VALU_DEP_1)
	v_fma_f64 v[2:3], s[6:7], v[16:17], v[18:19]
	s_cbranch_execnz .LBB115_55
.LBB115_54:                             ;   in Loop: Header=BB115_49 Depth=1
	s_delay_alu instid0(VALU_DEP_1)
	v_add_f64 v[2:3], v[18:19], v[16:17]
.LBB115_55:                             ;   in Loop: Header=BB115_49 Depth=1
	v_div_scale_f64 v[16:17], null, v[12:13], v[12:13], v[8:9]
	s_delay_alu instid0(VALU_DEP_1) | instskip(SKIP_2) | instid1(VALU_DEP_1)
	v_rcp_f64_e32 v[18:19], v[16:17]
	s_waitcnt_depctr 0xfff
	v_fma_f64 v[20:21], -v[16:17], v[18:19], 1.0
	v_fma_f64 v[18:19], v[18:19], v[20:21], v[18:19]
	s_delay_alu instid0(VALU_DEP_1) | instskip(NEXT) | instid1(VALU_DEP_1)
	v_fma_f64 v[20:21], -v[16:17], v[18:19], 1.0
	v_fma_f64 v[18:19], v[18:19], v[20:21], v[18:19]
	v_div_scale_f64 v[20:21], vcc_lo, v[8:9], v[12:13], v[8:9]
	s_delay_alu instid0(VALU_DEP_1) | instskip(NEXT) | instid1(VALU_DEP_1)
	v_mul_f64 v[22:23], v[20:21], v[18:19]
	v_fma_f64 v[16:17], -v[16:17], v[22:23], v[20:21]
	s_delay_alu instid0(VALU_DEP_1) | instskip(SKIP_1) | instid1(VALU_DEP_1)
	v_div_fmas_f64 v[16:17], v[16:17], v[18:19], v[22:23]
	s_and_not1_b32 vcc_lo, exec_lo, s1
	v_div_fixup_f64 v[12:13], v[16:17], v[12:13], v[8:9]
	s_cbranch_vccnz .LBB115_62
; %bb.56:                               ;   in Loop: Header=BB115_49 Depth=1
	s_delay_alu instid0(VALU_DEP_1)
	v_fma_f64 v[8:9], s[6:7], v[12:13], v[4:5]
	s_cbranch_execnz .LBB115_58
.LBB115_57:                             ;   in Loop: Header=BB115_49 Depth=1
	s_delay_alu instid0(VALU_DEP_1)
	v_add_f64 v[8:9], v[4:5], v[12:13]
.LBB115_58:                             ;   in Loop: Header=BB115_49 Depth=1
	v_div_scale_f64 v[4:5], null, v[14:15], v[14:15], v[10:11]
	s_delay_alu instid0(VALU_DEP_1) | instskip(SKIP_2) | instid1(VALU_DEP_1)
	v_rcp_f64_e32 v[12:13], v[4:5]
	s_waitcnt_depctr 0xfff
	v_fma_f64 v[16:17], -v[4:5], v[12:13], 1.0
	v_fma_f64 v[12:13], v[12:13], v[16:17], v[12:13]
	s_delay_alu instid0(VALU_DEP_1) | instskip(NEXT) | instid1(VALU_DEP_1)
	v_fma_f64 v[16:17], -v[4:5], v[12:13], 1.0
	v_fma_f64 v[12:13], v[12:13], v[16:17], v[12:13]
	v_div_scale_f64 v[16:17], vcc_lo, v[10:11], v[14:15], v[10:11]
	s_delay_alu instid0(VALU_DEP_1) | instskip(NEXT) | instid1(VALU_DEP_1)
	v_mul_f64 v[18:19], v[16:17], v[12:13]
	v_fma_f64 v[4:5], -v[4:5], v[18:19], v[16:17]
	s_delay_alu instid0(VALU_DEP_1) | instskip(SKIP_1) | instid1(VALU_DEP_1)
	v_div_fmas_f64 v[4:5], v[4:5], v[12:13], v[18:19]
	s_and_not1_b32 vcc_lo, exec_lo, s1
	v_div_fixup_f64 v[4:5], v[4:5], v[14:15], v[10:11]
	s_cbranch_vccnz .LBB115_63
; %bb.59:                               ;   in Loop: Header=BB115_49 Depth=1
	s_delay_alu instid0(VALU_DEP_1)
	v_fma_f64 v[10:11], s[6:7], v[4:5], v[6:7]
	s_cbranch_execnz .LBB115_48
	s_branch .LBB115_64
.LBB115_60:                             ;   in Loop: Header=BB115_49 Depth=1
                                        ; implicit-def: $vgpr0_vgpr1
	s_branch .LBB115_51
.LBB115_61:                             ;   in Loop: Header=BB115_49 Depth=1
	s_branch .LBB115_54
.LBB115_62:                             ;   in Loop: Header=BB115_49 Depth=1
                                        ; implicit-def: $vgpr8_vgpr9
	s_branch .LBB115_57
.LBB115_63:                             ;   in Loop: Header=BB115_49 Depth=1
.LBB115_64:                             ;   in Loop: Header=BB115_49 Depth=1
	s_delay_alu instid0(VALU_DEP_1)
	v_add_f64 v[10:11], v[6:7], v[4:5]
	s_branch .LBB115_48
.LBB115_65:
	s_nop 0
	s_sendmsg sendmsg(MSG_DEALLOC_VGPRS)
	s_endpgm
	.section	.rodata,"a",@progbits
	.p2align	6, 0x0
	.amdhsa_kernel _ZN2at6native12_GLOBAL__N_125multi_tensor_apply_kernelINS1_28TensorListScalarListMetadataIdLi4EEENS1_28PointwiseOpScalarListFunctorIdLi4ELi3ELi3EEEJSt7dividesIdEEEEvT_T0_DpT1_
		.amdhsa_group_segment_fixed_size 0
		.amdhsa_private_segment_fixed_size 0
		.amdhsa_kernarg_size 3592
		.amdhsa_user_sgpr_count 15
		.amdhsa_user_sgpr_dispatch_ptr 0
		.amdhsa_user_sgpr_queue_ptr 0
		.amdhsa_user_sgpr_kernarg_segment_ptr 1
		.amdhsa_user_sgpr_dispatch_id 0
		.amdhsa_user_sgpr_private_segment_size 0
		.amdhsa_wavefront_size32 1
		.amdhsa_uses_dynamic_stack 0
		.amdhsa_enable_private_segment 0
		.amdhsa_system_sgpr_workgroup_id_x 1
		.amdhsa_system_sgpr_workgroup_id_y 0
		.amdhsa_system_sgpr_workgroup_id_z 0
		.amdhsa_system_sgpr_workgroup_info 0
		.amdhsa_system_vgpr_workitem_id 0
		.amdhsa_next_free_vgpr 71
		.amdhsa_next_free_sgpr 31
		.amdhsa_reserve_vcc 1
		.amdhsa_float_round_mode_32 0
		.amdhsa_float_round_mode_16_64 0
		.amdhsa_float_denorm_mode_32 3
		.amdhsa_float_denorm_mode_16_64 3
		.amdhsa_dx10_clamp 1
		.amdhsa_ieee_mode 1
		.amdhsa_fp16_overflow 0
		.amdhsa_workgroup_processor_mode 1
		.amdhsa_memory_ordered 1
		.amdhsa_forward_progress 0
		.amdhsa_shared_vgpr_count 0
		.amdhsa_exception_fp_ieee_invalid_op 0
		.amdhsa_exception_fp_denorm_src 0
		.amdhsa_exception_fp_ieee_div_zero 0
		.amdhsa_exception_fp_ieee_overflow 0
		.amdhsa_exception_fp_ieee_underflow 0
		.amdhsa_exception_fp_ieee_inexact 0
		.amdhsa_exception_int_div_zero 0
	.end_amdhsa_kernel
	.section	.text._ZN2at6native12_GLOBAL__N_125multi_tensor_apply_kernelINS1_28TensorListScalarListMetadataIdLi4EEENS1_28PointwiseOpScalarListFunctorIdLi4ELi3ELi3EEEJSt7dividesIdEEEEvT_T0_DpT1_,"axG",@progbits,_ZN2at6native12_GLOBAL__N_125multi_tensor_apply_kernelINS1_28TensorListScalarListMetadataIdLi4EEENS1_28PointwiseOpScalarListFunctorIdLi4ELi3ELi3EEEJSt7dividesIdEEEEvT_T0_DpT1_,comdat
.Lfunc_end115:
	.size	_ZN2at6native12_GLOBAL__N_125multi_tensor_apply_kernelINS1_28TensorListScalarListMetadataIdLi4EEENS1_28PointwiseOpScalarListFunctorIdLi4ELi3ELi3EEEJSt7dividesIdEEEEvT_T0_DpT1_, .Lfunc_end115-_ZN2at6native12_GLOBAL__N_125multi_tensor_apply_kernelINS1_28TensorListScalarListMetadataIdLi4EEENS1_28PointwiseOpScalarListFunctorIdLi4ELi3ELi3EEEJSt7dividesIdEEEEvT_T0_DpT1_
                                        ; -- End function
	.section	.AMDGPU.csdata,"",@progbits
; Kernel info:
; codeLenInByte = 3188
; NumSgprs: 33
; NumVgprs: 71
; ScratchSize: 0
; MemoryBound: 1
; FloatMode: 240
; IeeeMode: 1
; LDSByteSize: 0 bytes/workgroup (compile time only)
; SGPRBlocks: 4
; VGPRBlocks: 8
; NumSGPRsForWavesPerEU: 33
; NumVGPRsForWavesPerEU: 71
; Occupancy: 16
; WaveLimiterHint : 1
; COMPUTE_PGM_RSRC2:SCRATCH_EN: 0
; COMPUTE_PGM_RSRC2:USER_SGPR: 15
; COMPUTE_PGM_RSRC2:TRAP_HANDLER: 0
; COMPUTE_PGM_RSRC2:TGID_X_EN: 1
; COMPUTE_PGM_RSRC2:TGID_Y_EN: 0
; COMPUTE_PGM_RSRC2:TGID_Z_EN: 0
; COMPUTE_PGM_RSRC2:TIDIG_COMP_CNT: 0
	.section	.text._ZN2at6native12_GLOBAL__N_125multi_tensor_apply_kernelINS1_28TensorListScalarListMetadataIfLi4EEENS1_28PointwiseOpScalarListFunctorIfLi4ELi3ELi3EEEJSt7dividesIfEEEEvT_T0_DpT1_,"axG",@progbits,_ZN2at6native12_GLOBAL__N_125multi_tensor_apply_kernelINS1_28TensorListScalarListMetadataIfLi4EEENS1_28PointwiseOpScalarListFunctorIfLi4ELi3ELi3EEEJSt7dividesIfEEEEvT_T0_DpT1_,comdat
	.globl	_ZN2at6native12_GLOBAL__N_125multi_tensor_apply_kernelINS1_28TensorListScalarListMetadataIfLi4EEENS1_28PointwiseOpScalarListFunctorIfLi4ELi3ELi3EEEJSt7dividesIfEEEEvT_T0_DpT1_ ; -- Begin function _ZN2at6native12_GLOBAL__N_125multi_tensor_apply_kernelINS1_28TensorListScalarListMetadataIfLi4EEENS1_28PointwiseOpScalarListFunctorIfLi4ELi3ELi3EEEJSt7dividesIfEEEEvT_T0_DpT1_
	.p2align	8
	.type	_ZN2at6native12_GLOBAL__N_125multi_tensor_apply_kernelINS1_28TensorListScalarListMetadataIfLi4EEENS1_28PointwiseOpScalarListFunctorIfLi4ELi3ELi3EEEJSt7dividesIfEEEEvT_T0_DpT1_,@function
_ZN2at6native12_GLOBAL__N_125multi_tensor_apply_kernelINS1_28TensorListScalarListMetadataIfLi4EEENS1_28PointwiseOpScalarListFunctorIfLi4ELi3ELi3EEEJSt7dividesIfEEEEvT_T0_DpT1_: ; @_ZN2at6native12_GLOBAL__N_125multi_tensor_apply_kernelINS1_28TensorListScalarListMetadataIfLi4EEENS1_28PointwiseOpScalarListFunctorIfLi4ELi3ELi3EEEJSt7dividesIfEEEEvT_T0_DpT1_
; %bb.0:
	v_mov_b32_e32 v1, s15
	s_add_u32 s2, s0, s15
	s_mul_i32 s3, s15, 3
	s_mul_hi_u32 s4, s15, 3
	s_addc_u32 s5, s1, 0
	global_load_u8 v1, v1, s[0:1] offset:1584
	s_add_u32 s2, s2, s3
	s_addc_u32 s3, s5, s4
	s_mov_b32 s13, 0
	s_load_b32 s2, s[2:3], 0x770
	s_waitcnt vmcnt(0)
	v_readfirstlane_b32 s3, v1
	v_lshlrev_b32_e32 v1, 2, v1
	s_delay_alu instid0(VALU_DEP_2)
	s_lshl_b32 s8, s3, 3
	s_waitcnt lgkmcnt(0)
	s_ashr_i32 s3, s2, 31
	s_clause 0x4
	s_load_b64 s[4:5], s[0:1], s8 offset:0x0
	s_load_b64 s[6:7], s[0:1], s8 offset:0x120
	;; [unrolled: 1-line block ×5, first 2 shown]
	s_add_u32 s8, s0, s8
	s_addc_u32 s9, s1, 0
	s_lshl_b64 s[10:11], s[2:3], 18
	v_sub_co_u32 v1, s8, s8, v1
	s_delay_alu instid0(VALU_DEP_1) | instskip(NEXT) | instid1(VALU_DEP_2)
	v_sub_co_ci_u32_e64 v2, null, s9, 0, s8
	v_readfirstlane_b32 s8, v1
	s_delay_alu instid0(VALU_DEP_2)
	v_readfirstlane_b32 s9, v2
	s_waitcnt lgkmcnt(0)
	s_add_u32 s18, s4, s10
	s_addc_u32 s19, s5, s11
	s_and_b32 s27, s18, 15
	s_add_u32 s20, s6, s10
	s_addc_u32 s21, s7, s11
	s_and_b32 s12, s20, 15
	s_delay_alu instid0(SALU_CYCLE_1)
	s_cmp_eq_u64 s[12:13], 0
	s_cselect_b32 s12, -1, 0
	s_add_u32 s22, s16, s10
	s_addc_u32 s23, s17, s11
	s_add_u32 s24, s14, s10
	s_addc_u32 s25, s15, s11
	s_or_b32 s26, s24, s22
	s_delay_alu instid0(SALU_CYCLE_1) | instskip(NEXT) | instid1(SALU_CYCLE_1)
	s_and_b32 s26, s26, 15
	s_cmp_eq_u32 s26, 0
	s_load_b32 s26, s[8:9], 0x5a0
	s_cselect_b32 s8, -1, 0
	s_lshl_b64 s[2:3], s[2:3], 16
	s_and_b32 s30, s8, s12
	s_sub_u32 s8, s28, s2
	s_subb_u32 s9, s29, s3
	s_and_b32 s2, s28, 3
	s_delay_alu instid0(SALU_CYCLE_1) | instskip(NEXT) | instid1(SALU_CYCLE_1)
	s_or_b32 s12, s27, s2
	s_cmp_eq_u64 s[12:13], 0
	s_cselect_b32 s2, -1, 0
	s_delay_alu instid0(SALU_CYCLE_1) | instskip(NEXT) | instid1(SALU_CYCLE_1)
	s_and_b32 s2, s30, s2
	s_and_b32 vcc_lo, exec_lo, s2
	s_mov_b32 s2, -1
	s_cbranch_vccnz .LBB116_29
; %bb.1:
	v_cmp_lt_i64_e64 s2, s[8:9], 1
	s_delay_alu instid0(VALU_DEP_1)
	s_and_b32 vcc_lo, exec_lo, s2
	s_cbranch_vccnz .LBB116_28
; %bb.2:
	s_load_b32 s3, s[0:1], 0xc84
	v_dual_mov_b32 v18, 0 :: v_dual_lshlrev_b32 v17, 2, v0
	v_cmp_gt_u64_e64 s12, 0x10000, s[8:9]
	s_waitcnt lgkmcnt(0)
	v_cmp_eq_f32_e64 s2, s26, 1.0
	s_delay_alu instid0(VALU_DEP_3) | instskip(NEXT) | instid1(VALU_DEP_1)
	v_add_co_u32 v1, s13, s4, v17
	v_add_co_ci_u32_e64 v2, null, s5, 0, s13
	v_add_co_u32 v3, s13, s6, v17
	s_delay_alu instid0(VALU_DEP_1) | instskip(SKIP_1) | instid1(VALU_DEP_1)
	v_add_co_ci_u32_e64 v4, null, s7, 0, s13
	v_add_co_u32 v5, s13, s16, v17
	v_add_co_ci_u32_e64 v6, null, s17, 0, s13
	v_add_co_u32 v7, s13, s14, v17
	s_and_b32 s3, s3, 0xffff
	s_and_b32 s12, s12, exec_lo
	v_mad_u64_u32 v[15:16], null, s3, 12, v[17:18]
	v_add_co_ci_u32_e64 v8, null, s15, 0, s13
	s_cselect_b32 s13, s9, 0
	s_cselect_b32 s12, s8, 0x10000
	s_mul_i32 s28, s3, 3
	s_lshl_b32 s29, s3, 3
	s_delay_alu instid0(VALU_DEP_2) | instskip(NEXT) | instid1(VALU_DEP_3)
	v_add_co_u32 v9, vcc_lo, s4, v15
	v_add_co_ci_u32_e32 v10, vcc_lo, s5, v16, vcc_lo
	v_add_co_u32 v11, vcc_lo, s6, v15
	v_add_co_u32 v26, s29, s29, v17
	v_add_co_u32 v17, s28, s28, v0
	v_add_co_ci_u32_e32 v12, vcc_lo, s7, v16, vcc_lo
	v_add_co_ci_u32_e64 v18, null, 0, 0, s28
	v_add_co_u32 v25, s28, v0, s3
	v_add_co_u32 v13, vcc_lo, s16, v15
	v_add_co_ci_u32_e32 v14, vcc_lo, s17, v16, vcc_lo
	v_add_co_u32 v15, vcc_lo, s14, v15
	v_add_co_ci_u32_e64 v27, null, 0, 0, s29
	v_lshlrev_b32_e32 v37, 2, v25
	v_add_co_ci_u32_e32 v16, vcc_lo, s15, v16, vcc_lo
	v_add_co_u32 v19, vcc_lo, s4, v26
	s_delay_alu instid0(VALU_DEP_4)
	v_add_co_ci_u32_e32 v20, vcc_lo, s5, v27, vcc_lo
	v_add_co_u32 v21, vcc_lo, s6, v26
	v_add_co_u32 v31, s4, s4, v37
	v_add_co_ci_u32_e32 v22, vcc_lo, s7, v27, vcc_lo
	v_add_co_ci_u32_e64 v32, null, s5, 0, s4
	v_add_co_u32 v33, s4, s6, v37
	v_add_co_u32 v23, vcc_lo, s16, v26
	s_lshl_b32 s27, s3, 1
	v_add_co_ci_u32_e64 v34, null, s7, 0, s4
	v_add_co_u32 v35, s4, s16, v37
	v_add_co_ci_u32_e32 v24, vcc_lo, s17, v27, vcc_lo
	v_add_co_u32 v26, vcc_lo, s14, v26
	v_add_co_u32 v29, s27, s27, v0
	v_add_co_ci_u32_e64 v36, null, s17, 0, s4
	v_add_co_u32 v37, s4, s14, v37
	v_add_co_ci_u32_e32 v27, vcc_lo, s15, v27, vcc_lo
	v_add_co_ci_u32_e64 v28, null, 0, 0, s28
	v_add_co_ci_u32_e64 v30, null, 0, 0, s27
	v_add_co_ci_u32_e64 v38, null, s15, 0, s4
	s_lshl_b32 s7, s3, 2
	s_lshl_b32 s16, s3, 4
	s_mov_b64 s[14:15], 0
	s_branch .LBB116_4
.LBB116_3:                              ;   in Loop: Header=BB116_4 Depth=1
	s_or_b32 exec_lo, exec_lo, s3
	v_add_co_u32 v1, vcc_lo, v1, s16
	v_add_co_ci_u32_e32 v2, vcc_lo, 0, v2, vcc_lo
	v_add_co_u32 v3, vcc_lo, v3, s16
	v_add_co_ci_u32_e32 v4, vcc_lo, 0, v4, vcc_lo
	;; [unrolled: 2-line block ×13, first 2 shown]
	s_add_u32 s14, s14, s7
	v_add_co_u32 v33, vcc_lo, v33, s16
	s_addc_u32 s15, s15, 0
	v_add_co_ci_u32_e32 v34, vcc_lo, 0, v34, vcc_lo
	v_cmp_lt_i64_e64 s3, s[14:15], s[8:9]
	v_cmp_gt_u64_e64 s4, 0x10000, s[14:15]
	v_add_co_u32 v35, vcc_lo, v35, s16
	v_add_co_ci_u32_e32 v36, vcc_lo, 0, v36, vcc_lo
	v_add_co_u32 v37, vcc_lo, v37, s16
	v_add_co_ci_u32_e32 v38, vcc_lo, 0, v38, vcc_lo
	s_and_b32 s3, s3, s4
	s_delay_alu instid0(SALU_CYCLE_1)
	s_and_b32 vcc_lo, exec_lo, s3
	s_cbranch_vccz .LBB116_28
.LBB116_4:                              ; =>This Inner Loop Header: Depth=1
	s_waitcnt vmcnt(1)
	v_add_co_u32 v39, s3, v0, s14
	s_delay_alu instid0(VALU_DEP_1) | instskip(SKIP_2) | instid1(VALU_DEP_2)
	v_add_co_ci_u32_e64 v40, null, 0, s15, s3
	s_waitcnt vmcnt(0)
	v_mov_b32_e32 v41, 0
	v_cmp_gt_u64_e32 vcc_lo, s[12:13], v[39:40]
	v_mov_b32_e32 v40, 0
	s_and_saveexec_b32 s4, vcc_lo
	s_cbranch_execz .LBB116_6
; %bb.5:                                ;   in Loop: Header=BB116_4 Depth=1
	v_add_co_u32 v39, s3, v1, s10
	s_delay_alu instid0(VALU_DEP_1) | instskip(SKIP_1) | instid1(VALU_DEP_1)
	v_add_co_ci_u32_e64 v40, s3, s11, v2, s3
	v_add_co_u32 v41, s3, v3, s10
	v_add_co_ci_u32_e64 v42, s3, s11, v4, s3
	global_load_b32 v40, v[39:40], off
	global_load_b32 v41, v[41:42], off
.LBB116_6:                              ;   in Loop: Header=BB116_4 Depth=1
	s_or_b32 exec_lo, exec_lo, s4
	v_mov_b32_e32 v39, 0
	v_mov_b32_e32 v45, 0
	s_and_saveexec_b32 s4, vcc_lo
	s_cbranch_execz .LBB116_8
; %bb.7:                                ;   in Loop: Header=BB116_4 Depth=1
	v_add_co_u32 v42, s3, v5, s10
	s_delay_alu instid0(VALU_DEP_1)
	v_add_co_ci_u32_e64 v43, s3, s11, v6, s3
	global_load_b32 v45, v[42:43], off
.LBB116_8:                              ;   in Loop: Header=BB116_4 Depth=1
	s_or_b32 exec_lo, exec_lo, s4
	v_add_co_u32 v42, s3, v25, s14
	s_delay_alu instid0(VALU_DEP_1) | instskip(NEXT) | instid1(VALU_DEP_1)
	v_add_co_ci_u32_e64 v43, s3, s15, v28, s3
	v_cmp_gt_u64_e64 s3, s[12:13], v[42:43]
	v_mov_b32_e32 v43, 0
	s_delay_alu instid0(VALU_DEP_2)
	s_and_saveexec_b32 s5, s3
	s_cbranch_execz .LBB116_10
; %bb.9:                                ;   in Loop: Header=BB116_4 Depth=1
	v_add_co_u32 v42, s4, v31, s10
	s_delay_alu instid0(VALU_DEP_1) | instskip(SKIP_1) | instid1(VALU_DEP_1)
	v_add_co_ci_u32_e64 v43, s4, s11, v32, s4
	v_add_co_u32 v46, s4, v33, s10
	v_add_co_ci_u32_e64 v47, s4, s11, v34, s4
	global_load_b32 v39, v[42:43], off
	global_load_b32 v43, v[46:47], off
.LBB116_10:                             ;   in Loop: Header=BB116_4 Depth=1
	s_or_b32 exec_lo, exec_lo, s5
	v_dual_mov_b32 v42, 0 :: v_dual_mov_b32 v47, 0
	s_and_saveexec_b32 s5, s3
	s_cbranch_execz .LBB116_12
; %bb.11:                               ;   in Loop: Header=BB116_4 Depth=1
	v_add_co_u32 v46, s4, v35, s10
	s_delay_alu instid0(VALU_DEP_1)
	v_add_co_ci_u32_e64 v47, s4, s11, v36, s4
	global_load_b32 v47, v[46:47], off
.LBB116_12:                             ;   in Loop: Header=BB116_4 Depth=1
	s_or_b32 exec_lo, exec_lo, s5
	v_add_co_u32 v48, s4, v29, s14
	s_delay_alu instid0(VALU_DEP_1) | instskip(SKIP_1) | instid1(VALU_DEP_2)
	v_add_co_ci_u32_e64 v49, s4, s15, v30, s4
	v_mov_b32_e32 v46, 0
	v_cmp_gt_u64_e64 s4, s[12:13], v[48:49]
	s_delay_alu instid0(VALU_DEP_1)
	s_and_saveexec_b32 s6, s4
	s_cbranch_execz .LBB116_14
; %bb.13:                               ;   in Loop: Header=BB116_4 Depth=1
	v_add_co_u32 v48, s5, v19, s10
	s_delay_alu instid0(VALU_DEP_1) | instskip(SKIP_1) | instid1(VALU_DEP_1)
	v_add_co_ci_u32_e64 v49, s5, s11, v20, s5
	v_add_co_u32 v50, s5, v21, s10
	v_add_co_ci_u32_e64 v51, s5, s11, v22, s5
	global_load_b32 v42, v[48:49], off
	global_load_b32 v46, v[50:51], off
.LBB116_14:                             ;   in Loop: Header=BB116_4 Depth=1
	s_or_b32 exec_lo, exec_lo, s6
	v_dual_mov_b32 v44, 0 :: v_dual_mov_b32 v49, 0
	s_and_saveexec_b32 s6, s4
	s_cbranch_execz .LBB116_16
; %bb.15:                               ;   in Loop: Header=BB116_4 Depth=1
	v_add_co_u32 v48, s5, v23, s10
	s_delay_alu instid0(VALU_DEP_1)
	v_add_co_ci_u32_e64 v49, s5, s11, v24, s5
	global_load_b32 v49, v[48:49], off
.LBB116_16:                             ;   in Loop: Header=BB116_4 Depth=1
	s_or_b32 exec_lo, exec_lo, s6
	v_add_co_u32 v50, s5, v17, s14
	s_delay_alu instid0(VALU_DEP_1) | instskip(SKIP_1) | instid1(VALU_DEP_2)
	v_add_co_ci_u32_e64 v51, s5, s15, v18, s5
	v_mov_b32_e32 v48, 0
	v_cmp_gt_u64_e64 s5, s[12:13], v[50:51]
	s_delay_alu instid0(VALU_DEP_1)
	s_and_saveexec_b32 s17, s5
	s_cbranch_execnz .LBB116_22
; %bb.17:                               ;   in Loop: Header=BB116_4 Depth=1
	s_or_b32 exec_lo, exec_lo, s17
	v_mov_b32_e32 v50, 0
	s_and_saveexec_b32 s17, s5
	s_cbranch_execnz .LBB116_23
.LBB116_18:                             ;   in Loop: Header=BB116_4 Depth=1
	s_or_b32 exec_lo, exec_lo, s17
	s_and_saveexec_b32 s6, vcc_lo
	s_cbranch_execnz .LBB116_24
.LBB116_19:                             ;   in Loop: Header=BB116_4 Depth=1
	s_or_b32 exec_lo, exec_lo, s6
	s_and_saveexec_b32 s6, s3
	s_cbranch_execnz .LBB116_25
.LBB116_20:                             ;   in Loop: Header=BB116_4 Depth=1
	s_or_b32 exec_lo, exec_lo, s6
	s_and_saveexec_b32 s3, s4
	s_cbranch_execnz .LBB116_26
.LBB116_21:                             ;   in Loop: Header=BB116_4 Depth=1
	s_or_b32 exec_lo, exec_lo, s3
	s_and_saveexec_b32 s3, s5
	s_cbranch_execz .LBB116_3
	s_branch .LBB116_27
.LBB116_22:                             ;   in Loop: Header=BB116_4 Depth=1
	v_add_co_u32 v50, s6, v9, s10
	s_delay_alu instid0(VALU_DEP_1) | instskip(SKIP_1) | instid1(VALU_DEP_1)
	v_add_co_ci_u32_e64 v51, s6, s11, v10, s6
	v_add_co_u32 v52, s6, v11, s10
	v_add_co_ci_u32_e64 v53, s6, s11, v12, s6
	global_load_b32 v44, v[50:51], off
	global_load_b32 v48, v[52:53], off
	s_or_b32 exec_lo, exec_lo, s17
	v_mov_b32_e32 v50, 0
	s_and_saveexec_b32 s17, s5
	s_cbranch_execz .LBB116_18
.LBB116_23:                             ;   in Loop: Header=BB116_4 Depth=1
	v_add_co_u32 v50, s6, v13, s10
	s_delay_alu instid0(VALU_DEP_1)
	v_add_co_ci_u32_e64 v51, s6, s11, v14, s6
	global_load_b32 v50, v[50:51], off
	s_or_b32 exec_lo, exec_lo, s17
	s_and_saveexec_b32 s6, vcc_lo
	s_cbranch_execz .LBB116_19
.LBB116_24:                             ;   in Loop: Header=BB116_4 Depth=1
	s_waitcnt vmcnt(0)
	v_div_scale_f32 v51, null, v45, v45, v41
	v_div_scale_f32 v54, vcc_lo, v41, v45, v41
	s_delay_alu instid0(VALU_DEP_2) | instskip(SKIP_2) | instid1(VALU_DEP_1)
	v_rcp_f32_e32 v52, v51
	s_waitcnt_depctr 0xfff
	v_fma_f32 v53, -v51, v52, 1.0
	v_fmac_f32_e32 v52, v53, v52
	s_delay_alu instid0(VALU_DEP_1) | instskip(NEXT) | instid1(VALU_DEP_1)
	v_mul_f32_e32 v53, v54, v52
	v_fma_f32 v55, -v51, v53, v54
	s_delay_alu instid0(VALU_DEP_1) | instskip(NEXT) | instid1(VALU_DEP_1)
	v_fmac_f32_e32 v53, v55, v52
	v_fma_f32 v51, -v51, v53, v54
	s_delay_alu instid0(VALU_DEP_1) | instskip(NEXT) | instid1(VALU_DEP_1)
	v_div_fmas_f32 v51, v51, v52, v53
	v_div_fixup_f32 v41, v51, v45, v41
	v_add_co_u32 v51, vcc_lo, v7, s10
	v_add_co_ci_u32_e32 v52, vcc_lo, s11, v8, vcc_lo
	s_delay_alu instid0(VALU_DEP_3) | instskip(SKIP_1) | instid1(VALU_DEP_1)
	v_add_f32_e32 v45, v40, v41
	v_fmac_f32_e32 v40, s26, v41
	v_cndmask_b32_e64 v40, v40, v45, s2
	global_store_b32 v[51:52], v40, off
	s_or_b32 exec_lo, exec_lo, s6
	s_and_saveexec_b32 s6, s3
	s_cbranch_execz .LBB116_20
.LBB116_25:                             ;   in Loop: Header=BB116_4 Depth=1
	s_waitcnt vmcnt(0)
	v_div_scale_f32 v40, null, v47, v47, v43
	v_div_scale_f32 v51, vcc_lo, v43, v47, v43
	s_delay_alu instid0(VALU_DEP_2) | instskip(SKIP_2) | instid1(VALU_DEP_1)
	v_rcp_f32_e32 v41, v40
	s_waitcnt_depctr 0xfff
	v_fma_f32 v45, -v40, v41, 1.0
	v_fmac_f32_e32 v41, v45, v41
	s_delay_alu instid0(VALU_DEP_1) | instskip(NEXT) | instid1(VALU_DEP_1)
	v_mul_f32_e32 v45, v51, v41
	v_fma_f32 v52, -v40, v45, v51
	s_delay_alu instid0(VALU_DEP_1) | instskip(NEXT) | instid1(VALU_DEP_1)
	v_fmac_f32_e32 v45, v52, v41
	v_fma_f32 v40, -v40, v45, v51
	s_delay_alu instid0(VALU_DEP_1) | instskip(NEXT) | instid1(VALU_DEP_1)
	v_div_fmas_f32 v40, v40, v41, v45
	v_div_fixup_f32 v40, v40, v47, v43
	s_delay_alu instid0(VALU_DEP_1) | instskip(SKIP_1) | instid1(VALU_DEP_1)
	v_add_f32_e32 v41, v39, v40
	v_fmac_f32_e32 v39, s26, v40
	v_cndmask_b32_e64 v41, v39, v41, s2
	v_add_co_u32 v39, vcc_lo, v37, s10
	v_add_co_ci_u32_e32 v40, vcc_lo, s11, v38, vcc_lo
	global_store_b32 v[39:40], v41, off
	s_or_b32 exec_lo, exec_lo, s6
	s_and_saveexec_b32 s3, s4
	s_cbranch_execz .LBB116_21
.LBB116_26:                             ;   in Loop: Header=BB116_4 Depth=1
	s_waitcnt vmcnt(0)
	v_div_scale_f32 v39, null, v49, v49, v46
	v_div_scale_f32 v43, vcc_lo, v46, v49, v46
	s_delay_alu instid0(VALU_DEP_2) | instskip(SKIP_2) | instid1(VALU_DEP_1)
	v_rcp_f32_e32 v40, v39
	s_waitcnt_depctr 0xfff
	v_fma_f32 v41, -v39, v40, 1.0
	v_fmac_f32_e32 v40, v41, v40
	s_delay_alu instid0(VALU_DEP_1) | instskip(NEXT) | instid1(VALU_DEP_1)
	v_mul_f32_e32 v41, v43, v40
	v_fma_f32 v45, -v39, v41, v43
	s_delay_alu instid0(VALU_DEP_1) | instskip(NEXT) | instid1(VALU_DEP_1)
	v_fmac_f32_e32 v41, v45, v40
	v_fma_f32 v39, -v39, v41, v43
	s_delay_alu instid0(VALU_DEP_1) | instskip(NEXT) | instid1(VALU_DEP_1)
	v_div_fmas_f32 v39, v39, v40, v41
	v_div_fixup_f32 v39, v39, v49, v46
	s_delay_alu instid0(VALU_DEP_1) | instskip(SKIP_2) | instid1(VALU_DEP_2)
	v_add_f32_e32 v40, v42, v39
	v_fmac_f32_e32 v42, s26, v39
	v_add_co_u32 v39, vcc_lo, v26, s10
	v_cndmask_b32_e64 v41, v42, v40, s2
	v_add_co_ci_u32_e32 v40, vcc_lo, s11, v27, vcc_lo
	global_store_b32 v[39:40], v41, off
	s_or_b32 exec_lo, exec_lo, s3
	s_and_saveexec_b32 s3, s5
	s_cbranch_execz .LBB116_3
.LBB116_27:                             ;   in Loop: Header=BB116_4 Depth=1
	s_waitcnt vmcnt(0)
	v_div_scale_f32 v39, null, v50, v50, v48
	v_div_scale_f32 v42, vcc_lo, v48, v50, v48
	s_delay_alu instid0(VALU_DEP_2) | instskip(SKIP_2) | instid1(VALU_DEP_1)
	v_rcp_f32_e32 v40, v39
	s_waitcnt_depctr 0xfff
	v_fma_f32 v41, -v39, v40, 1.0
	v_fmac_f32_e32 v40, v41, v40
	s_delay_alu instid0(VALU_DEP_1) | instskip(NEXT) | instid1(VALU_DEP_1)
	v_mul_f32_e32 v41, v42, v40
	v_fma_f32 v43, -v39, v41, v42
	s_delay_alu instid0(VALU_DEP_1) | instskip(NEXT) | instid1(VALU_DEP_1)
	v_fmac_f32_e32 v41, v43, v40
	v_fma_f32 v39, -v39, v41, v42
	s_delay_alu instid0(VALU_DEP_1) | instskip(NEXT) | instid1(VALU_DEP_1)
	v_div_fmas_f32 v39, v39, v40, v41
	v_div_fixup_f32 v39, v39, v50, v48
	s_delay_alu instid0(VALU_DEP_1) | instskip(SKIP_2) | instid1(VALU_DEP_2)
	v_add_f32_e32 v40, v44, v39
	v_fmac_f32_e32 v44, s26, v39
	v_add_co_u32 v39, vcc_lo, v15, s10
	v_cndmask_b32_e64 v41, v44, v40, s2
	v_add_co_ci_u32_e32 v40, vcc_lo, s11, v16, vcc_lo
	global_store_b32 v[39:40], v41, off
	s_branch .LBB116_3
.LBB116_28:
	s_mov_b32 s2, 0
.LBB116_29:
	s_delay_alu instid0(SALU_CYCLE_1)
	s_and_not1_b32 vcc_lo, exec_lo, s2
	s_cbranch_vccnz .LBB116_33
; %bb.30:
	v_dual_mov_b32 v2, 0 :: v_dual_lshlrev_b32 v1, 2, v0
	s_mov_b32 s4, 0
	s_mov_b32 s2, exec_lo
	s_delay_alu instid0(VALU_DEP_1)
	v_cmpx_gt_i64_e64 s[8:9], v[1:2]
	s_cbranch_execz .LBB116_33
; %bb.31:
	s_load_b32 s0, s[0:1], 0xc84
	s_waitcnt lgkmcnt(0)
	s_and_b32 s1, s0, 0xffff
	v_cmp_eq_f32_e64 s0, s26, 1.0
	v_add_lshl_u32 v1, v0, s1, 2
	v_lshlrev_b32_e32 v0, 4, v0
	s_lshl_b32 s5, s1, 2
	s_lshl_b32 s6, s1, 4
.LBB116_32:                             ; =>This Inner Loop Header: Depth=1
	s_delay_alu instid0(VALU_DEP_1) | instskip(NEXT) | instid1(VALU_DEP_1)
	v_add_co_u32 v3, s1, s20, v0
	v_add_co_ci_u32_e64 v4, null, s21, 0, s1
	v_add_co_u32 v7, s1, s22, v0
	s_delay_alu instid0(VALU_DEP_1) | instskip(SKIP_3) | instid1(VALU_DEP_1)
	v_add_co_ci_u32_e64 v8, null, s23, 0, s1
	global_load_b128 v[3:6], v[3:4], off
	global_load_b128 v[7:10], v[7:8], off
	v_add_co_u32 v11, s1, s18, v0
	v_add_co_ci_u32_e64 v12, null, s19, 0, s1
	v_cmp_le_i64_e32 vcc_lo, s[8:9], v[1:2]
	v_cmp_lt_u64_e64 s1, 0xffff, v[1:2]
	v_add_co_u32 v15, s2, s24, v0
	global_load_b128 v[11:14], v[11:12], off
	v_add_co_ci_u32_e64 v16, null, s25, 0, s2
	s_or_b32 s7, vcc_lo, s1
	v_add_co_u32 v1, s2, v1, s5
	s_delay_alu instid0(VALU_DEP_1)
	v_add_co_ci_u32_e64 v2, s2, 0, v2, s2
	s_add_u32 s18, s18, s6
	s_addc_u32 s19, s19, 0
	s_add_u32 s24, s24, s6
	s_addc_u32 s25, s25, 0
	;; [unrolled: 2-line block ×4, first 2 shown]
	s_waitcnt vmcnt(1)
	v_div_scale_f32 v17, null, v7, v7, v3
	v_div_scale_f32 v19, null, v8, v8, v4
	;; [unrolled: 1-line block ×3, first 2 shown]
	s_delay_alu instid0(VALU_DEP_3) | instskip(SKIP_1) | instid1(VALU_DEP_3)
	v_rcp_f32_e32 v25, v17
	v_div_scale_f32 v23, null, v10, v10, v6
	v_rcp_f32_e32 v26, v19
	s_delay_alu instid0(VALU_DEP_2) | instskip(SKIP_1) | instid1(VALU_DEP_2)
	v_rcp_f32_e32 v27, v21
	v_div_scale_f32 v18, vcc_lo, v3, v7, v3
	v_rcp_f32_e32 v28, v23
	v_div_scale_f32 v20, s1, v4, v8, v4
	v_fma_f32 v29, -v17, v25, 1.0
	v_div_scale_f32 v22, s2, v5, v9, v5
	s_delay_alu instid0(TRANS32_DEP_3) | instskip(NEXT) | instid1(TRANS32_DEP_2)
	v_fma_f32 v30, -v19, v26, 1.0
	v_fma_f32 v31, -v21, v27, 1.0
	s_delay_alu instid0(VALU_DEP_4) | instskip(SKIP_1) | instid1(VALU_DEP_4)
	v_fmac_f32_e32 v25, v29, v25
	v_div_scale_f32 v24, s3, v6, v10, v6
	v_fmac_f32_e32 v26, v30, v26
	s_delay_alu instid0(TRANS32_DEP_1) | instskip(SKIP_1) | instid1(VALU_DEP_3)
	v_fma_f32 v32, -v23, v28, 1.0
	v_fmac_f32_e32 v27, v31, v27
	v_dual_mul_f32 v29, v18, v25 :: v_dual_mul_f32 v30, v20, v26
	s_delay_alu instid0(VALU_DEP_2) | instskip(NEXT) | instid1(VALU_DEP_2)
	v_dual_fmac_f32 v28, v32, v28 :: v_dual_mul_f32 v31, v22, v27
	v_fma_f32 v33, -v17, v29, v18
	s_delay_alu instid0(VALU_DEP_3) | instskip(NEXT) | instid1(VALU_DEP_3)
	v_fma_f32 v34, -v19, v30, v20
	v_mul_f32_e32 v32, v24, v28
	s_delay_alu instid0(VALU_DEP_4) | instskip(NEXT) | instid1(VALU_DEP_3)
	v_fma_f32 v35, -v21, v31, v22
	v_dual_fmac_f32 v29, v33, v25 :: v_dual_fmac_f32 v30, v34, v26
	s_delay_alu instid0(VALU_DEP_3) | instskip(NEXT) | instid1(VALU_DEP_3)
	v_fma_f32 v36, -v23, v32, v24
	v_fmac_f32_e32 v31, v35, v27
	s_delay_alu instid0(VALU_DEP_3) | instskip(NEXT) | instid1(VALU_DEP_4)
	v_fma_f32 v17, -v17, v29, v18
	v_fma_f32 v18, -v19, v30, v20
	s_delay_alu instid0(VALU_DEP_4) | instskip(NEXT) | instid1(VALU_DEP_4)
	v_fmac_f32_e32 v32, v36, v28
	v_fma_f32 v19, -v21, v31, v22
	s_delay_alu instid0(VALU_DEP_4)
	v_div_fmas_f32 v17, v17, v25, v29
	s_mov_b32 vcc_lo, s1
	s_and_b32 s1, exec_lo, s7
	v_fma_f32 v20, -v23, v32, v24
	v_div_fmas_f32 v18, v18, v26, v30
	s_mov_b32 vcc_lo, s2
	v_div_fixup_f32 v3, v17, v7, v3
	v_div_fmas_f32 v19, v19, v27, v31
	s_mov_b32 vcc_lo, s3
	v_div_fixup_f32 v4, v18, v8, v4
	v_div_fmas_f32 v7, v20, v28, v32
	s_waitcnt vmcnt(0)
	v_add_f32_e32 v8, v11, v3
	v_div_fixup_f32 v5, v19, v9, v5
	v_fma_f32 v3, s26, v3, v11
	s_or_b32 s4, s1, s4
	v_div_fixup_f32 v6, v7, v10, v6
	v_add_f32_e32 v7, v12, v4
	v_fma_f32 v4, s26, v4, v12
	v_add_f32_e32 v9, v13, v5
	v_fma_f32 v5, s26, v5, v13
	v_add_f32_e32 v10, v14, v6
	v_fmac_f32_e32 v14, s26, v6
	v_cndmask_b32_e64 v3, v3, v8, s0
	v_cndmask_b32_e64 v4, v4, v7, s0
	;; [unrolled: 1-line block ×3, first 2 shown]
	s_delay_alu instid0(VALU_DEP_4)
	v_cndmask_b32_e64 v6, v14, v10, s0
	global_store_b128 v[15:16], v[3:6], off
	s_and_not1_b32 exec_lo, exec_lo, s4
	s_cbranch_execnz .LBB116_32
.LBB116_33:
	s_nop 0
	s_sendmsg sendmsg(MSG_DEALLOC_VGPRS)
	s_endpgm
	.section	.rodata,"a",@progbits
	.p2align	6, 0x0
	.amdhsa_kernel _ZN2at6native12_GLOBAL__N_125multi_tensor_apply_kernelINS1_28TensorListScalarListMetadataIfLi4EEENS1_28PointwiseOpScalarListFunctorIfLi4ELi3ELi3EEEJSt7dividesIfEEEEvT_T0_DpT1_
		.amdhsa_group_segment_fixed_size 0
		.amdhsa_private_segment_fixed_size 0
		.amdhsa_kernarg_size 3448
		.amdhsa_user_sgpr_count 15
		.amdhsa_user_sgpr_dispatch_ptr 0
		.amdhsa_user_sgpr_queue_ptr 0
		.amdhsa_user_sgpr_kernarg_segment_ptr 1
		.amdhsa_user_sgpr_dispatch_id 0
		.amdhsa_user_sgpr_private_segment_size 0
		.amdhsa_wavefront_size32 1
		.amdhsa_uses_dynamic_stack 0
		.amdhsa_enable_private_segment 0
		.amdhsa_system_sgpr_workgroup_id_x 1
		.amdhsa_system_sgpr_workgroup_id_y 0
		.amdhsa_system_sgpr_workgroup_id_z 0
		.amdhsa_system_sgpr_workgroup_info 0
		.amdhsa_system_vgpr_workitem_id 0
		.amdhsa_next_free_vgpr 56
		.amdhsa_next_free_sgpr 31
		.amdhsa_reserve_vcc 1
		.amdhsa_float_round_mode_32 0
		.amdhsa_float_round_mode_16_64 0
		.amdhsa_float_denorm_mode_32 3
		.amdhsa_float_denorm_mode_16_64 3
		.amdhsa_dx10_clamp 1
		.amdhsa_ieee_mode 1
		.amdhsa_fp16_overflow 0
		.amdhsa_workgroup_processor_mode 1
		.amdhsa_memory_ordered 1
		.amdhsa_forward_progress 0
		.amdhsa_shared_vgpr_count 0
		.amdhsa_exception_fp_ieee_invalid_op 0
		.amdhsa_exception_fp_denorm_src 0
		.amdhsa_exception_fp_ieee_div_zero 0
		.amdhsa_exception_fp_ieee_overflow 0
		.amdhsa_exception_fp_ieee_underflow 0
		.amdhsa_exception_fp_ieee_inexact 0
		.amdhsa_exception_int_div_zero 0
	.end_amdhsa_kernel
	.section	.text._ZN2at6native12_GLOBAL__N_125multi_tensor_apply_kernelINS1_28TensorListScalarListMetadataIfLi4EEENS1_28PointwiseOpScalarListFunctorIfLi4ELi3ELi3EEEJSt7dividesIfEEEEvT_T0_DpT1_,"axG",@progbits,_ZN2at6native12_GLOBAL__N_125multi_tensor_apply_kernelINS1_28TensorListScalarListMetadataIfLi4EEENS1_28PointwiseOpScalarListFunctorIfLi4ELi3ELi3EEEJSt7dividesIfEEEEvT_T0_DpT1_,comdat
.Lfunc_end116:
	.size	_ZN2at6native12_GLOBAL__N_125multi_tensor_apply_kernelINS1_28TensorListScalarListMetadataIfLi4EEENS1_28PointwiseOpScalarListFunctorIfLi4ELi3ELi3EEEJSt7dividesIfEEEEvT_T0_DpT1_, .Lfunc_end116-_ZN2at6native12_GLOBAL__N_125multi_tensor_apply_kernelINS1_28TensorListScalarListMetadataIfLi4EEENS1_28PointwiseOpScalarListFunctorIfLi4ELi3ELi3EEEJSt7dividesIfEEEEvT_T0_DpT1_
                                        ; -- End function
	.section	.AMDGPU.csdata,"",@progbits
; Kernel info:
; codeLenInByte = 2960
; NumSgprs: 33
; NumVgprs: 56
; ScratchSize: 0
; MemoryBound: 0
; FloatMode: 240
; IeeeMode: 1
; LDSByteSize: 0 bytes/workgroup (compile time only)
; SGPRBlocks: 4
; VGPRBlocks: 6
; NumSGPRsForWavesPerEU: 33
; NumVGPRsForWavesPerEU: 56
; Occupancy: 16
; WaveLimiterHint : 0
; COMPUTE_PGM_RSRC2:SCRATCH_EN: 0
; COMPUTE_PGM_RSRC2:USER_SGPR: 15
; COMPUTE_PGM_RSRC2:TRAP_HANDLER: 0
; COMPUTE_PGM_RSRC2:TGID_X_EN: 1
; COMPUTE_PGM_RSRC2:TGID_Y_EN: 0
; COMPUTE_PGM_RSRC2:TGID_Z_EN: 0
; COMPUTE_PGM_RSRC2:TIDIG_COMP_CNT: 0
	.section	.text._ZN2at6native12_GLOBAL__N_125multi_tensor_apply_kernelINS1_28TensorListScalarListMetadataIN3c107complexIdEELi4EEENS1_28PointwiseOpScalarListFunctorIS6_Li4ELi3ELi3EEEJSt7dividesIS6_EEEEvT_T0_DpT1_,"axG",@progbits,_ZN2at6native12_GLOBAL__N_125multi_tensor_apply_kernelINS1_28TensorListScalarListMetadataIN3c107complexIdEELi4EEENS1_28PointwiseOpScalarListFunctorIS6_Li4ELi3ELi3EEEJSt7dividesIS6_EEEEvT_T0_DpT1_,comdat
	.globl	_ZN2at6native12_GLOBAL__N_125multi_tensor_apply_kernelINS1_28TensorListScalarListMetadataIN3c107complexIdEELi4EEENS1_28PointwiseOpScalarListFunctorIS6_Li4ELi3ELi3EEEJSt7dividesIS6_EEEEvT_T0_DpT1_ ; -- Begin function _ZN2at6native12_GLOBAL__N_125multi_tensor_apply_kernelINS1_28TensorListScalarListMetadataIN3c107complexIdEELi4EEENS1_28PointwiseOpScalarListFunctorIS6_Li4ELi3ELi3EEEJSt7dividesIS6_EEEEvT_T0_DpT1_
	.p2align	8
	.type	_ZN2at6native12_GLOBAL__N_125multi_tensor_apply_kernelINS1_28TensorListScalarListMetadataIN3c107complexIdEELi4EEENS1_28PointwiseOpScalarListFunctorIS6_Li4ELi3ELi3EEEJSt7dividesIS6_EEEEvT_T0_DpT1_,@function
_ZN2at6native12_GLOBAL__N_125multi_tensor_apply_kernelINS1_28TensorListScalarListMetadataIN3c107complexIdEELi4EEENS1_28PointwiseOpScalarListFunctorIS6_Li4ELi3ELi3EEEJSt7dividesIS6_EEEEvT_T0_DpT1_: ; @_ZN2at6native12_GLOBAL__N_125multi_tensor_apply_kernelINS1_28TensorListScalarListMetadataIN3c107complexIdEELi4EEENS1_28PointwiseOpScalarListFunctorIS6_Li4ELi3ELi3EEEJSt7dividesIS6_EEEEvT_T0_DpT1_
; %bb.0:
	v_mov_b32_e32 v1, s15
	s_add_u32 s2, s0, s15
	s_mul_i32 s3, s15, 3
	s_mul_hi_u32 s4, s15, 3
	s_addc_u32 s5, s1, 0
	global_load_u8 v1, v1, s[0:1] offset:2016
	s_add_u32 s2, s2, s3
	s_addc_u32 s3, s5, s4
	s_mov_b32 s19, 0
	s_load_b32 s12, s[2:3], 0x920
	s_waitcnt lgkmcnt(0)
	s_ashr_i32 s13, s12, 31
	s_waitcnt vmcnt(0)
	v_readfirstlane_b32 s4, v1
	s_delay_alu instid0(VALU_DEP_1)
	s_lshl_b32 s10, s4, 3
	s_clause 0x4
	s_load_b64 s[2:3], s[0:1], s10 offset:0x0
	s_load_b64 s[4:5], s[0:1], s10 offset:0x120
	;; [unrolled: 1-line block ×5, first 2 shown]
	s_add_u32 s8, s0, s10
	s_addc_u32 s9, s1, 0
	s_lshl_b64 s[14:15], s[12:13], 20
	s_waitcnt lgkmcnt(0)
	s_add_u32 s22, s2, s14
	s_addc_u32 s23, s3, s15
	s_add_u32 s24, s4, s14
	s_addc_u32 s25, s5, s15
	s_and_b32 s18, s24, 63
	s_add_u32 s26, s6, s14
	s_addc_u32 s27, s7, s15
	s_add_u32 s28, s20, s14
	s_addc_u32 s29, s21, s15
	s_or_b32 s11, s28, s26
	s_delay_alu instid0(SALU_CYCLE_1) | instskip(NEXT) | instid1(SALU_CYCLE_1)
	s_and_b32 s11, s11, 63
	s_cmp_eq_u32 s11, 0
	s_load_b128 s[8:11], s[8:9], s10 offset:0x5a0
	s_cselect_b32 s30, -1, 0
	s_and_b32 s31, s22, 63
	s_cmp_eq_u64 s[18:19], 0
	s_cselect_b32 s18, -1, 0
	s_lshl_b64 s[12:13], s[12:13], 16
	s_and_b32 s30, s30, s18
	s_sub_u32 s12, s16, s12
	s_subb_u32 s13, s17, s13
	s_and_b32 s16, s16, 3
	s_delay_alu instid0(SALU_CYCLE_1) | instskip(NEXT) | instid1(SALU_CYCLE_1)
	s_or_b32 s18, s31, s16
	s_cmp_eq_u64 s[18:19], 0
	s_cselect_b32 s16, -1, 0
	s_delay_alu instid0(SALU_CYCLE_1) | instskip(NEXT) | instid1(SALU_CYCLE_1)
	s_and_b32 s16, s30, s16
	s_and_b32 vcc_lo, exec_lo, s16
	s_mov_b32 s16, -1
	s_cbranch_vccnz .LBB117_109
; %bb.1:
	v_cmp_lt_i64_e64 s16, s[12:13], 1
	s_delay_alu instid0(VALU_DEP_1)
	s_and_b32 vcc_lo, exec_lo, s16
	s_cbranch_vccnz .LBB117_108
; %bb.2:
	s_waitcnt lgkmcnt(0)
	v_cmp_neq_f64_e64 s16, s[8:9], 1.0
	v_cmp_neq_f64_e64 s34, s[10:11], 0
	s_load_b32 s18, s[0:1], 0xe34
	v_dual_mov_b32 v1, 0 :: v_dual_lshlrev_b32 v6, 4, v0
	v_cmp_gt_u64_e64 s19, 0x10000, s[12:13]
	s_mov_b32 s17, 0
	s_delay_alu instid0(VALU_DEP_2) | instskip(NEXT) | instid1(VALU_DEP_3)
	v_or_b32_e32 v2, 8, v6
	v_mov_b32_e32 v3, v1
	v_dual_mov_b32 v50, v1 :: v_dual_mov_b32 v49, v0
	s_delay_alu instid0(VALU_DEP_3) | instskip(NEXT) | instid1(VALU_DEP_1)
	v_add_co_u32 v59, s30, s4, v2
	v_add_co_ci_u32_e64 v60, null, s5, 0, s30
	v_add_co_u32 v61, s30, s2, v2
	s_delay_alu instid0(VALU_DEP_1) | instskip(SKIP_1) | instid1(VALU_DEP_1)
	v_add_co_ci_u32_e64 v62, null, s3, 0, s30
	v_add_co_u32 v63, s30, s6, v2
	v_add_co_ci_u32_e64 v64, null, s7, 0, s30
	s_waitcnt lgkmcnt(0)
	s_and_b32 s30, s18, 0xffff
	s_and_b32 s18, s19, exec_lo
	v_mad_u64_u32 v[4:5], null, s30, 48, v[2:3]
	v_add_lshl_u32 v7, v0, s30, 4
	s_cselect_b32 s19, s13, 0
	s_cselect_b32 s18, s12, 0x10000
	s_lshl_b32 s31, s30, 1
	s_mul_i32 s33, s30, 3
	v_add_co_u32 v65, s35, s20, v7
	s_delay_alu instid0(VALU_DEP_3) | instskip(SKIP_3) | instid1(VALU_DEP_1)
	v_add_co_u32 v73, vcc_lo, s4, v4
	v_add_co_ci_u32_e32 v74, vcc_lo, s5, v5, vcc_lo
	s_or_b32 s34, s16, s34
	v_add_co_u32 v69, s16, s20, v2
	v_add_co_ci_u32_e64 v70, null, s21, 0, s16
	v_add_co_u32 v71, s16, s2, v7
	s_delay_alu instid0(VALU_DEP_1) | instskip(SKIP_1) | instid1(VALU_DEP_1)
	v_add_co_ci_u32_e64 v72, null, s3, 0, s16
	v_add_co_u32 v75, s16, s4, v7
	v_add_co_ci_u32_e64 v76, null, s5, 0, s16
	s_lshl_b32 s16, s30, 5
	v_add_co_u32 v77, vcc_lo, s2, v4
	v_add_co_u32 v2, s16, s16, v6
	v_add_co_ci_u32_e32 v78, vcc_lo, s3, v5, vcc_lo
	v_add_co_ci_u32_e64 v3, null, 0, 0, s16
	v_add_co_u32 v79, vcc_lo, s6, v4
	v_add_co_ci_u32_e32 v80, vcc_lo, s7, v5, vcc_lo
	v_add_co_u32 v81, vcc_lo, s20, v2
	s_delay_alu instid0(VALU_DEP_4)
	v_add_co_ci_u32_e32 v82, vcc_lo, s21, v3, vcc_lo
	v_add_co_u32 v83, vcc_lo, s20, v4
	v_or_b32_e32 v4, 8, v2
	v_add_co_ci_u32_e32 v84, vcc_lo, s21, v5, vcc_lo
	v_add_co_u32 v85, vcc_lo, s6, v2
	v_add_co_ci_u32_e32 v86, vcc_lo, s7, v3, vcc_lo
	s_delay_alu instid0(VALU_DEP_4)
	v_add_co_u32 v87, vcc_lo, s4, v4
	v_add_co_ci_u32_e32 v88, vcc_lo, s5, v3, vcc_lo
	v_add_co_ci_u32_e64 v66, null, s21, 0, s35
	v_add_co_u32 v67, s35, s6, v7
	v_add_co_u32 v89, vcc_lo, s2, v4
	v_add_co_ci_u32_e64 v68, null, s7, 0, s35
	v_add_co_ci_u32_e32 v90, vcc_lo, s3, v3, vcc_lo
	s_lshl_b32 s16, s30, 2
	s_lshl_b32 s35, s30, 6
	s_mov_b64 s[20:21], s[16:17]
	s_branch .LBB117_4
.LBB117_3:                              ;   in Loop: Header=BB117_4 Depth=1
	s_or_b32 exec_lo, exec_lo, s2
	v_add_co_u32 v49, vcc_lo, v49, s16
	v_add_co_ci_u32_e32 v50, vcc_lo, 0, v50, vcc_lo
	v_add_co_u32 v59, vcc_lo, v59, s35
	v_add_co_ci_u32_e32 v60, vcc_lo, 0, v60, vcc_lo
	;; [unrolled: 2-line block ×15, first 2 shown]
	v_cmp_ge_i64_e64 s2, s[20:21], s[12:13]
	v_cmp_lt_u64_e64 s3, 0xffff, s[20:21]
	v_add_co_u32 v87, vcc_lo, v87, s35
	v_add_co_ci_u32_e32 v88, vcc_lo, 0, v88, vcc_lo
	v_add_co_u32 v89, vcc_lo, v89, s35
	v_add_co_ci_u32_e32 v90, vcc_lo, 0, v90, vcc_lo
	s_or_b32 s2, s2, s3
	s_add_u32 s20, s20, s16
	s_addc_u32 s21, s21, 0
	s_and_b32 vcc_lo, exec_lo, s2
	s_cbranch_vccnz .LBB117_108
.LBB117_4:                              ; =>This Inner Loop Header: Depth=1
	v_mov_b32_e32 v47, 0
	v_mov_b32_e32 v48, 0
	v_cmp_gt_u64_e64 s2, s[18:19], v[49:50]
	s_delay_alu instid0(VALU_DEP_3) | instskip(SKIP_1) | instid1(VALU_DEP_4)
	v_mov_b32_e32 v43, v47
	v_mov_b32_e32 v41, v47
	v_dual_mov_b32 v3, v47 :: v_dual_mov_b32 v4, v48
	v_mov_b32_e32 v44, v48
	v_dual_mov_b32 v42, v48 :: v_dual_mov_b32 v1, v47
	v_mov_b32_e32 v2, v48
	s_and_saveexec_b32 s3, s2
	s_cbranch_execz .LBB117_6
; %bb.5:                                ;   in Loop: Header=BB117_4 Depth=1
	v_add_co_u32 v1, vcc_lo, v61, s14
	v_add_co_ci_u32_e32 v2, vcc_lo, s15, v62, vcc_lo
	v_add_co_u32 v5, vcc_lo, v59, s14
	v_add_co_ci_u32_e32 v6, vcc_lo, s15, v60, vcc_lo
	global_load_b128 v[1:4], v[1:2], off offset:-8
	global_load_b128 v[41:44], v[5:6], off offset:-8
.LBB117_6:                              ;   in Loop: Header=BB117_4 Depth=1
	s_or_b32 exec_lo, exec_lo, s3
	v_dual_mov_b32 v45, v47 :: v_dual_mov_b32 v46, v48
	s_and_saveexec_b32 s3, s2
	s_cbranch_execz .LBB117_8
; %bb.7:                                ;   in Loop: Header=BB117_4 Depth=1
	v_add_co_u32 v5, vcc_lo, v63, s14
	v_add_co_ci_u32_e32 v6, vcc_lo, s15, v64, vcc_lo
	global_load_b128 v[45:48], v[5:6], off offset:-8
.LBB117_8:                              ;   in Loop: Header=BB117_4 Depth=1
	s_or_b32 exec_lo, exec_lo, s3
	v_add_co_u32 v5, vcc_lo, s30, v49
	v_add_co_ci_u32_e32 v6, vcc_lo, 0, v50, vcc_lo
	v_mov_b32_e32 v39, 0
	v_mov_b32_e32 v40, 0
	s_delay_alu instid0(VALU_DEP_2) | instskip(NEXT) | instid1(VALU_DEP_4)
	v_mov_b32_e32 v35, v39
	v_cmp_gt_u64_e64 s3, s[18:19], v[5:6]
	v_mov_b32_e32 v33, v39
	s_delay_alu instid0(VALU_DEP_4)
	v_dual_mov_b32 v7, v39 :: v_dual_mov_b32 v8, v40
	v_mov_b32_e32 v36, v40
	v_dual_mov_b32 v34, v40 :: v_dual_mov_b32 v5, v39
	v_mov_b32_e32 v6, v40
	s_and_saveexec_b32 s4, s3
	s_cbranch_execz .LBB117_10
; %bb.9:                                ;   in Loop: Header=BB117_4 Depth=1
	v_add_co_u32 v5, vcc_lo, v71, s14
	v_add_co_ci_u32_e32 v6, vcc_lo, s15, v72, vcc_lo
	v_add_co_u32 v9, vcc_lo, v75, s14
	v_add_co_ci_u32_e32 v10, vcc_lo, s15, v76, vcc_lo
	global_load_b128 v[5:8], v[5:6], off
	global_load_b128 v[33:36], v[9:10], off
.LBB117_10:                             ;   in Loop: Header=BB117_4 Depth=1
	s_or_b32 exec_lo, exec_lo, s4
	v_dual_mov_b32 v37, v39 :: v_dual_mov_b32 v38, v40
	s_and_saveexec_b32 s4, s3
	s_cbranch_execz .LBB117_12
; %bb.11:                               ;   in Loop: Header=BB117_4 Depth=1
	v_add_co_u32 v9, vcc_lo, v67, s14
	v_add_co_ci_u32_e32 v10, vcc_lo, s15, v68, vcc_lo
	global_load_b128 v[37:40], v[9:10], off
.LBB117_12:                             ;   in Loop: Header=BB117_4 Depth=1
	s_or_b32 exec_lo, exec_lo, s4
	v_add_co_u32 v9, vcc_lo, s31, v49
	v_add_co_ci_u32_e32 v10, vcc_lo, 0, v50, vcc_lo
	v_mov_b32_e32 v31, 0
	v_mov_b32_e32 v32, 0
	s_delay_alu instid0(VALU_DEP_2) | instskip(NEXT) | instid1(VALU_DEP_4)
	v_mov_b32_e32 v27, v31
	v_cmp_gt_u64_e64 s4, s[18:19], v[9:10]
	v_mov_b32_e32 v25, v31
	s_delay_alu instid0(VALU_DEP_4)
	v_dual_mov_b32 v11, v31 :: v_dual_mov_b32 v12, v32
	v_mov_b32_e32 v28, v32
	v_dual_mov_b32 v26, v32 :: v_dual_mov_b32 v9, v31
	v_mov_b32_e32 v10, v32
	s_and_saveexec_b32 s5, s4
	s_cbranch_execz .LBB117_14
; %bb.13:                               ;   in Loop: Header=BB117_4 Depth=1
	v_add_co_u32 v9, vcc_lo, v89, s14
	v_add_co_ci_u32_e32 v10, vcc_lo, s15, v90, vcc_lo
	v_add_co_u32 v13, vcc_lo, v87, s14
	v_add_co_ci_u32_e32 v14, vcc_lo, s15, v88, vcc_lo
	global_load_b128 v[9:12], v[9:10], off offset:-8
	global_load_b128 v[25:28], v[13:14], off offset:-8
.LBB117_14:                             ;   in Loop: Header=BB117_4 Depth=1
	s_or_b32 exec_lo, exec_lo, s5
	v_dual_mov_b32 v29, v31 :: v_dual_mov_b32 v30, v32
	s_and_saveexec_b32 s5, s4
	s_cbranch_execz .LBB117_16
; %bb.15:                               ;   in Loop: Header=BB117_4 Depth=1
	v_add_co_u32 v13, vcc_lo, v85, s14
	v_add_co_ci_u32_e32 v14, vcc_lo, s15, v86, vcc_lo
	global_load_b128 v[29:32], v[13:14], off
.LBB117_16:                             ;   in Loop: Header=BB117_4 Depth=1
	s_or_b32 exec_lo, exec_lo, s5
	v_add_co_u32 v13, vcc_lo, s33, v49
	v_add_co_ci_u32_e32 v14, vcc_lo, 0, v50, vcc_lo
	v_mov_b32_e32 v23, 0
	v_mov_b32_e32 v24, 0
	s_delay_alu instid0(VALU_DEP_2) | instskip(NEXT) | instid1(VALU_DEP_4)
	v_mov_b32_e32 v19, v23
	v_cmp_gt_u64_e64 s5, s[18:19], v[13:14]
	v_mov_b32_e32 v17, v23
	s_delay_alu instid0(VALU_DEP_4)
	v_dual_mov_b32 v15, v23 :: v_dual_mov_b32 v16, v24
	v_mov_b32_e32 v20, v24
	v_dual_mov_b32 v18, v24 :: v_dual_mov_b32 v13, v23
	v_mov_b32_e32 v14, v24
	s_and_saveexec_b32 s6, s5
	s_cbranch_execz .LBB117_18
; %bb.17:                               ;   in Loop: Header=BB117_4 Depth=1
	v_add_co_u32 v13, vcc_lo, v77, s14
	v_add_co_ci_u32_e32 v14, vcc_lo, s15, v78, vcc_lo
	v_add_co_u32 v17, vcc_lo, v73, s14
	v_add_co_ci_u32_e32 v18, vcc_lo, s15, v74, vcc_lo
	global_load_b128 v[13:16], v[13:14], off offset:-8
	global_load_b128 v[17:20], v[17:18], off offset:-8
.LBB117_18:                             ;   in Loop: Header=BB117_4 Depth=1
	s_or_b32 exec_lo, exec_lo, s6
	v_dual_mov_b32 v21, v23 :: v_dual_mov_b32 v22, v24
	s_and_saveexec_b32 s6, s5
	s_cbranch_execz .LBB117_20
; %bb.19:                               ;   in Loop: Header=BB117_4 Depth=1
	v_add_co_u32 v21, vcc_lo, v79, s14
	v_add_co_ci_u32_e32 v22, vcc_lo, s15, v80, vcc_lo
	global_load_b128 v[21:24], v[21:22], off offset:-8
.LBB117_20:                             ;   in Loop: Header=BB117_4 Depth=1
	s_or_b32 exec_lo, exec_lo, s6
	s_waitcnt vmcnt(0)
	v_cmp_gt_f64_e32 vcc_lo, 0, v[45:46]
	v_cmp_gt_f64_e64 s6, 0, v[47:48]
	v_xor_b32_e32 v51, 0x80000000, v46
	v_xor_b32_e32 v52, 0x80000000, v48
	s_delay_alu instid0(VALU_DEP_2) | instskip(NEXT) | instid1(VALU_DEP_2)
	v_dual_cndmask_b32 v56, v46, v51 :: v_dual_cndmask_b32 v55, v45, v45
	v_cndmask_b32_e64 v58, v48, v52, s6
	v_cndmask_b32_e64 v57, v47, v47, s6
	s_and_b32 vcc_lo, exec_lo, s34
	s_delay_alu instid0(VALU_DEP_1)
	v_cmp_ge_f64_e64 s6, v[55:56], v[57:58]
	s_cbranch_vccz .LBB117_30
; %bb.21:                               ;   in Loop: Header=BB117_4 Depth=1
                                        ; implicit-def: $vgpr51_vgpr52
                                        ; implicit-def: $vgpr53_vgpr54
	s_delay_alu instid0(VALU_DEP_1) | instskip(NEXT) | instid1(SALU_CYCLE_1)
	s_and_saveexec_b32 s7, s6
	s_xor_b32 s17, exec_lo, s7
	s_cbranch_execz .LBB117_27
; %bb.22:                               ;   in Loop: Header=BB117_4 Depth=1
	v_cmp_neq_f64_e32 vcc_lo, 0, v[45:46]
	v_cmp_neq_f64_e64 s7, 0, v[47:48]
                                        ; implicit-def: $vgpr51_vgpr52
                                        ; implicit-def: $vgpr53_vgpr54
	s_delay_alu instid0(VALU_DEP_1) | instskip(NEXT) | instid1(SALU_CYCLE_1)
	s_or_b32 s7, s7, vcc_lo
	s_and_saveexec_b32 s36, s7
	s_delay_alu instid0(SALU_CYCLE_1)
	s_xor_b32 s7, exec_lo, s36
	s_cbranch_execz .LBB117_24
; %bb.23:                               ;   in Loop: Header=BB117_4 Depth=1
	v_div_scale_f64 v[51:52], null, v[45:46], v[45:46], v[47:48]
	v_div_scale_f64 v[93:94], vcc_lo, v[47:48], v[45:46], v[47:48]
	s_delay_alu instid0(VALU_DEP_2) | instskip(SKIP_2) | instid1(VALU_DEP_1)
	v_rcp_f64_e32 v[53:54], v[51:52]
	s_waitcnt_depctr 0xfff
	v_fma_f64 v[91:92], -v[51:52], v[53:54], 1.0
	v_fma_f64 v[53:54], v[53:54], v[91:92], v[53:54]
	s_delay_alu instid0(VALU_DEP_1) | instskip(NEXT) | instid1(VALU_DEP_1)
	v_fma_f64 v[91:92], -v[51:52], v[53:54], 1.0
	v_fma_f64 v[53:54], v[53:54], v[91:92], v[53:54]
	s_delay_alu instid0(VALU_DEP_1) | instskip(NEXT) | instid1(VALU_DEP_1)
	v_mul_f64 v[91:92], v[93:94], v[53:54]
	v_fma_f64 v[51:52], -v[51:52], v[91:92], v[93:94]
	s_delay_alu instid0(VALU_DEP_1) | instskip(NEXT) | instid1(VALU_DEP_1)
	v_div_fmas_f64 v[51:52], v[51:52], v[53:54], v[91:92]
	v_div_fixup_f64 v[51:52], v[51:52], v[45:46], v[47:48]
	s_delay_alu instid0(VALU_DEP_1) | instskip(NEXT) | instid1(VALU_DEP_1)
	v_fma_f64 v[53:54], v[47:48], v[51:52], v[45:46]
	v_div_scale_f64 v[91:92], null, v[53:54], v[53:54], 1.0
	v_div_scale_f64 v[97:98], vcc_lo, 1.0, v[53:54], 1.0
	s_delay_alu instid0(VALU_DEP_2) | instskip(SKIP_2) | instid1(VALU_DEP_1)
	v_rcp_f64_e32 v[93:94], v[91:92]
	s_waitcnt_depctr 0xfff
	v_fma_f64 v[95:96], -v[91:92], v[93:94], 1.0
	v_fma_f64 v[93:94], v[93:94], v[95:96], v[93:94]
	s_delay_alu instid0(VALU_DEP_1) | instskip(NEXT) | instid1(VALU_DEP_1)
	v_fma_f64 v[95:96], -v[91:92], v[93:94], 1.0
	v_fma_f64 v[93:94], v[93:94], v[95:96], v[93:94]
	s_delay_alu instid0(VALU_DEP_1) | instskip(NEXT) | instid1(VALU_DEP_1)
	v_mul_f64 v[95:96], v[97:98], v[93:94]
	v_fma_f64 v[91:92], -v[91:92], v[95:96], v[97:98]
	s_delay_alu instid0(VALU_DEP_1) | instskip(SKIP_2) | instid1(VALU_DEP_3)
	v_div_fmas_f64 v[91:92], v[91:92], v[93:94], v[95:96]
	v_fma_f64 v[93:94], v[43:44], v[51:52], v[41:42]
	v_fma_f64 v[51:52], -v[41:42], v[51:52], v[43:44]
	v_div_fixup_f64 v[91:92], v[91:92], v[53:54], 1.0
	s_delay_alu instid0(VALU_DEP_1) | instskip(NEXT) | instid1(VALU_DEP_3)
	v_mul_f64 v[53:54], v[93:94], v[91:92]
	v_mul_f64 v[51:52], v[51:52], v[91:92]
.LBB117_24:                             ;   in Loop: Header=BB117_4 Depth=1
	s_and_not1_saveexec_b32 s36, s7
	s_cbranch_execz .LBB117_26
; %bb.25:                               ;   in Loop: Header=BB117_4 Depth=1
	v_div_scale_f64 v[51:52], null, v[55:56], v[55:56], v[41:42]
	v_div_scale_f64 v[53:54], null, v[57:58], v[57:58], v[43:44]
	v_div_scale_f64 v[99:100], vcc_lo, v[41:42], v[55:56], v[41:42]
	s_delay_alu instid0(VALU_DEP_3) | instskip(NEXT) | instid1(VALU_DEP_2)
	v_rcp_f64_e32 v[91:92], v[51:52]
	v_rcp_f64_e32 v[93:94], v[53:54]
	s_waitcnt_depctr 0xfff
	v_fma_f64 v[95:96], -v[51:52], v[91:92], 1.0
	v_fma_f64 v[97:98], -v[53:54], v[93:94], 1.0
	s_delay_alu instid0(VALU_DEP_2) | instskip(NEXT) | instid1(VALU_DEP_2)
	v_fma_f64 v[91:92], v[91:92], v[95:96], v[91:92]
	v_fma_f64 v[93:94], v[93:94], v[97:98], v[93:94]
	s_delay_alu instid0(VALU_DEP_2) | instskip(NEXT) | instid1(VALU_DEP_2)
	v_fma_f64 v[95:96], -v[51:52], v[91:92], 1.0
	v_fma_f64 v[97:98], -v[53:54], v[93:94], 1.0
	s_delay_alu instid0(VALU_DEP_2) | instskip(SKIP_1) | instid1(VALU_DEP_3)
	v_fma_f64 v[91:92], v[91:92], v[95:96], v[91:92]
	v_div_scale_f64 v[95:96], s7, v[43:44], v[57:58], v[43:44]
	v_fma_f64 v[93:94], v[93:94], v[97:98], v[93:94]
	s_delay_alu instid0(VALU_DEP_3) | instskip(NEXT) | instid1(VALU_DEP_2)
	v_mul_f64 v[97:98], v[99:100], v[91:92]
	v_mul_f64 v[101:102], v[95:96], v[93:94]
	s_delay_alu instid0(VALU_DEP_2) | instskip(NEXT) | instid1(VALU_DEP_2)
	v_fma_f64 v[51:52], -v[51:52], v[97:98], v[99:100]
	v_fma_f64 v[53:54], -v[53:54], v[101:102], v[95:96]
	s_delay_alu instid0(VALU_DEP_2) | instskip(SKIP_1) | instid1(VALU_DEP_2)
	v_div_fmas_f64 v[51:52], v[51:52], v[91:92], v[97:98]
	s_mov_b32 vcc_lo, s7
	v_div_fmas_f64 v[91:92], v[53:54], v[93:94], v[101:102]
	s_delay_alu instid0(VALU_DEP_2) | instskip(NEXT) | instid1(VALU_DEP_2)
	v_div_fixup_f64 v[53:54], v[51:52], v[55:56], v[41:42]
	v_div_fixup_f64 v[51:52], v[91:92], v[57:58], v[43:44]
.LBB117_26:                             ;   in Loop: Header=BB117_4 Depth=1
	s_or_b32 exec_lo, exec_lo, s36
.LBB117_27:                             ;   in Loop: Header=BB117_4 Depth=1
	s_and_not1_saveexec_b32 s7, s17
	s_cbranch_execz .LBB117_29
; %bb.28:                               ;   in Loop: Header=BB117_4 Depth=1
	v_div_scale_f64 v[51:52], null, v[47:48], v[47:48], v[45:46]
	v_div_scale_f64 v[93:94], vcc_lo, v[45:46], v[47:48], v[45:46]
	s_delay_alu instid0(VALU_DEP_2) | instskip(SKIP_2) | instid1(VALU_DEP_1)
	v_rcp_f64_e32 v[53:54], v[51:52]
	s_waitcnt_depctr 0xfff
	v_fma_f64 v[91:92], -v[51:52], v[53:54], 1.0
	v_fma_f64 v[53:54], v[53:54], v[91:92], v[53:54]
	s_delay_alu instid0(VALU_DEP_1) | instskip(NEXT) | instid1(VALU_DEP_1)
	v_fma_f64 v[91:92], -v[51:52], v[53:54], 1.0
	v_fma_f64 v[53:54], v[53:54], v[91:92], v[53:54]
	s_delay_alu instid0(VALU_DEP_1) | instskip(NEXT) | instid1(VALU_DEP_1)
	v_mul_f64 v[91:92], v[93:94], v[53:54]
	v_fma_f64 v[51:52], -v[51:52], v[91:92], v[93:94]
	s_delay_alu instid0(VALU_DEP_1) | instskip(NEXT) | instid1(VALU_DEP_1)
	v_div_fmas_f64 v[51:52], v[51:52], v[53:54], v[91:92]
	v_div_fixup_f64 v[51:52], v[51:52], v[47:48], v[45:46]
	s_delay_alu instid0(VALU_DEP_1) | instskip(NEXT) | instid1(VALU_DEP_1)
	v_fma_f64 v[53:54], v[45:46], v[51:52], v[47:48]
	v_div_scale_f64 v[91:92], null, v[53:54], v[53:54], 1.0
	v_div_scale_f64 v[97:98], vcc_lo, 1.0, v[53:54], 1.0
	s_delay_alu instid0(VALU_DEP_2) | instskip(SKIP_2) | instid1(VALU_DEP_1)
	v_rcp_f64_e32 v[93:94], v[91:92]
	s_waitcnt_depctr 0xfff
	v_fma_f64 v[95:96], -v[91:92], v[93:94], 1.0
	v_fma_f64 v[93:94], v[93:94], v[95:96], v[93:94]
	s_delay_alu instid0(VALU_DEP_1) | instskip(NEXT) | instid1(VALU_DEP_1)
	v_fma_f64 v[95:96], -v[91:92], v[93:94], 1.0
	v_fma_f64 v[93:94], v[93:94], v[95:96], v[93:94]
	s_delay_alu instid0(VALU_DEP_1) | instskip(NEXT) | instid1(VALU_DEP_1)
	v_mul_f64 v[95:96], v[97:98], v[93:94]
	v_fma_f64 v[91:92], -v[91:92], v[95:96], v[97:98]
	s_delay_alu instid0(VALU_DEP_1) | instskip(SKIP_2) | instid1(VALU_DEP_3)
	v_div_fmas_f64 v[91:92], v[91:92], v[93:94], v[95:96]
	v_fma_f64 v[93:94], v[41:42], v[51:52], v[43:44]
	v_fma_f64 v[51:52], v[43:44], v[51:52], -v[41:42]
	v_div_fixup_f64 v[91:92], v[91:92], v[53:54], 1.0
	s_delay_alu instid0(VALU_DEP_1) | instskip(NEXT) | instid1(VALU_DEP_3)
	v_mul_f64 v[53:54], v[93:94], v[91:92]
	v_mul_f64 v[51:52], v[51:52], v[91:92]
.LBB117_29:                             ;   in Loop: Header=BB117_4 Depth=1
	s_or_b32 exec_lo, exec_lo, s7
	s_delay_alu instid0(VALU_DEP_1) | instskip(SKIP_1) | instid1(VALU_DEP_2)
	v_mul_f64 v[91:92], s[10:11], v[51:52]
	v_mul_f64 v[93:94], s[8:9], v[51:52]
	v_fma_f64 v[51:52], s[8:9], v[53:54], -v[91:92]
	s_delay_alu instid0(VALU_DEP_2)
	v_fma_f64 v[53:54], s[10:11], v[53:54], v[93:94]
	s_branch .LBB117_40
.LBB117_30:                             ;   in Loop: Header=BB117_4 Depth=1
                                        ; implicit-def: $vgpr53_vgpr54
                                        ; implicit-def: $vgpr51_vgpr52
	s_cbranch_execz .LBB117_40
; %bb.31:                               ;   in Loop: Header=BB117_4 Depth=1
                                        ; implicit-def: $vgpr53_vgpr54
                                        ; implicit-def: $vgpr51_vgpr52
	s_delay_alu instid0(VALU_DEP_1) | instskip(NEXT) | instid1(SALU_CYCLE_1)
	s_and_saveexec_b32 s7, s6
	s_xor_b32 s7, exec_lo, s7
	s_cbranch_execz .LBB117_37
; %bb.32:                               ;   in Loop: Header=BB117_4 Depth=1
	v_cmp_neq_f64_e32 vcc_lo, 0, v[45:46]
	v_cmp_neq_f64_e64 s6, 0, v[47:48]
                                        ; implicit-def: $vgpr53_vgpr54
                                        ; implicit-def: $vgpr51_vgpr52
	s_delay_alu instid0(VALU_DEP_1) | instskip(NEXT) | instid1(SALU_CYCLE_1)
	s_or_b32 s6, s6, vcc_lo
	s_and_saveexec_b32 s17, s6
	s_delay_alu instid0(SALU_CYCLE_1)
	s_xor_b32 s6, exec_lo, s17
	s_cbranch_execz .LBB117_34
; %bb.33:                               ;   in Loop: Header=BB117_4 Depth=1
	v_div_scale_f64 v[51:52], null, v[45:46], v[45:46], v[47:48]
	v_div_scale_f64 v[57:58], vcc_lo, v[47:48], v[45:46], v[47:48]
	s_delay_alu instid0(VALU_DEP_2) | instskip(SKIP_2) | instid1(VALU_DEP_1)
	v_rcp_f64_e32 v[53:54], v[51:52]
	s_waitcnt_depctr 0xfff
	v_fma_f64 v[55:56], -v[51:52], v[53:54], 1.0
	v_fma_f64 v[53:54], v[53:54], v[55:56], v[53:54]
	s_delay_alu instid0(VALU_DEP_1) | instskip(NEXT) | instid1(VALU_DEP_1)
	v_fma_f64 v[55:56], -v[51:52], v[53:54], 1.0
	v_fma_f64 v[53:54], v[53:54], v[55:56], v[53:54]
	s_delay_alu instid0(VALU_DEP_1) | instskip(NEXT) | instid1(VALU_DEP_1)
	v_mul_f64 v[55:56], v[57:58], v[53:54]
	v_fma_f64 v[51:52], -v[51:52], v[55:56], v[57:58]
	s_delay_alu instid0(VALU_DEP_1) | instskip(NEXT) | instid1(VALU_DEP_1)
	v_div_fmas_f64 v[51:52], v[51:52], v[53:54], v[55:56]
	v_div_fixup_f64 v[51:52], v[51:52], v[45:46], v[47:48]
	s_delay_alu instid0(VALU_DEP_1) | instskip(NEXT) | instid1(VALU_DEP_1)
	v_fma_f64 v[45:46], v[47:48], v[51:52], v[45:46]
	v_div_scale_f64 v[47:48], null, v[45:46], v[45:46], 1.0
	v_div_scale_f64 v[57:58], vcc_lo, 1.0, v[45:46], 1.0
	s_delay_alu instid0(VALU_DEP_2) | instskip(SKIP_2) | instid1(VALU_DEP_1)
	v_rcp_f64_e32 v[53:54], v[47:48]
	s_waitcnt_depctr 0xfff
	v_fma_f64 v[55:56], -v[47:48], v[53:54], 1.0
	v_fma_f64 v[53:54], v[53:54], v[55:56], v[53:54]
	s_delay_alu instid0(VALU_DEP_1) | instskip(NEXT) | instid1(VALU_DEP_1)
	v_fma_f64 v[55:56], -v[47:48], v[53:54], 1.0
	v_fma_f64 v[53:54], v[53:54], v[55:56], v[53:54]
	s_delay_alu instid0(VALU_DEP_1) | instskip(NEXT) | instid1(VALU_DEP_1)
	v_mul_f64 v[55:56], v[57:58], v[53:54]
	v_fma_f64 v[47:48], -v[47:48], v[55:56], v[57:58]
                                        ; implicit-def: $vgpr57_vgpr58
	s_delay_alu instid0(VALU_DEP_1) | instskip(SKIP_2) | instid1(VALU_DEP_3)
	v_div_fmas_f64 v[47:48], v[47:48], v[53:54], v[55:56]
	v_fma_f64 v[53:54], v[43:44], v[51:52], v[41:42]
	v_fma_f64 v[41:42], -v[41:42], v[51:52], v[43:44]
                                        ; implicit-def: $vgpr55_vgpr56
	v_div_fixup_f64 v[45:46], v[47:48], v[45:46], 1.0
	s_delay_alu instid0(VALU_DEP_1) | instskip(NEXT) | instid1(VALU_DEP_3)
	v_mul_f64 v[51:52], v[53:54], v[45:46]
	v_mul_f64 v[53:54], v[41:42], v[45:46]
                                        ; implicit-def: $vgpr41_vgpr42
.LBB117_34:                             ;   in Loop: Header=BB117_4 Depth=1
	s_and_not1_saveexec_b32 s17, s6
	s_cbranch_execz .LBB117_36
; %bb.35:                               ;   in Loop: Header=BB117_4 Depth=1
	v_div_scale_f64 v[45:46], null, v[55:56], v[55:56], v[41:42]
	v_div_scale_f64 v[47:48], null, v[57:58], v[57:58], v[43:44]
	v_div_scale_f64 v[95:96], vcc_lo, v[41:42], v[55:56], v[41:42]
	s_delay_alu instid0(VALU_DEP_3) | instskip(NEXT) | instid1(VALU_DEP_2)
	v_rcp_f64_e32 v[51:52], v[45:46]
	v_rcp_f64_e32 v[53:54], v[47:48]
	s_waitcnt_depctr 0xfff
	v_fma_f64 v[91:92], -v[45:46], v[51:52], 1.0
	v_fma_f64 v[93:94], -v[47:48], v[53:54], 1.0
	s_delay_alu instid0(VALU_DEP_2) | instskip(NEXT) | instid1(VALU_DEP_2)
	v_fma_f64 v[51:52], v[51:52], v[91:92], v[51:52]
	v_fma_f64 v[53:54], v[53:54], v[93:94], v[53:54]
	s_delay_alu instid0(VALU_DEP_2) | instskip(NEXT) | instid1(VALU_DEP_2)
	v_fma_f64 v[91:92], -v[45:46], v[51:52], 1.0
	v_fma_f64 v[93:94], -v[47:48], v[53:54], 1.0
	s_delay_alu instid0(VALU_DEP_2) | instskip(SKIP_1) | instid1(VALU_DEP_3)
	v_fma_f64 v[51:52], v[51:52], v[91:92], v[51:52]
	v_div_scale_f64 v[91:92], s6, v[43:44], v[57:58], v[43:44]
	v_fma_f64 v[53:54], v[53:54], v[93:94], v[53:54]
	s_delay_alu instid0(VALU_DEP_3) | instskip(NEXT) | instid1(VALU_DEP_2)
	v_mul_f64 v[93:94], v[95:96], v[51:52]
	v_mul_f64 v[97:98], v[91:92], v[53:54]
	s_delay_alu instid0(VALU_DEP_2) | instskip(NEXT) | instid1(VALU_DEP_2)
	v_fma_f64 v[45:46], -v[45:46], v[93:94], v[95:96]
	v_fma_f64 v[47:48], -v[47:48], v[97:98], v[91:92]
	s_delay_alu instid0(VALU_DEP_2) | instskip(SKIP_1) | instid1(VALU_DEP_2)
	v_div_fmas_f64 v[45:46], v[45:46], v[51:52], v[93:94]
	s_mov_b32 vcc_lo, s6
	v_div_fmas_f64 v[47:48], v[47:48], v[53:54], v[97:98]
	s_delay_alu instid0(VALU_DEP_2) | instskip(NEXT) | instid1(VALU_DEP_2)
	v_div_fixup_f64 v[51:52], v[45:46], v[55:56], v[41:42]
	v_div_fixup_f64 v[53:54], v[47:48], v[57:58], v[43:44]
.LBB117_36:                             ;   in Loop: Header=BB117_4 Depth=1
	s_or_b32 exec_lo, exec_lo, s17
                                        ; implicit-def: $vgpr47_vgpr48
                                        ; implicit-def: $vgpr41_vgpr42
.LBB117_37:                             ;   in Loop: Header=BB117_4 Depth=1
	s_and_not1_saveexec_b32 s6, s7
	s_cbranch_execz .LBB117_39
; %bb.38:                               ;   in Loop: Header=BB117_4 Depth=1
	v_div_scale_f64 v[51:52], null, v[47:48], v[47:48], v[45:46]
	v_div_scale_f64 v[57:58], vcc_lo, v[45:46], v[47:48], v[45:46]
	s_delay_alu instid0(VALU_DEP_2) | instskip(SKIP_2) | instid1(VALU_DEP_1)
	v_rcp_f64_e32 v[53:54], v[51:52]
	s_waitcnt_depctr 0xfff
	v_fma_f64 v[55:56], -v[51:52], v[53:54], 1.0
	v_fma_f64 v[53:54], v[53:54], v[55:56], v[53:54]
	s_delay_alu instid0(VALU_DEP_1) | instskip(NEXT) | instid1(VALU_DEP_1)
	v_fma_f64 v[55:56], -v[51:52], v[53:54], 1.0
	v_fma_f64 v[53:54], v[53:54], v[55:56], v[53:54]
	s_delay_alu instid0(VALU_DEP_1) | instskip(NEXT) | instid1(VALU_DEP_1)
	v_mul_f64 v[55:56], v[57:58], v[53:54]
	v_fma_f64 v[51:52], -v[51:52], v[55:56], v[57:58]
	s_delay_alu instid0(VALU_DEP_1) | instskip(NEXT) | instid1(VALU_DEP_1)
	v_div_fmas_f64 v[51:52], v[51:52], v[53:54], v[55:56]
	v_div_fixup_f64 v[51:52], v[51:52], v[47:48], v[45:46]
	s_delay_alu instid0(VALU_DEP_1) | instskip(NEXT) | instid1(VALU_DEP_1)
	v_fma_f64 v[45:46], v[45:46], v[51:52], v[47:48]
	v_div_scale_f64 v[47:48], null, v[45:46], v[45:46], 1.0
	v_div_scale_f64 v[57:58], vcc_lo, 1.0, v[45:46], 1.0
	s_delay_alu instid0(VALU_DEP_2) | instskip(SKIP_2) | instid1(VALU_DEP_1)
	v_rcp_f64_e32 v[53:54], v[47:48]
	s_waitcnt_depctr 0xfff
	v_fma_f64 v[55:56], -v[47:48], v[53:54], 1.0
	v_fma_f64 v[53:54], v[53:54], v[55:56], v[53:54]
	s_delay_alu instid0(VALU_DEP_1) | instskip(NEXT) | instid1(VALU_DEP_1)
	v_fma_f64 v[55:56], -v[47:48], v[53:54], 1.0
	v_fma_f64 v[53:54], v[53:54], v[55:56], v[53:54]
	s_delay_alu instid0(VALU_DEP_1) | instskip(NEXT) | instid1(VALU_DEP_1)
	v_mul_f64 v[55:56], v[57:58], v[53:54]
	v_fma_f64 v[47:48], -v[47:48], v[55:56], v[57:58]
	s_delay_alu instid0(VALU_DEP_1) | instskip(SKIP_2) | instid1(VALU_DEP_3)
	v_div_fmas_f64 v[47:48], v[47:48], v[53:54], v[55:56]
	v_fma_f64 v[53:54], v[41:42], v[51:52], v[43:44]
	v_fma_f64 v[41:42], v[43:44], v[51:52], -v[41:42]
	v_div_fixup_f64 v[45:46], v[47:48], v[45:46], 1.0
	s_delay_alu instid0(VALU_DEP_1) | instskip(NEXT) | instid1(VALU_DEP_3)
	v_mul_f64 v[51:52], v[53:54], v[45:46]
	v_mul_f64 v[53:54], v[41:42], v[45:46]
.LBB117_39:                             ;   in Loop: Header=BB117_4 Depth=1
	s_or_b32 exec_lo, exec_lo, s6
.LBB117_40:                             ;   in Loop: Header=BB117_4 Depth=1
	v_cmp_gt_f64_e32 vcc_lo, 0, v[37:38]
	v_cmp_gt_f64_e64 s6, 0, v[39:40]
	v_xor_b32_e32 v41, 0x80000000, v38
	v_xor_b32_e32 v42, 0x80000000, v40
	s_delay_alu instid0(VALU_DEP_2) | instskip(NEXT) | instid1(VALU_DEP_2)
	v_cndmask_b32_e32 v46, v38, v41, vcc_lo
	v_cndmask_b32_e64 v48, v40, v42, s6
	v_cndmask_b32_e32 v45, v37, v37, vcc_lo
	v_cndmask_b32_e64 v47, v39, v39, s6
	s_and_not1_b32 vcc_lo, exec_lo, s34
	s_delay_alu instid0(VALU_DEP_1)
	v_cmp_ge_f64_e64 s6, v[45:46], v[47:48]
	s_cbranch_vccnz .LBB117_50
; %bb.41:                               ;   in Loop: Header=BB117_4 Depth=1
                                        ; implicit-def: $vgpr41_vgpr42
                                        ; implicit-def: $vgpr43_vgpr44
	s_delay_alu instid0(VALU_DEP_1) | instskip(NEXT) | instid1(SALU_CYCLE_1)
	s_and_saveexec_b32 s7, s6
	s_xor_b32 s17, exec_lo, s7
	s_cbranch_execz .LBB117_47
; %bb.42:                               ;   in Loop: Header=BB117_4 Depth=1
	v_cmp_neq_f64_e32 vcc_lo, 0, v[37:38]
	v_cmp_neq_f64_e64 s7, 0, v[39:40]
                                        ; implicit-def: $vgpr41_vgpr42
                                        ; implicit-def: $vgpr43_vgpr44
	s_delay_alu instid0(VALU_DEP_1) | instskip(NEXT) | instid1(SALU_CYCLE_1)
	s_or_b32 s7, s7, vcc_lo
	s_and_saveexec_b32 s36, s7
	s_delay_alu instid0(SALU_CYCLE_1)
	s_xor_b32 s7, exec_lo, s36
	s_cbranch_execz .LBB117_44
; %bb.43:                               ;   in Loop: Header=BB117_4 Depth=1
	v_div_scale_f64 v[41:42], null, v[37:38], v[37:38], v[39:40]
	v_div_scale_f64 v[57:58], vcc_lo, v[39:40], v[37:38], v[39:40]
	s_delay_alu instid0(VALU_DEP_2) | instskip(SKIP_2) | instid1(VALU_DEP_1)
	v_rcp_f64_e32 v[43:44], v[41:42]
	s_waitcnt_depctr 0xfff
	v_fma_f64 v[55:56], -v[41:42], v[43:44], 1.0
	v_fma_f64 v[43:44], v[43:44], v[55:56], v[43:44]
	s_delay_alu instid0(VALU_DEP_1) | instskip(NEXT) | instid1(VALU_DEP_1)
	v_fma_f64 v[55:56], -v[41:42], v[43:44], 1.0
	v_fma_f64 v[43:44], v[43:44], v[55:56], v[43:44]
	s_delay_alu instid0(VALU_DEP_1) | instskip(NEXT) | instid1(VALU_DEP_1)
	v_mul_f64 v[55:56], v[57:58], v[43:44]
	v_fma_f64 v[41:42], -v[41:42], v[55:56], v[57:58]
	s_delay_alu instid0(VALU_DEP_1) | instskip(NEXT) | instid1(VALU_DEP_1)
	v_div_fmas_f64 v[41:42], v[41:42], v[43:44], v[55:56]
	v_div_fixup_f64 v[41:42], v[41:42], v[37:38], v[39:40]
	s_delay_alu instid0(VALU_DEP_1) | instskip(NEXT) | instid1(VALU_DEP_1)
	v_fma_f64 v[43:44], v[39:40], v[41:42], v[37:38]
	v_div_scale_f64 v[55:56], null, v[43:44], v[43:44], 1.0
	v_div_scale_f64 v[93:94], vcc_lo, 1.0, v[43:44], 1.0
	s_delay_alu instid0(VALU_DEP_2) | instskip(SKIP_2) | instid1(VALU_DEP_1)
	v_rcp_f64_e32 v[57:58], v[55:56]
	s_waitcnt_depctr 0xfff
	v_fma_f64 v[91:92], -v[55:56], v[57:58], 1.0
	v_fma_f64 v[57:58], v[57:58], v[91:92], v[57:58]
	s_delay_alu instid0(VALU_DEP_1) | instskip(NEXT) | instid1(VALU_DEP_1)
	v_fma_f64 v[91:92], -v[55:56], v[57:58], 1.0
	v_fma_f64 v[57:58], v[57:58], v[91:92], v[57:58]
	s_delay_alu instid0(VALU_DEP_1) | instskip(NEXT) | instid1(VALU_DEP_1)
	v_mul_f64 v[91:92], v[93:94], v[57:58]
	v_fma_f64 v[55:56], -v[55:56], v[91:92], v[93:94]
	s_delay_alu instid0(VALU_DEP_1) | instskip(SKIP_2) | instid1(VALU_DEP_3)
	v_div_fmas_f64 v[55:56], v[55:56], v[57:58], v[91:92]
	v_fma_f64 v[57:58], v[35:36], v[41:42], v[33:34]
	v_fma_f64 v[41:42], -v[33:34], v[41:42], v[35:36]
	v_div_fixup_f64 v[55:56], v[55:56], v[43:44], 1.0
	s_delay_alu instid0(VALU_DEP_1) | instskip(NEXT) | instid1(VALU_DEP_3)
	v_mul_f64 v[43:44], v[57:58], v[55:56]
	v_mul_f64 v[41:42], v[41:42], v[55:56]
.LBB117_44:                             ;   in Loop: Header=BB117_4 Depth=1
	s_and_not1_saveexec_b32 s36, s7
	s_cbranch_execz .LBB117_46
; %bb.45:                               ;   in Loop: Header=BB117_4 Depth=1
	v_div_scale_f64 v[41:42], null, v[45:46], v[45:46], v[33:34]
	v_div_scale_f64 v[43:44], null, v[47:48], v[47:48], v[35:36]
	v_div_scale_f64 v[95:96], vcc_lo, v[33:34], v[45:46], v[33:34]
	s_delay_alu instid0(VALU_DEP_3) | instskip(NEXT) | instid1(VALU_DEP_2)
	v_rcp_f64_e32 v[55:56], v[41:42]
	v_rcp_f64_e32 v[57:58], v[43:44]
	s_waitcnt_depctr 0xfff
	v_fma_f64 v[91:92], -v[41:42], v[55:56], 1.0
	v_fma_f64 v[93:94], -v[43:44], v[57:58], 1.0
	s_delay_alu instid0(VALU_DEP_2) | instskip(NEXT) | instid1(VALU_DEP_2)
	v_fma_f64 v[55:56], v[55:56], v[91:92], v[55:56]
	v_fma_f64 v[57:58], v[57:58], v[93:94], v[57:58]
	s_delay_alu instid0(VALU_DEP_2) | instskip(NEXT) | instid1(VALU_DEP_2)
	v_fma_f64 v[91:92], -v[41:42], v[55:56], 1.0
	v_fma_f64 v[93:94], -v[43:44], v[57:58], 1.0
	s_delay_alu instid0(VALU_DEP_2) | instskip(SKIP_1) | instid1(VALU_DEP_3)
	v_fma_f64 v[55:56], v[55:56], v[91:92], v[55:56]
	v_div_scale_f64 v[91:92], s7, v[35:36], v[47:48], v[35:36]
	v_fma_f64 v[57:58], v[57:58], v[93:94], v[57:58]
	s_delay_alu instid0(VALU_DEP_3) | instskip(NEXT) | instid1(VALU_DEP_2)
	v_mul_f64 v[93:94], v[95:96], v[55:56]
	v_mul_f64 v[97:98], v[91:92], v[57:58]
	s_delay_alu instid0(VALU_DEP_2) | instskip(NEXT) | instid1(VALU_DEP_2)
	v_fma_f64 v[41:42], -v[41:42], v[93:94], v[95:96]
	v_fma_f64 v[43:44], -v[43:44], v[97:98], v[91:92]
	s_delay_alu instid0(VALU_DEP_2) | instskip(SKIP_1) | instid1(VALU_DEP_2)
	v_div_fmas_f64 v[41:42], v[41:42], v[55:56], v[93:94]
	s_mov_b32 vcc_lo, s7
	v_div_fmas_f64 v[55:56], v[43:44], v[57:58], v[97:98]
	s_delay_alu instid0(VALU_DEP_2) | instskip(NEXT) | instid1(VALU_DEP_2)
	v_div_fixup_f64 v[43:44], v[41:42], v[45:46], v[33:34]
	v_div_fixup_f64 v[41:42], v[55:56], v[47:48], v[35:36]
.LBB117_46:                             ;   in Loop: Header=BB117_4 Depth=1
	s_or_b32 exec_lo, exec_lo, s36
.LBB117_47:                             ;   in Loop: Header=BB117_4 Depth=1
	s_and_not1_saveexec_b32 s7, s17
	s_cbranch_execz .LBB117_49
; %bb.48:                               ;   in Loop: Header=BB117_4 Depth=1
	v_div_scale_f64 v[41:42], null, v[39:40], v[39:40], v[37:38]
	v_div_scale_f64 v[57:58], vcc_lo, v[37:38], v[39:40], v[37:38]
	s_delay_alu instid0(VALU_DEP_2) | instskip(SKIP_2) | instid1(VALU_DEP_1)
	v_rcp_f64_e32 v[43:44], v[41:42]
	s_waitcnt_depctr 0xfff
	v_fma_f64 v[55:56], -v[41:42], v[43:44], 1.0
	v_fma_f64 v[43:44], v[43:44], v[55:56], v[43:44]
	s_delay_alu instid0(VALU_DEP_1) | instskip(NEXT) | instid1(VALU_DEP_1)
	v_fma_f64 v[55:56], -v[41:42], v[43:44], 1.0
	v_fma_f64 v[43:44], v[43:44], v[55:56], v[43:44]
	s_delay_alu instid0(VALU_DEP_1) | instskip(NEXT) | instid1(VALU_DEP_1)
	v_mul_f64 v[55:56], v[57:58], v[43:44]
	v_fma_f64 v[41:42], -v[41:42], v[55:56], v[57:58]
	s_delay_alu instid0(VALU_DEP_1) | instskip(NEXT) | instid1(VALU_DEP_1)
	v_div_fmas_f64 v[41:42], v[41:42], v[43:44], v[55:56]
	v_div_fixup_f64 v[41:42], v[41:42], v[39:40], v[37:38]
	s_delay_alu instid0(VALU_DEP_1) | instskip(NEXT) | instid1(VALU_DEP_1)
	v_fma_f64 v[43:44], v[37:38], v[41:42], v[39:40]
	v_div_scale_f64 v[55:56], null, v[43:44], v[43:44], 1.0
	v_div_scale_f64 v[93:94], vcc_lo, 1.0, v[43:44], 1.0
	s_delay_alu instid0(VALU_DEP_2) | instskip(SKIP_2) | instid1(VALU_DEP_1)
	v_rcp_f64_e32 v[57:58], v[55:56]
	s_waitcnt_depctr 0xfff
	v_fma_f64 v[91:92], -v[55:56], v[57:58], 1.0
	v_fma_f64 v[57:58], v[57:58], v[91:92], v[57:58]
	s_delay_alu instid0(VALU_DEP_1) | instskip(NEXT) | instid1(VALU_DEP_1)
	v_fma_f64 v[91:92], -v[55:56], v[57:58], 1.0
	v_fma_f64 v[57:58], v[57:58], v[91:92], v[57:58]
	s_delay_alu instid0(VALU_DEP_1) | instskip(NEXT) | instid1(VALU_DEP_1)
	v_mul_f64 v[91:92], v[93:94], v[57:58]
	v_fma_f64 v[55:56], -v[55:56], v[91:92], v[93:94]
	s_delay_alu instid0(VALU_DEP_1) | instskip(SKIP_2) | instid1(VALU_DEP_3)
	v_div_fmas_f64 v[55:56], v[55:56], v[57:58], v[91:92]
	v_fma_f64 v[57:58], v[33:34], v[41:42], v[35:36]
	v_fma_f64 v[41:42], v[35:36], v[41:42], -v[33:34]
	v_div_fixup_f64 v[55:56], v[55:56], v[43:44], 1.0
	s_delay_alu instid0(VALU_DEP_1) | instskip(NEXT) | instid1(VALU_DEP_3)
	v_mul_f64 v[43:44], v[57:58], v[55:56]
	v_mul_f64 v[41:42], v[41:42], v[55:56]
.LBB117_49:                             ;   in Loop: Header=BB117_4 Depth=1
	s_or_b32 exec_lo, exec_lo, s7
	s_delay_alu instid0(VALU_DEP_1) | instskip(SKIP_1) | instid1(VALU_DEP_2)
	v_mul_f64 v[55:56], s[10:11], v[41:42]
	v_mul_f64 v[57:58], s[8:9], v[41:42]
	v_fma_f64 v[41:42], s[8:9], v[43:44], -v[55:56]
	s_delay_alu instid0(VALU_DEP_2)
	v_fma_f64 v[43:44], s[10:11], v[43:44], v[57:58]
	s_branch .LBB117_60
.LBB117_50:                             ;   in Loop: Header=BB117_4 Depth=1
                                        ; implicit-def: $vgpr43_vgpr44
                                        ; implicit-def: $vgpr41_vgpr42
	s_cbranch_execz .LBB117_60
; %bb.51:                               ;   in Loop: Header=BB117_4 Depth=1
                                        ; implicit-def: $vgpr43_vgpr44
                                        ; implicit-def: $vgpr41_vgpr42
	s_delay_alu instid0(VALU_DEP_1) | instskip(NEXT) | instid1(SALU_CYCLE_1)
	s_and_saveexec_b32 s7, s6
	s_xor_b32 s7, exec_lo, s7
	s_cbranch_execz .LBB117_57
; %bb.52:                               ;   in Loop: Header=BB117_4 Depth=1
	v_cmp_neq_f64_e32 vcc_lo, 0, v[37:38]
	v_cmp_neq_f64_e64 s6, 0, v[39:40]
                                        ; implicit-def: $vgpr43_vgpr44
                                        ; implicit-def: $vgpr41_vgpr42
	s_delay_alu instid0(VALU_DEP_1) | instskip(NEXT) | instid1(SALU_CYCLE_1)
	s_or_b32 s6, s6, vcc_lo
	s_and_saveexec_b32 s17, s6
	s_delay_alu instid0(SALU_CYCLE_1)
	s_xor_b32 s6, exec_lo, s17
	s_cbranch_execz .LBB117_54
; %bb.53:                               ;   in Loop: Header=BB117_4 Depth=1
	v_div_scale_f64 v[41:42], null, v[37:38], v[37:38], v[39:40]
	v_div_scale_f64 v[47:48], vcc_lo, v[39:40], v[37:38], v[39:40]
	s_delay_alu instid0(VALU_DEP_2) | instskip(SKIP_2) | instid1(VALU_DEP_1)
	v_rcp_f64_e32 v[43:44], v[41:42]
	s_waitcnt_depctr 0xfff
	v_fma_f64 v[45:46], -v[41:42], v[43:44], 1.0
	v_fma_f64 v[43:44], v[43:44], v[45:46], v[43:44]
	s_delay_alu instid0(VALU_DEP_1) | instskip(NEXT) | instid1(VALU_DEP_1)
	v_fma_f64 v[45:46], -v[41:42], v[43:44], 1.0
	v_fma_f64 v[43:44], v[43:44], v[45:46], v[43:44]
	s_delay_alu instid0(VALU_DEP_1) | instskip(NEXT) | instid1(VALU_DEP_1)
	v_mul_f64 v[45:46], v[47:48], v[43:44]
	v_fma_f64 v[41:42], -v[41:42], v[45:46], v[47:48]
	s_delay_alu instid0(VALU_DEP_1) | instskip(NEXT) | instid1(VALU_DEP_1)
	v_div_fmas_f64 v[41:42], v[41:42], v[43:44], v[45:46]
	v_div_fixup_f64 v[41:42], v[41:42], v[37:38], v[39:40]
	s_delay_alu instid0(VALU_DEP_1) | instskip(NEXT) | instid1(VALU_DEP_1)
	v_fma_f64 v[37:38], v[39:40], v[41:42], v[37:38]
	v_div_scale_f64 v[39:40], null, v[37:38], v[37:38], 1.0
	v_div_scale_f64 v[47:48], vcc_lo, 1.0, v[37:38], 1.0
	s_delay_alu instid0(VALU_DEP_2) | instskip(SKIP_2) | instid1(VALU_DEP_1)
	v_rcp_f64_e32 v[43:44], v[39:40]
	s_waitcnt_depctr 0xfff
	v_fma_f64 v[45:46], -v[39:40], v[43:44], 1.0
	v_fma_f64 v[43:44], v[43:44], v[45:46], v[43:44]
	s_delay_alu instid0(VALU_DEP_1) | instskip(NEXT) | instid1(VALU_DEP_1)
	v_fma_f64 v[45:46], -v[39:40], v[43:44], 1.0
	v_fma_f64 v[43:44], v[43:44], v[45:46], v[43:44]
	s_delay_alu instid0(VALU_DEP_1) | instskip(NEXT) | instid1(VALU_DEP_1)
	v_mul_f64 v[45:46], v[47:48], v[43:44]
	v_fma_f64 v[39:40], -v[39:40], v[45:46], v[47:48]
                                        ; implicit-def: $vgpr47_vgpr48
	s_delay_alu instid0(VALU_DEP_1) | instskip(SKIP_2) | instid1(VALU_DEP_3)
	v_div_fmas_f64 v[39:40], v[39:40], v[43:44], v[45:46]
	v_fma_f64 v[43:44], v[35:36], v[41:42], v[33:34]
	v_fma_f64 v[33:34], -v[33:34], v[41:42], v[35:36]
                                        ; implicit-def: $vgpr45_vgpr46
	v_div_fixup_f64 v[37:38], v[39:40], v[37:38], 1.0
	s_delay_alu instid0(VALU_DEP_1) | instskip(NEXT) | instid1(VALU_DEP_3)
	v_mul_f64 v[41:42], v[43:44], v[37:38]
	v_mul_f64 v[43:44], v[33:34], v[37:38]
                                        ; implicit-def: $vgpr33_vgpr34
.LBB117_54:                             ;   in Loop: Header=BB117_4 Depth=1
	s_and_not1_saveexec_b32 s17, s6
	s_cbranch_execz .LBB117_56
; %bb.55:                               ;   in Loop: Header=BB117_4 Depth=1
	v_div_scale_f64 v[37:38], null, v[45:46], v[45:46], v[33:34]
	v_div_scale_f64 v[39:40], null, v[47:48], v[47:48], v[35:36]
	v_div_scale_f64 v[91:92], vcc_lo, v[33:34], v[45:46], v[33:34]
	s_delay_alu instid0(VALU_DEP_3) | instskip(NEXT) | instid1(VALU_DEP_2)
	v_rcp_f64_e32 v[41:42], v[37:38]
	v_rcp_f64_e32 v[43:44], v[39:40]
	s_waitcnt_depctr 0xfff
	v_fma_f64 v[55:56], -v[37:38], v[41:42], 1.0
	v_fma_f64 v[57:58], -v[39:40], v[43:44], 1.0
	s_delay_alu instid0(VALU_DEP_2) | instskip(NEXT) | instid1(VALU_DEP_2)
	v_fma_f64 v[41:42], v[41:42], v[55:56], v[41:42]
	v_fma_f64 v[43:44], v[43:44], v[57:58], v[43:44]
	s_delay_alu instid0(VALU_DEP_2) | instskip(NEXT) | instid1(VALU_DEP_2)
	v_fma_f64 v[55:56], -v[37:38], v[41:42], 1.0
	v_fma_f64 v[57:58], -v[39:40], v[43:44], 1.0
	s_delay_alu instid0(VALU_DEP_2) | instskip(SKIP_1) | instid1(VALU_DEP_3)
	v_fma_f64 v[41:42], v[41:42], v[55:56], v[41:42]
	v_div_scale_f64 v[55:56], s6, v[35:36], v[47:48], v[35:36]
	v_fma_f64 v[43:44], v[43:44], v[57:58], v[43:44]
	s_delay_alu instid0(VALU_DEP_3) | instskip(NEXT) | instid1(VALU_DEP_2)
	v_mul_f64 v[57:58], v[91:92], v[41:42]
	v_mul_f64 v[93:94], v[55:56], v[43:44]
	s_delay_alu instid0(VALU_DEP_2) | instskip(NEXT) | instid1(VALU_DEP_2)
	v_fma_f64 v[37:38], -v[37:38], v[57:58], v[91:92]
	v_fma_f64 v[39:40], -v[39:40], v[93:94], v[55:56]
	s_delay_alu instid0(VALU_DEP_2) | instskip(SKIP_1) | instid1(VALU_DEP_2)
	v_div_fmas_f64 v[37:38], v[37:38], v[41:42], v[57:58]
	s_mov_b32 vcc_lo, s6
	v_div_fmas_f64 v[39:40], v[39:40], v[43:44], v[93:94]
	s_delay_alu instid0(VALU_DEP_2) | instskip(NEXT) | instid1(VALU_DEP_2)
	v_div_fixup_f64 v[41:42], v[37:38], v[45:46], v[33:34]
	v_div_fixup_f64 v[43:44], v[39:40], v[47:48], v[35:36]
.LBB117_56:                             ;   in Loop: Header=BB117_4 Depth=1
	s_or_b32 exec_lo, exec_lo, s17
                                        ; implicit-def: $vgpr39_vgpr40
                                        ; implicit-def: $vgpr33_vgpr34
.LBB117_57:                             ;   in Loop: Header=BB117_4 Depth=1
	s_and_not1_saveexec_b32 s6, s7
	s_cbranch_execz .LBB117_59
; %bb.58:                               ;   in Loop: Header=BB117_4 Depth=1
	v_div_scale_f64 v[41:42], null, v[39:40], v[39:40], v[37:38]
	v_div_scale_f64 v[47:48], vcc_lo, v[37:38], v[39:40], v[37:38]
	s_delay_alu instid0(VALU_DEP_2) | instskip(SKIP_2) | instid1(VALU_DEP_1)
	v_rcp_f64_e32 v[43:44], v[41:42]
	s_waitcnt_depctr 0xfff
	v_fma_f64 v[45:46], -v[41:42], v[43:44], 1.0
	v_fma_f64 v[43:44], v[43:44], v[45:46], v[43:44]
	s_delay_alu instid0(VALU_DEP_1) | instskip(NEXT) | instid1(VALU_DEP_1)
	v_fma_f64 v[45:46], -v[41:42], v[43:44], 1.0
	v_fma_f64 v[43:44], v[43:44], v[45:46], v[43:44]
	s_delay_alu instid0(VALU_DEP_1) | instskip(NEXT) | instid1(VALU_DEP_1)
	v_mul_f64 v[45:46], v[47:48], v[43:44]
	v_fma_f64 v[41:42], -v[41:42], v[45:46], v[47:48]
	s_delay_alu instid0(VALU_DEP_1) | instskip(NEXT) | instid1(VALU_DEP_1)
	v_div_fmas_f64 v[41:42], v[41:42], v[43:44], v[45:46]
	v_div_fixup_f64 v[41:42], v[41:42], v[39:40], v[37:38]
	s_delay_alu instid0(VALU_DEP_1) | instskip(NEXT) | instid1(VALU_DEP_1)
	v_fma_f64 v[37:38], v[37:38], v[41:42], v[39:40]
	v_div_scale_f64 v[39:40], null, v[37:38], v[37:38], 1.0
	v_div_scale_f64 v[47:48], vcc_lo, 1.0, v[37:38], 1.0
	s_delay_alu instid0(VALU_DEP_2) | instskip(SKIP_2) | instid1(VALU_DEP_1)
	v_rcp_f64_e32 v[43:44], v[39:40]
	s_waitcnt_depctr 0xfff
	v_fma_f64 v[45:46], -v[39:40], v[43:44], 1.0
	v_fma_f64 v[43:44], v[43:44], v[45:46], v[43:44]
	s_delay_alu instid0(VALU_DEP_1) | instskip(NEXT) | instid1(VALU_DEP_1)
	v_fma_f64 v[45:46], -v[39:40], v[43:44], 1.0
	v_fma_f64 v[43:44], v[43:44], v[45:46], v[43:44]
	s_delay_alu instid0(VALU_DEP_1) | instskip(NEXT) | instid1(VALU_DEP_1)
	v_mul_f64 v[45:46], v[47:48], v[43:44]
	v_fma_f64 v[39:40], -v[39:40], v[45:46], v[47:48]
	s_delay_alu instid0(VALU_DEP_1) | instskip(SKIP_2) | instid1(VALU_DEP_3)
	v_div_fmas_f64 v[39:40], v[39:40], v[43:44], v[45:46]
	v_fma_f64 v[43:44], v[33:34], v[41:42], v[35:36]
	v_fma_f64 v[33:34], v[35:36], v[41:42], -v[33:34]
	v_div_fixup_f64 v[37:38], v[39:40], v[37:38], 1.0
	s_delay_alu instid0(VALU_DEP_1) | instskip(NEXT) | instid1(VALU_DEP_3)
	v_mul_f64 v[41:42], v[43:44], v[37:38]
	v_mul_f64 v[43:44], v[33:34], v[37:38]
.LBB117_59:                             ;   in Loop: Header=BB117_4 Depth=1
	s_or_b32 exec_lo, exec_lo, s6
.LBB117_60:                             ;   in Loop: Header=BB117_4 Depth=1
	v_cmp_gt_f64_e32 vcc_lo, 0, v[29:30]
	v_cmp_gt_f64_e64 s6, 0, v[31:32]
	v_xor_b32_e32 v33, 0x80000000, v30
	v_xor_b32_e32 v34, 0x80000000, v32
	s_delay_alu instid0(VALU_DEP_2) | instskip(NEXT) | instid1(VALU_DEP_2)
	v_cndmask_b32_e32 v38, v30, v33, vcc_lo
	v_cndmask_b32_e64 v40, v32, v34, s6
	v_cndmask_b32_e32 v37, v29, v29, vcc_lo
	v_cndmask_b32_e64 v39, v31, v31, s6
	s_and_not1_b32 vcc_lo, exec_lo, s34
	s_delay_alu instid0(VALU_DEP_1)
	v_cmp_ge_f64_e64 s6, v[37:38], v[39:40]
	s_cbranch_vccnz .LBB117_70
; %bb.61:                               ;   in Loop: Header=BB117_4 Depth=1
                                        ; implicit-def: $vgpr33_vgpr34
                                        ; implicit-def: $vgpr35_vgpr36
	s_delay_alu instid0(VALU_DEP_1) | instskip(NEXT) | instid1(SALU_CYCLE_1)
	s_and_saveexec_b32 s7, s6
	s_xor_b32 s17, exec_lo, s7
	s_cbranch_execz .LBB117_67
; %bb.62:                               ;   in Loop: Header=BB117_4 Depth=1
	v_cmp_neq_f64_e32 vcc_lo, 0, v[29:30]
	v_cmp_neq_f64_e64 s7, 0, v[31:32]
                                        ; implicit-def: $vgpr33_vgpr34
                                        ; implicit-def: $vgpr35_vgpr36
	s_delay_alu instid0(VALU_DEP_1) | instskip(NEXT) | instid1(SALU_CYCLE_1)
	s_or_b32 s7, s7, vcc_lo
	s_and_saveexec_b32 s36, s7
	s_delay_alu instid0(SALU_CYCLE_1)
	s_xor_b32 s7, exec_lo, s36
	s_cbranch_execz .LBB117_64
; %bb.63:                               ;   in Loop: Header=BB117_4 Depth=1
	v_div_scale_f64 v[33:34], null, v[29:30], v[29:30], v[31:32]
	v_div_scale_f64 v[47:48], vcc_lo, v[31:32], v[29:30], v[31:32]
	s_delay_alu instid0(VALU_DEP_2) | instskip(SKIP_2) | instid1(VALU_DEP_1)
	v_rcp_f64_e32 v[35:36], v[33:34]
	s_waitcnt_depctr 0xfff
	v_fma_f64 v[45:46], -v[33:34], v[35:36], 1.0
	v_fma_f64 v[35:36], v[35:36], v[45:46], v[35:36]
	s_delay_alu instid0(VALU_DEP_1) | instskip(NEXT) | instid1(VALU_DEP_1)
	v_fma_f64 v[45:46], -v[33:34], v[35:36], 1.0
	v_fma_f64 v[35:36], v[35:36], v[45:46], v[35:36]
	s_delay_alu instid0(VALU_DEP_1) | instskip(NEXT) | instid1(VALU_DEP_1)
	v_mul_f64 v[45:46], v[47:48], v[35:36]
	v_fma_f64 v[33:34], -v[33:34], v[45:46], v[47:48]
	s_delay_alu instid0(VALU_DEP_1) | instskip(NEXT) | instid1(VALU_DEP_1)
	v_div_fmas_f64 v[33:34], v[33:34], v[35:36], v[45:46]
	v_div_fixup_f64 v[33:34], v[33:34], v[29:30], v[31:32]
	s_delay_alu instid0(VALU_DEP_1) | instskip(NEXT) | instid1(VALU_DEP_1)
	v_fma_f64 v[35:36], v[31:32], v[33:34], v[29:30]
	v_div_scale_f64 v[45:46], null, v[35:36], v[35:36], 1.0
	v_div_scale_f64 v[57:58], vcc_lo, 1.0, v[35:36], 1.0
	s_delay_alu instid0(VALU_DEP_2) | instskip(SKIP_2) | instid1(VALU_DEP_1)
	v_rcp_f64_e32 v[47:48], v[45:46]
	s_waitcnt_depctr 0xfff
	v_fma_f64 v[55:56], -v[45:46], v[47:48], 1.0
	v_fma_f64 v[47:48], v[47:48], v[55:56], v[47:48]
	s_delay_alu instid0(VALU_DEP_1) | instskip(NEXT) | instid1(VALU_DEP_1)
	v_fma_f64 v[55:56], -v[45:46], v[47:48], 1.0
	v_fma_f64 v[47:48], v[47:48], v[55:56], v[47:48]
	s_delay_alu instid0(VALU_DEP_1) | instskip(NEXT) | instid1(VALU_DEP_1)
	v_mul_f64 v[55:56], v[57:58], v[47:48]
	v_fma_f64 v[45:46], -v[45:46], v[55:56], v[57:58]
	s_delay_alu instid0(VALU_DEP_1) | instskip(SKIP_2) | instid1(VALU_DEP_3)
	v_div_fmas_f64 v[45:46], v[45:46], v[47:48], v[55:56]
	v_fma_f64 v[47:48], v[27:28], v[33:34], v[25:26]
	v_fma_f64 v[33:34], -v[25:26], v[33:34], v[27:28]
	v_div_fixup_f64 v[45:46], v[45:46], v[35:36], 1.0
	s_delay_alu instid0(VALU_DEP_1) | instskip(NEXT) | instid1(VALU_DEP_3)
	v_mul_f64 v[35:36], v[47:48], v[45:46]
	v_mul_f64 v[33:34], v[33:34], v[45:46]
.LBB117_64:                             ;   in Loop: Header=BB117_4 Depth=1
	s_and_not1_saveexec_b32 s36, s7
	s_cbranch_execz .LBB117_66
; %bb.65:                               ;   in Loop: Header=BB117_4 Depth=1
	v_div_scale_f64 v[33:34], null, v[37:38], v[37:38], v[25:26]
	v_div_scale_f64 v[35:36], null, v[39:40], v[39:40], v[27:28]
	v_div_scale_f64 v[91:92], vcc_lo, v[25:26], v[37:38], v[25:26]
	s_delay_alu instid0(VALU_DEP_3) | instskip(NEXT) | instid1(VALU_DEP_2)
	v_rcp_f64_e32 v[45:46], v[33:34]
	v_rcp_f64_e32 v[47:48], v[35:36]
	s_waitcnt_depctr 0xfff
	v_fma_f64 v[55:56], -v[33:34], v[45:46], 1.0
	v_fma_f64 v[57:58], -v[35:36], v[47:48], 1.0
	s_delay_alu instid0(VALU_DEP_2) | instskip(NEXT) | instid1(VALU_DEP_2)
	v_fma_f64 v[45:46], v[45:46], v[55:56], v[45:46]
	v_fma_f64 v[47:48], v[47:48], v[57:58], v[47:48]
	s_delay_alu instid0(VALU_DEP_2) | instskip(NEXT) | instid1(VALU_DEP_2)
	v_fma_f64 v[55:56], -v[33:34], v[45:46], 1.0
	v_fma_f64 v[57:58], -v[35:36], v[47:48], 1.0
	s_delay_alu instid0(VALU_DEP_2) | instskip(SKIP_1) | instid1(VALU_DEP_3)
	v_fma_f64 v[45:46], v[45:46], v[55:56], v[45:46]
	v_div_scale_f64 v[55:56], s7, v[27:28], v[39:40], v[27:28]
	v_fma_f64 v[47:48], v[47:48], v[57:58], v[47:48]
	s_delay_alu instid0(VALU_DEP_3) | instskip(NEXT) | instid1(VALU_DEP_2)
	v_mul_f64 v[57:58], v[91:92], v[45:46]
	v_mul_f64 v[93:94], v[55:56], v[47:48]
	s_delay_alu instid0(VALU_DEP_2) | instskip(NEXT) | instid1(VALU_DEP_2)
	v_fma_f64 v[33:34], -v[33:34], v[57:58], v[91:92]
	v_fma_f64 v[35:36], -v[35:36], v[93:94], v[55:56]
	s_delay_alu instid0(VALU_DEP_2) | instskip(SKIP_1) | instid1(VALU_DEP_2)
	v_div_fmas_f64 v[33:34], v[33:34], v[45:46], v[57:58]
	s_mov_b32 vcc_lo, s7
	v_div_fmas_f64 v[45:46], v[35:36], v[47:48], v[93:94]
	s_delay_alu instid0(VALU_DEP_2) | instskip(NEXT) | instid1(VALU_DEP_2)
	v_div_fixup_f64 v[35:36], v[33:34], v[37:38], v[25:26]
	v_div_fixup_f64 v[33:34], v[45:46], v[39:40], v[27:28]
.LBB117_66:                             ;   in Loop: Header=BB117_4 Depth=1
	s_or_b32 exec_lo, exec_lo, s36
.LBB117_67:                             ;   in Loop: Header=BB117_4 Depth=1
	s_and_not1_saveexec_b32 s7, s17
	s_cbranch_execz .LBB117_69
; %bb.68:                               ;   in Loop: Header=BB117_4 Depth=1
	v_div_scale_f64 v[33:34], null, v[31:32], v[31:32], v[29:30]
	v_div_scale_f64 v[47:48], vcc_lo, v[29:30], v[31:32], v[29:30]
	s_delay_alu instid0(VALU_DEP_2) | instskip(SKIP_2) | instid1(VALU_DEP_1)
	v_rcp_f64_e32 v[35:36], v[33:34]
	s_waitcnt_depctr 0xfff
	v_fma_f64 v[45:46], -v[33:34], v[35:36], 1.0
	v_fma_f64 v[35:36], v[35:36], v[45:46], v[35:36]
	s_delay_alu instid0(VALU_DEP_1) | instskip(NEXT) | instid1(VALU_DEP_1)
	v_fma_f64 v[45:46], -v[33:34], v[35:36], 1.0
	v_fma_f64 v[35:36], v[35:36], v[45:46], v[35:36]
	s_delay_alu instid0(VALU_DEP_1) | instskip(NEXT) | instid1(VALU_DEP_1)
	v_mul_f64 v[45:46], v[47:48], v[35:36]
	v_fma_f64 v[33:34], -v[33:34], v[45:46], v[47:48]
	s_delay_alu instid0(VALU_DEP_1) | instskip(NEXT) | instid1(VALU_DEP_1)
	v_div_fmas_f64 v[33:34], v[33:34], v[35:36], v[45:46]
	v_div_fixup_f64 v[33:34], v[33:34], v[31:32], v[29:30]
	s_delay_alu instid0(VALU_DEP_1) | instskip(NEXT) | instid1(VALU_DEP_1)
	v_fma_f64 v[35:36], v[29:30], v[33:34], v[31:32]
	v_div_scale_f64 v[45:46], null, v[35:36], v[35:36], 1.0
	v_div_scale_f64 v[57:58], vcc_lo, 1.0, v[35:36], 1.0
	s_delay_alu instid0(VALU_DEP_2) | instskip(SKIP_2) | instid1(VALU_DEP_1)
	v_rcp_f64_e32 v[47:48], v[45:46]
	s_waitcnt_depctr 0xfff
	v_fma_f64 v[55:56], -v[45:46], v[47:48], 1.0
	v_fma_f64 v[47:48], v[47:48], v[55:56], v[47:48]
	s_delay_alu instid0(VALU_DEP_1) | instskip(NEXT) | instid1(VALU_DEP_1)
	v_fma_f64 v[55:56], -v[45:46], v[47:48], 1.0
	v_fma_f64 v[47:48], v[47:48], v[55:56], v[47:48]
	s_delay_alu instid0(VALU_DEP_1) | instskip(NEXT) | instid1(VALU_DEP_1)
	v_mul_f64 v[55:56], v[57:58], v[47:48]
	v_fma_f64 v[45:46], -v[45:46], v[55:56], v[57:58]
	s_delay_alu instid0(VALU_DEP_1) | instskip(SKIP_2) | instid1(VALU_DEP_3)
	v_div_fmas_f64 v[45:46], v[45:46], v[47:48], v[55:56]
	v_fma_f64 v[47:48], v[25:26], v[33:34], v[27:28]
	v_fma_f64 v[33:34], v[27:28], v[33:34], -v[25:26]
	v_div_fixup_f64 v[45:46], v[45:46], v[35:36], 1.0
	s_delay_alu instid0(VALU_DEP_1) | instskip(NEXT) | instid1(VALU_DEP_3)
	v_mul_f64 v[35:36], v[47:48], v[45:46]
	v_mul_f64 v[33:34], v[33:34], v[45:46]
.LBB117_69:                             ;   in Loop: Header=BB117_4 Depth=1
	s_or_b32 exec_lo, exec_lo, s7
	s_delay_alu instid0(VALU_DEP_1) | instskip(SKIP_1) | instid1(VALU_DEP_2)
	v_mul_f64 v[45:46], s[10:11], v[33:34]
	v_mul_f64 v[47:48], s[8:9], v[33:34]
	v_fma_f64 v[33:34], s[8:9], v[35:36], -v[45:46]
	s_delay_alu instid0(VALU_DEP_2)
	v_fma_f64 v[35:36], s[10:11], v[35:36], v[47:48]
	s_branch .LBB117_80
.LBB117_70:                             ;   in Loop: Header=BB117_4 Depth=1
                                        ; implicit-def: $vgpr35_vgpr36
                                        ; implicit-def: $vgpr33_vgpr34
	s_cbranch_execz .LBB117_80
; %bb.71:                               ;   in Loop: Header=BB117_4 Depth=1
                                        ; implicit-def: $vgpr35_vgpr36
                                        ; implicit-def: $vgpr33_vgpr34
	s_delay_alu instid0(VALU_DEP_1) | instskip(NEXT) | instid1(SALU_CYCLE_1)
	s_and_saveexec_b32 s7, s6
	s_xor_b32 s7, exec_lo, s7
	s_cbranch_execz .LBB117_77
; %bb.72:                               ;   in Loop: Header=BB117_4 Depth=1
	v_cmp_neq_f64_e32 vcc_lo, 0, v[29:30]
	v_cmp_neq_f64_e64 s6, 0, v[31:32]
                                        ; implicit-def: $vgpr35_vgpr36
                                        ; implicit-def: $vgpr33_vgpr34
	s_delay_alu instid0(VALU_DEP_1) | instskip(NEXT) | instid1(SALU_CYCLE_1)
	s_or_b32 s6, s6, vcc_lo
	s_and_saveexec_b32 s17, s6
	s_delay_alu instid0(SALU_CYCLE_1)
	s_xor_b32 s6, exec_lo, s17
	s_cbranch_execz .LBB117_74
; %bb.73:                               ;   in Loop: Header=BB117_4 Depth=1
	v_div_scale_f64 v[33:34], null, v[29:30], v[29:30], v[31:32]
	v_div_scale_f64 v[39:40], vcc_lo, v[31:32], v[29:30], v[31:32]
	s_delay_alu instid0(VALU_DEP_2) | instskip(SKIP_2) | instid1(VALU_DEP_1)
	v_rcp_f64_e32 v[35:36], v[33:34]
	s_waitcnt_depctr 0xfff
	v_fma_f64 v[37:38], -v[33:34], v[35:36], 1.0
	v_fma_f64 v[35:36], v[35:36], v[37:38], v[35:36]
	s_delay_alu instid0(VALU_DEP_1) | instskip(NEXT) | instid1(VALU_DEP_1)
	v_fma_f64 v[37:38], -v[33:34], v[35:36], 1.0
	v_fma_f64 v[35:36], v[35:36], v[37:38], v[35:36]
	s_delay_alu instid0(VALU_DEP_1) | instskip(NEXT) | instid1(VALU_DEP_1)
	v_mul_f64 v[37:38], v[39:40], v[35:36]
	v_fma_f64 v[33:34], -v[33:34], v[37:38], v[39:40]
	s_delay_alu instid0(VALU_DEP_1) | instskip(NEXT) | instid1(VALU_DEP_1)
	v_div_fmas_f64 v[33:34], v[33:34], v[35:36], v[37:38]
	v_div_fixup_f64 v[33:34], v[33:34], v[29:30], v[31:32]
	s_delay_alu instid0(VALU_DEP_1) | instskip(NEXT) | instid1(VALU_DEP_1)
	v_fma_f64 v[29:30], v[31:32], v[33:34], v[29:30]
	v_div_scale_f64 v[31:32], null, v[29:30], v[29:30], 1.0
	v_div_scale_f64 v[39:40], vcc_lo, 1.0, v[29:30], 1.0
	s_delay_alu instid0(VALU_DEP_2) | instskip(SKIP_2) | instid1(VALU_DEP_1)
	v_rcp_f64_e32 v[35:36], v[31:32]
	s_waitcnt_depctr 0xfff
	v_fma_f64 v[37:38], -v[31:32], v[35:36], 1.0
	v_fma_f64 v[35:36], v[35:36], v[37:38], v[35:36]
	s_delay_alu instid0(VALU_DEP_1) | instskip(NEXT) | instid1(VALU_DEP_1)
	v_fma_f64 v[37:38], -v[31:32], v[35:36], 1.0
	v_fma_f64 v[35:36], v[35:36], v[37:38], v[35:36]
	s_delay_alu instid0(VALU_DEP_1) | instskip(NEXT) | instid1(VALU_DEP_1)
	v_mul_f64 v[37:38], v[39:40], v[35:36]
	v_fma_f64 v[31:32], -v[31:32], v[37:38], v[39:40]
                                        ; implicit-def: $vgpr39_vgpr40
	s_delay_alu instid0(VALU_DEP_1) | instskip(SKIP_2) | instid1(VALU_DEP_3)
	v_div_fmas_f64 v[31:32], v[31:32], v[35:36], v[37:38]
	v_fma_f64 v[35:36], v[27:28], v[33:34], v[25:26]
	v_fma_f64 v[25:26], -v[25:26], v[33:34], v[27:28]
                                        ; implicit-def: $vgpr37_vgpr38
	v_div_fixup_f64 v[29:30], v[31:32], v[29:30], 1.0
	s_delay_alu instid0(VALU_DEP_1) | instskip(NEXT) | instid1(VALU_DEP_3)
	v_mul_f64 v[33:34], v[35:36], v[29:30]
	v_mul_f64 v[35:36], v[25:26], v[29:30]
                                        ; implicit-def: $vgpr25_vgpr26
.LBB117_74:                             ;   in Loop: Header=BB117_4 Depth=1
	s_and_not1_saveexec_b32 s17, s6
	s_cbranch_execz .LBB117_76
; %bb.75:                               ;   in Loop: Header=BB117_4 Depth=1
	v_div_scale_f64 v[29:30], null, v[37:38], v[37:38], v[25:26]
	v_div_scale_f64 v[31:32], null, v[39:40], v[39:40], v[27:28]
	v_div_scale_f64 v[55:56], vcc_lo, v[25:26], v[37:38], v[25:26]
	s_delay_alu instid0(VALU_DEP_3) | instskip(NEXT) | instid1(VALU_DEP_2)
	v_rcp_f64_e32 v[33:34], v[29:30]
	v_rcp_f64_e32 v[35:36], v[31:32]
	s_waitcnt_depctr 0xfff
	v_fma_f64 v[45:46], -v[29:30], v[33:34], 1.0
	v_fma_f64 v[47:48], -v[31:32], v[35:36], 1.0
	s_delay_alu instid0(VALU_DEP_2) | instskip(NEXT) | instid1(VALU_DEP_2)
	v_fma_f64 v[33:34], v[33:34], v[45:46], v[33:34]
	v_fma_f64 v[35:36], v[35:36], v[47:48], v[35:36]
	s_delay_alu instid0(VALU_DEP_2) | instskip(NEXT) | instid1(VALU_DEP_2)
	v_fma_f64 v[45:46], -v[29:30], v[33:34], 1.0
	v_fma_f64 v[47:48], -v[31:32], v[35:36], 1.0
	s_delay_alu instid0(VALU_DEP_2) | instskip(SKIP_1) | instid1(VALU_DEP_3)
	v_fma_f64 v[33:34], v[33:34], v[45:46], v[33:34]
	v_div_scale_f64 v[45:46], s6, v[27:28], v[39:40], v[27:28]
	v_fma_f64 v[35:36], v[35:36], v[47:48], v[35:36]
	s_delay_alu instid0(VALU_DEP_3) | instskip(NEXT) | instid1(VALU_DEP_2)
	v_mul_f64 v[47:48], v[55:56], v[33:34]
	v_mul_f64 v[57:58], v[45:46], v[35:36]
	s_delay_alu instid0(VALU_DEP_2) | instskip(NEXT) | instid1(VALU_DEP_2)
	v_fma_f64 v[29:30], -v[29:30], v[47:48], v[55:56]
	v_fma_f64 v[31:32], -v[31:32], v[57:58], v[45:46]
	s_delay_alu instid0(VALU_DEP_2) | instskip(SKIP_1) | instid1(VALU_DEP_2)
	v_div_fmas_f64 v[29:30], v[29:30], v[33:34], v[47:48]
	s_mov_b32 vcc_lo, s6
	v_div_fmas_f64 v[31:32], v[31:32], v[35:36], v[57:58]
	s_delay_alu instid0(VALU_DEP_2) | instskip(NEXT) | instid1(VALU_DEP_2)
	v_div_fixup_f64 v[33:34], v[29:30], v[37:38], v[25:26]
	v_div_fixup_f64 v[35:36], v[31:32], v[39:40], v[27:28]
.LBB117_76:                             ;   in Loop: Header=BB117_4 Depth=1
	s_or_b32 exec_lo, exec_lo, s17
                                        ; implicit-def: $vgpr31_vgpr32
                                        ; implicit-def: $vgpr25_vgpr26
.LBB117_77:                             ;   in Loop: Header=BB117_4 Depth=1
	s_and_not1_saveexec_b32 s6, s7
	s_cbranch_execz .LBB117_79
; %bb.78:                               ;   in Loop: Header=BB117_4 Depth=1
	v_div_scale_f64 v[33:34], null, v[31:32], v[31:32], v[29:30]
	v_div_scale_f64 v[39:40], vcc_lo, v[29:30], v[31:32], v[29:30]
	s_delay_alu instid0(VALU_DEP_2) | instskip(SKIP_2) | instid1(VALU_DEP_1)
	v_rcp_f64_e32 v[35:36], v[33:34]
	s_waitcnt_depctr 0xfff
	v_fma_f64 v[37:38], -v[33:34], v[35:36], 1.0
	v_fma_f64 v[35:36], v[35:36], v[37:38], v[35:36]
	s_delay_alu instid0(VALU_DEP_1) | instskip(NEXT) | instid1(VALU_DEP_1)
	v_fma_f64 v[37:38], -v[33:34], v[35:36], 1.0
	v_fma_f64 v[35:36], v[35:36], v[37:38], v[35:36]
	s_delay_alu instid0(VALU_DEP_1) | instskip(NEXT) | instid1(VALU_DEP_1)
	v_mul_f64 v[37:38], v[39:40], v[35:36]
	v_fma_f64 v[33:34], -v[33:34], v[37:38], v[39:40]
	s_delay_alu instid0(VALU_DEP_1) | instskip(NEXT) | instid1(VALU_DEP_1)
	v_div_fmas_f64 v[33:34], v[33:34], v[35:36], v[37:38]
	v_div_fixup_f64 v[33:34], v[33:34], v[31:32], v[29:30]
	s_delay_alu instid0(VALU_DEP_1) | instskip(NEXT) | instid1(VALU_DEP_1)
	v_fma_f64 v[29:30], v[29:30], v[33:34], v[31:32]
	v_div_scale_f64 v[31:32], null, v[29:30], v[29:30], 1.0
	v_div_scale_f64 v[39:40], vcc_lo, 1.0, v[29:30], 1.0
	s_delay_alu instid0(VALU_DEP_2) | instskip(SKIP_2) | instid1(VALU_DEP_1)
	v_rcp_f64_e32 v[35:36], v[31:32]
	s_waitcnt_depctr 0xfff
	v_fma_f64 v[37:38], -v[31:32], v[35:36], 1.0
	v_fma_f64 v[35:36], v[35:36], v[37:38], v[35:36]
	s_delay_alu instid0(VALU_DEP_1) | instskip(NEXT) | instid1(VALU_DEP_1)
	v_fma_f64 v[37:38], -v[31:32], v[35:36], 1.0
	v_fma_f64 v[35:36], v[35:36], v[37:38], v[35:36]
	s_delay_alu instid0(VALU_DEP_1) | instskip(NEXT) | instid1(VALU_DEP_1)
	v_mul_f64 v[37:38], v[39:40], v[35:36]
	v_fma_f64 v[31:32], -v[31:32], v[37:38], v[39:40]
	s_delay_alu instid0(VALU_DEP_1) | instskip(SKIP_2) | instid1(VALU_DEP_3)
	v_div_fmas_f64 v[31:32], v[31:32], v[35:36], v[37:38]
	v_fma_f64 v[35:36], v[25:26], v[33:34], v[27:28]
	v_fma_f64 v[25:26], v[27:28], v[33:34], -v[25:26]
	v_div_fixup_f64 v[29:30], v[31:32], v[29:30], 1.0
	s_delay_alu instid0(VALU_DEP_1) | instskip(NEXT) | instid1(VALU_DEP_3)
	v_mul_f64 v[33:34], v[35:36], v[29:30]
	v_mul_f64 v[35:36], v[25:26], v[29:30]
.LBB117_79:                             ;   in Loop: Header=BB117_4 Depth=1
	s_or_b32 exec_lo, exec_lo, s6
.LBB117_80:                             ;   in Loop: Header=BB117_4 Depth=1
	v_cmp_gt_f64_e32 vcc_lo, 0, v[21:22]
	v_cmp_gt_f64_e64 s6, 0, v[23:24]
	v_xor_b32_e32 v25, 0x80000000, v22
	v_xor_b32_e32 v27, 0x80000000, v24
	s_delay_alu instid0(VALU_DEP_2) | instskip(NEXT) | instid1(VALU_DEP_2)
	v_cndmask_b32_e32 v26, v22, v25, vcc_lo
	v_cndmask_b32_e64 v28, v24, v27, s6
	v_cndmask_b32_e32 v25, v21, v21, vcc_lo
	v_cndmask_b32_e64 v27, v23, v23, s6
	s_and_not1_b32 vcc_lo, exec_lo, s34
	s_delay_alu instid0(VALU_DEP_1)
	v_cmp_ge_f64_e64 s6, v[25:26], v[27:28]
	s_cbranch_vccnz .LBB117_90
; %bb.81:                               ;   in Loop: Header=BB117_4 Depth=1
                                        ; implicit-def: $vgpr29_vgpr30
                                        ; implicit-def: $vgpr31_vgpr32
	s_delay_alu instid0(VALU_DEP_1) | instskip(NEXT) | instid1(SALU_CYCLE_1)
	s_and_saveexec_b32 s7, s6
	s_xor_b32 s17, exec_lo, s7
	s_cbranch_execz .LBB117_87
; %bb.82:                               ;   in Loop: Header=BB117_4 Depth=1
	v_cmp_neq_f64_e32 vcc_lo, 0, v[21:22]
	v_cmp_neq_f64_e64 s7, 0, v[23:24]
                                        ; implicit-def: $vgpr29_vgpr30
                                        ; implicit-def: $vgpr31_vgpr32
	s_delay_alu instid0(VALU_DEP_1) | instskip(NEXT) | instid1(SALU_CYCLE_1)
	s_or_b32 s7, s7, vcc_lo
	s_and_saveexec_b32 s36, s7
	s_delay_alu instid0(SALU_CYCLE_1)
	s_xor_b32 s7, exec_lo, s36
	s_cbranch_execz .LBB117_84
; %bb.83:                               ;   in Loop: Header=BB117_4 Depth=1
	v_div_scale_f64 v[29:30], null, v[21:22], v[21:22], v[23:24]
	v_div_scale_f64 v[39:40], vcc_lo, v[23:24], v[21:22], v[23:24]
	s_delay_alu instid0(VALU_DEP_2) | instskip(SKIP_2) | instid1(VALU_DEP_1)
	v_rcp_f64_e32 v[31:32], v[29:30]
	s_waitcnt_depctr 0xfff
	v_fma_f64 v[37:38], -v[29:30], v[31:32], 1.0
	v_fma_f64 v[31:32], v[31:32], v[37:38], v[31:32]
	s_delay_alu instid0(VALU_DEP_1) | instskip(NEXT) | instid1(VALU_DEP_1)
	v_fma_f64 v[37:38], -v[29:30], v[31:32], 1.0
	v_fma_f64 v[31:32], v[31:32], v[37:38], v[31:32]
	s_delay_alu instid0(VALU_DEP_1) | instskip(NEXT) | instid1(VALU_DEP_1)
	v_mul_f64 v[37:38], v[39:40], v[31:32]
	v_fma_f64 v[29:30], -v[29:30], v[37:38], v[39:40]
	s_delay_alu instid0(VALU_DEP_1) | instskip(NEXT) | instid1(VALU_DEP_1)
	v_div_fmas_f64 v[29:30], v[29:30], v[31:32], v[37:38]
	v_div_fixup_f64 v[29:30], v[29:30], v[21:22], v[23:24]
	s_delay_alu instid0(VALU_DEP_1) | instskip(NEXT) | instid1(VALU_DEP_1)
	v_fma_f64 v[31:32], v[23:24], v[29:30], v[21:22]
	v_div_scale_f64 v[37:38], null, v[31:32], v[31:32], 1.0
	v_div_scale_f64 v[47:48], vcc_lo, 1.0, v[31:32], 1.0
	s_delay_alu instid0(VALU_DEP_2) | instskip(SKIP_2) | instid1(VALU_DEP_1)
	v_rcp_f64_e32 v[39:40], v[37:38]
	s_waitcnt_depctr 0xfff
	v_fma_f64 v[45:46], -v[37:38], v[39:40], 1.0
	v_fma_f64 v[39:40], v[39:40], v[45:46], v[39:40]
	s_delay_alu instid0(VALU_DEP_1) | instskip(NEXT) | instid1(VALU_DEP_1)
	v_fma_f64 v[45:46], -v[37:38], v[39:40], 1.0
	v_fma_f64 v[39:40], v[39:40], v[45:46], v[39:40]
	s_delay_alu instid0(VALU_DEP_1) | instskip(NEXT) | instid1(VALU_DEP_1)
	v_mul_f64 v[45:46], v[47:48], v[39:40]
	v_fma_f64 v[37:38], -v[37:38], v[45:46], v[47:48]
	s_delay_alu instid0(VALU_DEP_1) | instskip(SKIP_2) | instid1(VALU_DEP_3)
	v_div_fmas_f64 v[37:38], v[37:38], v[39:40], v[45:46]
	v_fma_f64 v[39:40], v[19:20], v[29:30], v[17:18]
	v_fma_f64 v[29:30], -v[17:18], v[29:30], v[19:20]
	v_div_fixup_f64 v[37:38], v[37:38], v[31:32], 1.0
	s_delay_alu instid0(VALU_DEP_1) | instskip(NEXT) | instid1(VALU_DEP_3)
	v_mul_f64 v[31:32], v[39:40], v[37:38]
	v_mul_f64 v[29:30], v[29:30], v[37:38]
.LBB117_84:                             ;   in Loop: Header=BB117_4 Depth=1
	s_and_not1_saveexec_b32 s36, s7
	s_cbranch_execz .LBB117_86
; %bb.85:                               ;   in Loop: Header=BB117_4 Depth=1
	v_div_scale_f64 v[29:30], null, v[25:26], v[25:26], v[17:18]
	v_div_scale_f64 v[31:32], null, v[27:28], v[27:28], v[19:20]
	v_div_scale_f64 v[55:56], vcc_lo, v[17:18], v[25:26], v[17:18]
	s_delay_alu instid0(VALU_DEP_3) | instskip(NEXT) | instid1(VALU_DEP_2)
	v_rcp_f64_e32 v[37:38], v[29:30]
	v_rcp_f64_e32 v[39:40], v[31:32]
	s_waitcnt_depctr 0xfff
	v_fma_f64 v[45:46], -v[29:30], v[37:38], 1.0
	v_fma_f64 v[47:48], -v[31:32], v[39:40], 1.0
	s_delay_alu instid0(VALU_DEP_2) | instskip(NEXT) | instid1(VALU_DEP_2)
	v_fma_f64 v[37:38], v[37:38], v[45:46], v[37:38]
	v_fma_f64 v[39:40], v[39:40], v[47:48], v[39:40]
	s_delay_alu instid0(VALU_DEP_2) | instskip(NEXT) | instid1(VALU_DEP_2)
	v_fma_f64 v[45:46], -v[29:30], v[37:38], 1.0
	v_fma_f64 v[47:48], -v[31:32], v[39:40], 1.0
	s_delay_alu instid0(VALU_DEP_2) | instskip(SKIP_1) | instid1(VALU_DEP_3)
	v_fma_f64 v[37:38], v[37:38], v[45:46], v[37:38]
	v_div_scale_f64 v[45:46], s7, v[19:20], v[27:28], v[19:20]
	v_fma_f64 v[39:40], v[39:40], v[47:48], v[39:40]
	s_delay_alu instid0(VALU_DEP_3) | instskip(NEXT) | instid1(VALU_DEP_2)
	v_mul_f64 v[47:48], v[55:56], v[37:38]
	v_mul_f64 v[57:58], v[45:46], v[39:40]
	s_delay_alu instid0(VALU_DEP_2) | instskip(NEXT) | instid1(VALU_DEP_2)
	v_fma_f64 v[29:30], -v[29:30], v[47:48], v[55:56]
	v_fma_f64 v[31:32], -v[31:32], v[57:58], v[45:46]
	s_delay_alu instid0(VALU_DEP_2) | instskip(SKIP_1) | instid1(VALU_DEP_2)
	v_div_fmas_f64 v[29:30], v[29:30], v[37:38], v[47:48]
	s_mov_b32 vcc_lo, s7
	v_div_fmas_f64 v[37:38], v[31:32], v[39:40], v[57:58]
	s_delay_alu instid0(VALU_DEP_2) | instskip(NEXT) | instid1(VALU_DEP_2)
	v_div_fixup_f64 v[31:32], v[29:30], v[25:26], v[17:18]
	v_div_fixup_f64 v[29:30], v[37:38], v[27:28], v[19:20]
.LBB117_86:                             ;   in Loop: Header=BB117_4 Depth=1
	s_or_b32 exec_lo, exec_lo, s36
.LBB117_87:                             ;   in Loop: Header=BB117_4 Depth=1
	s_and_not1_saveexec_b32 s7, s17
	s_cbranch_execz .LBB117_89
; %bb.88:                               ;   in Loop: Header=BB117_4 Depth=1
	v_div_scale_f64 v[29:30], null, v[23:24], v[23:24], v[21:22]
	v_div_scale_f64 v[39:40], vcc_lo, v[21:22], v[23:24], v[21:22]
	s_delay_alu instid0(VALU_DEP_2) | instskip(SKIP_2) | instid1(VALU_DEP_1)
	v_rcp_f64_e32 v[31:32], v[29:30]
	s_waitcnt_depctr 0xfff
	v_fma_f64 v[37:38], -v[29:30], v[31:32], 1.0
	v_fma_f64 v[31:32], v[31:32], v[37:38], v[31:32]
	s_delay_alu instid0(VALU_DEP_1) | instskip(NEXT) | instid1(VALU_DEP_1)
	v_fma_f64 v[37:38], -v[29:30], v[31:32], 1.0
	v_fma_f64 v[31:32], v[31:32], v[37:38], v[31:32]
	s_delay_alu instid0(VALU_DEP_1) | instskip(NEXT) | instid1(VALU_DEP_1)
	v_mul_f64 v[37:38], v[39:40], v[31:32]
	v_fma_f64 v[29:30], -v[29:30], v[37:38], v[39:40]
	s_delay_alu instid0(VALU_DEP_1) | instskip(NEXT) | instid1(VALU_DEP_1)
	v_div_fmas_f64 v[29:30], v[29:30], v[31:32], v[37:38]
	v_div_fixup_f64 v[29:30], v[29:30], v[23:24], v[21:22]
	s_delay_alu instid0(VALU_DEP_1) | instskip(NEXT) | instid1(VALU_DEP_1)
	v_fma_f64 v[31:32], v[21:22], v[29:30], v[23:24]
	v_div_scale_f64 v[37:38], null, v[31:32], v[31:32], 1.0
	v_div_scale_f64 v[47:48], vcc_lo, 1.0, v[31:32], 1.0
	s_delay_alu instid0(VALU_DEP_2) | instskip(SKIP_2) | instid1(VALU_DEP_1)
	v_rcp_f64_e32 v[39:40], v[37:38]
	s_waitcnt_depctr 0xfff
	v_fma_f64 v[45:46], -v[37:38], v[39:40], 1.0
	v_fma_f64 v[39:40], v[39:40], v[45:46], v[39:40]
	s_delay_alu instid0(VALU_DEP_1) | instskip(NEXT) | instid1(VALU_DEP_1)
	v_fma_f64 v[45:46], -v[37:38], v[39:40], 1.0
	v_fma_f64 v[39:40], v[39:40], v[45:46], v[39:40]
	s_delay_alu instid0(VALU_DEP_1) | instskip(NEXT) | instid1(VALU_DEP_1)
	v_mul_f64 v[45:46], v[47:48], v[39:40]
	v_fma_f64 v[37:38], -v[37:38], v[45:46], v[47:48]
	s_delay_alu instid0(VALU_DEP_1) | instskip(SKIP_2) | instid1(VALU_DEP_3)
	v_div_fmas_f64 v[37:38], v[37:38], v[39:40], v[45:46]
	v_fma_f64 v[39:40], v[17:18], v[29:30], v[19:20]
	v_fma_f64 v[29:30], v[19:20], v[29:30], -v[17:18]
	v_div_fixup_f64 v[37:38], v[37:38], v[31:32], 1.0
	s_delay_alu instid0(VALU_DEP_1) | instskip(NEXT) | instid1(VALU_DEP_3)
	v_mul_f64 v[31:32], v[39:40], v[37:38]
	v_mul_f64 v[29:30], v[29:30], v[37:38]
.LBB117_89:                             ;   in Loop: Header=BB117_4 Depth=1
	s_or_b32 exec_lo, exec_lo, s7
	s_delay_alu instid0(VALU_DEP_1) | instskip(SKIP_1) | instid1(VALU_DEP_2)
	v_mul_f64 v[37:38], s[10:11], v[29:30]
	v_mul_f64 v[39:40], s[8:9], v[29:30]
	v_fma_f64 v[29:30], s[8:9], v[31:32], -v[37:38]
	s_delay_alu instid0(VALU_DEP_2)
	v_fma_f64 v[31:32], s[10:11], v[31:32], v[39:40]
	s_branch .LBB117_100
.LBB117_90:                             ;   in Loop: Header=BB117_4 Depth=1
                                        ; implicit-def: $vgpr31_vgpr32
                                        ; implicit-def: $vgpr29_vgpr30
	s_cbranch_execz .LBB117_100
; %bb.91:                               ;   in Loop: Header=BB117_4 Depth=1
                                        ; implicit-def: $vgpr31_vgpr32
                                        ; implicit-def: $vgpr29_vgpr30
	s_delay_alu instid0(VALU_DEP_1) | instskip(NEXT) | instid1(SALU_CYCLE_1)
	s_and_saveexec_b32 s7, s6
	s_xor_b32 s7, exec_lo, s7
	s_cbranch_execz .LBB117_97
; %bb.92:                               ;   in Loop: Header=BB117_4 Depth=1
	v_cmp_neq_f64_e32 vcc_lo, 0, v[21:22]
	v_cmp_neq_f64_e64 s6, 0, v[23:24]
                                        ; implicit-def: $vgpr31_vgpr32
                                        ; implicit-def: $vgpr29_vgpr30
	s_delay_alu instid0(VALU_DEP_1) | instskip(NEXT) | instid1(SALU_CYCLE_1)
	s_or_b32 s6, s6, vcc_lo
	s_and_saveexec_b32 s17, s6
	s_delay_alu instid0(SALU_CYCLE_1)
	s_xor_b32 s6, exec_lo, s17
	s_cbranch_execz .LBB117_94
; %bb.93:                               ;   in Loop: Header=BB117_4 Depth=1
	v_div_scale_f64 v[25:26], null, v[21:22], v[21:22], v[23:24]
	v_div_scale_f64 v[31:32], vcc_lo, v[23:24], v[21:22], v[23:24]
	s_delay_alu instid0(VALU_DEP_2) | instskip(SKIP_2) | instid1(VALU_DEP_1)
	v_rcp_f64_e32 v[27:28], v[25:26]
	s_waitcnt_depctr 0xfff
	v_fma_f64 v[29:30], -v[25:26], v[27:28], 1.0
	v_fma_f64 v[27:28], v[27:28], v[29:30], v[27:28]
	s_delay_alu instid0(VALU_DEP_1) | instskip(NEXT) | instid1(VALU_DEP_1)
	v_fma_f64 v[29:30], -v[25:26], v[27:28], 1.0
	v_fma_f64 v[27:28], v[27:28], v[29:30], v[27:28]
	s_delay_alu instid0(VALU_DEP_1) | instskip(NEXT) | instid1(VALU_DEP_1)
	v_mul_f64 v[29:30], v[31:32], v[27:28]
	v_fma_f64 v[25:26], -v[25:26], v[29:30], v[31:32]
	s_delay_alu instid0(VALU_DEP_1) | instskip(NEXT) | instid1(VALU_DEP_1)
	v_div_fmas_f64 v[25:26], v[25:26], v[27:28], v[29:30]
	v_div_fixup_f64 v[25:26], v[25:26], v[21:22], v[23:24]
	s_delay_alu instid0(VALU_DEP_1) | instskip(NEXT) | instid1(VALU_DEP_1)
	v_fma_f64 v[21:22], v[23:24], v[25:26], v[21:22]
	v_div_scale_f64 v[23:24], null, v[21:22], v[21:22], 1.0
	v_div_scale_f64 v[31:32], vcc_lo, 1.0, v[21:22], 1.0
	s_delay_alu instid0(VALU_DEP_2) | instskip(SKIP_2) | instid1(VALU_DEP_1)
	v_rcp_f64_e32 v[27:28], v[23:24]
	s_waitcnt_depctr 0xfff
	v_fma_f64 v[29:30], -v[23:24], v[27:28], 1.0
	v_fma_f64 v[27:28], v[27:28], v[29:30], v[27:28]
	s_delay_alu instid0(VALU_DEP_1) | instskip(NEXT) | instid1(VALU_DEP_1)
	v_fma_f64 v[29:30], -v[23:24], v[27:28], 1.0
	v_fma_f64 v[27:28], v[27:28], v[29:30], v[27:28]
	s_delay_alu instid0(VALU_DEP_1) | instskip(NEXT) | instid1(VALU_DEP_1)
	v_mul_f64 v[29:30], v[31:32], v[27:28]
	v_fma_f64 v[23:24], -v[23:24], v[29:30], v[31:32]
	s_delay_alu instid0(VALU_DEP_1) | instskip(SKIP_2) | instid1(VALU_DEP_3)
	v_div_fmas_f64 v[23:24], v[23:24], v[27:28], v[29:30]
	v_fma_f64 v[27:28], v[19:20], v[25:26], v[17:18]
	v_fma_f64 v[17:18], -v[17:18], v[25:26], v[19:20]
                                        ; implicit-def: $vgpr25_vgpr26
	v_div_fixup_f64 v[21:22], v[23:24], v[21:22], 1.0
	s_delay_alu instid0(VALU_DEP_1) | instskip(NEXT) | instid1(VALU_DEP_3)
	v_mul_f64 v[29:30], v[27:28], v[21:22]
	v_mul_f64 v[31:32], v[17:18], v[21:22]
                                        ; implicit-def: $vgpr17_vgpr18
                                        ; implicit-def: $vgpr27_vgpr28
.LBB117_94:                             ;   in Loop: Header=BB117_4 Depth=1
	s_and_not1_saveexec_b32 s17, s6
	s_cbranch_execz .LBB117_96
; %bb.95:                               ;   in Loop: Header=BB117_4 Depth=1
	v_div_scale_f64 v[21:22], null, v[25:26], v[25:26], v[17:18]
	v_div_scale_f64 v[23:24], null, v[27:28], v[27:28], v[19:20]
	v_div_scale_f64 v[45:46], vcc_lo, v[17:18], v[25:26], v[17:18]
	s_delay_alu instid0(VALU_DEP_3) | instskip(NEXT) | instid1(VALU_DEP_2)
	v_rcp_f64_e32 v[29:30], v[21:22]
	v_rcp_f64_e32 v[31:32], v[23:24]
	s_waitcnt_depctr 0xfff
	v_fma_f64 v[37:38], -v[21:22], v[29:30], 1.0
	v_fma_f64 v[39:40], -v[23:24], v[31:32], 1.0
	s_delay_alu instid0(VALU_DEP_2) | instskip(NEXT) | instid1(VALU_DEP_2)
	v_fma_f64 v[29:30], v[29:30], v[37:38], v[29:30]
	v_fma_f64 v[31:32], v[31:32], v[39:40], v[31:32]
	s_delay_alu instid0(VALU_DEP_2) | instskip(NEXT) | instid1(VALU_DEP_2)
	v_fma_f64 v[37:38], -v[21:22], v[29:30], 1.0
	v_fma_f64 v[39:40], -v[23:24], v[31:32], 1.0
	s_delay_alu instid0(VALU_DEP_2) | instskip(SKIP_1) | instid1(VALU_DEP_3)
	v_fma_f64 v[29:30], v[29:30], v[37:38], v[29:30]
	v_div_scale_f64 v[37:38], s6, v[19:20], v[27:28], v[19:20]
	v_fma_f64 v[31:32], v[31:32], v[39:40], v[31:32]
	s_delay_alu instid0(VALU_DEP_3) | instskip(NEXT) | instid1(VALU_DEP_2)
	v_mul_f64 v[39:40], v[45:46], v[29:30]
	v_mul_f64 v[47:48], v[37:38], v[31:32]
	s_delay_alu instid0(VALU_DEP_2) | instskip(NEXT) | instid1(VALU_DEP_2)
	v_fma_f64 v[21:22], -v[21:22], v[39:40], v[45:46]
	v_fma_f64 v[23:24], -v[23:24], v[47:48], v[37:38]
	s_delay_alu instid0(VALU_DEP_2) | instskip(SKIP_1) | instid1(VALU_DEP_2)
	v_div_fmas_f64 v[21:22], v[21:22], v[29:30], v[39:40]
	s_mov_b32 vcc_lo, s6
	v_div_fmas_f64 v[23:24], v[23:24], v[31:32], v[47:48]
	s_delay_alu instid0(VALU_DEP_2) | instskip(NEXT) | instid1(VALU_DEP_2)
	v_div_fixup_f64 v[29:30], v[21:22], v[25:26], v[17:18]
	v_div_fixup_f64 v[31:32], v[23:24], v[27:28], v[19:20]
.LBB117_96:                             ;   in Loop: Header=BB117_4 Depth=1
	s_or_b32 exec_lo, exec_lo, s17
                                        ; implicit-def: $vgpr23_vgpr24
                                        ; implicit-def: $vgpr17_vgpr18
.LBB117_97:                             ;   in Loop: Header=BB117_4 Depth=1
	s_and_not1_saveexec_b32 s6, s7
	s_cbranch_execz .LBB117_99
; %bb.98:                               ;   in Loop: Header=BB117_4 Depth=1
	v_div_scale_f64 v[25:26], null, v[23:24], v[23:24], v[21:22]
	v_div_scale_f64 v[31:32], vcc_lo, v[21:22], v[23:24], v[21:22]
	s_delay_alu instid0(VALU_DEP_2) | instskip(SKIP_2) | instid1(VALU_DEP_1)
	v_rcp_f64_e32 v[27:28], v[25:26]
	s_waitcnt_depctr 0xfff
	v_fma_f64 v[29:30], -v[25:26], v[27:28], 1.0
	v_fma_f64 v[27:28], v[27:28], v[29:30], v[27:28]
	s_delay_alu instid0(VALU_DEP_1) | instskip(NEXT) | instid1(VALU_DEP_1)
	v_fma_f64 v[29:30], -v[25:26], v[27:28], 1.0
	v_fma_f64 v[27:28], v[27:28], v[29:30], v[27:28]
	s_delay_alu instid0(VALU_DEP_1) | instskip(NEXT) | instid1(VALU_DEP_1)
	v_mul_f64 v[29:30], v[31:32], v[27:28]
	v_fma_f64 v[25:26], -v[25:26], v[29:30], v[31:32]
	s_delay_alu instid0(VALU_DEP_1) | instskip(NEXT) | instid1(VALU_DEP_1)
	v_div_fmas_f64 v[25:26], v[25:26], v[27:28], v[29:30]
	v_div_fixup_f64 v[25:26], v[25:26], v[23:24], v[21:22]
	s_delay_alu instid0(VALU_DEP_1) | instskip(NEXT) | instid1(VALU_DEP_1)
	v_fma_f64 v[21:22], v[21:22], v[25:26], v[23:24]
	v_div_scale_f64 v[23:24], null, v[21:22], v[21:22], 1.0
	v_div_scale_f64 v[31:32], vcc_lo, 1.0, v[21:22], 1.0
	s_delay_alu instid0(VALU_DEP_2) | instskip(SKIP_2) | instid1(VALU_DEP_1)
	v_rcp_f64_e32 v[27:28], v[23:24]
	s_waitcnt_depctr 0xfff
	v_fma_f64 v[29:30], -v[23:24], v[27:28], 1.0
	v_fma_f64 v[27:28], v[27:28], v[29:30], v[27:28]
	s_delay_alu instid0(VALU_DEP_1) | instskip(NEXT) | instid1(VALU_DEP_1)
	v_fma_f64 v[29:30], -v[23:24], v[27:28], 1.0
	v_fma_f64 v[27:28], v[27:28], v[29:30], v[27:28]
	s_delay_alu instid0(VALU_DEP_1) | instskip(NEXT) | instid1(VALU_DEP_1)
	v_mul_f64 v[29:30], v[31:32], v[27:28]
	v_fma_f64 v[23:24], -v[23:24], v[29:30], v[31:32]
	s_delay_alu instid0(VALU_DEP_1) | instskip(SKIP_2) | instid1(VALU_DEP_3)
	v_div_fmas_f64 v[23:24], v[23:24], v[27:28], v[29:30]
	v_fma_f64 v[27:28], v[17:18], v[25:26], v[19:20]
	v_fma_f64 v[17:18], v[19:20], v[25:26], -v[17:18]
	v_div_fixup_f64 v[21:22], v[23:24], v[21:22], 1.0
	s_delay_alu instid0(VALU_DEP_1) | instskip(NEXT) | instid1(VALU_DEP_3)
	v_mul_f64 v[29:30], v[27:28], v[21:22]
	v_mul_f64 v[31:32], v[17:18], v[21:22]
.LBB117_99:                             ;   in Loop: Header=BB117_4 Depth=1
	s_or_b32 exec_lo, exec_lo, s6
.LBB117_100:                            ;   in Loop: Header=BB117_4 Depth=1
	s_and_saveexec_b32 s6, s2
	s_delay_alu instid0(SALU_CYCLE_1)
	s_xor_b32 s2, exec_lo, s6
	s_cbranch_execnz .LBB117_104
; %bb.101:                              ;   in Loop: Header=BB117_4 Depth=1
	s_or_b32 exec_lo, exec_lo, s2
	s_and_saveexec_b32 s2, s3
	s_cbranch_execnz .LBB117_105
.LBB117_102:                            ;   in Loop: Header=BB117_4 Depth=1
	s_or_b32 exec_lo, exec_lo, s2
	s_and_saveexec_b32 s2, s4
	s_cbranch_execnz .LBB117_106
.LBB117_103:                            ;   in Loop: Header=BB117_4 Depth=1
	s_or_b32 exec_lo, exec_lo, s2
	s_and_saveexec_b32 s2, s5
	s_cbranch_execz .LBB117_3
	s_branch .LBB117_107
.LBB117_104:                            ;   in Loop: Header=BB117_4 Depth=1
	v_add_f64 v[3:4], v[3:4], v[53:54]
	v_add_f64 v[1:2], v[1:2], v[51:52]
	v_add_co_u32 v17, vcc_lo, v69, s14
	v_add_co_ci_u32_e32 v18, vcc_lo, s15, v70, vcc_lo
	global_store_b128 v[17:18], v[1:4], off offset:-8
	s_or_b32 exec_lo, exec_lo, s2
	s_and_saveexec_b32 s2, s3
	s_cbranch_execz .LBB117_102
.LBB117_105:                            ;   in Loop: Header=BB117_4 Depth=1
	v_add_f64 v[3:4], v[7:8], v[43:44]
	v_add_f64 v[1:2], v[5:6], v[41:42]
	v_add_co_u32 v5, vcc_lo, v65, s14
	v_add_co_ci_u32_e32 v6, vcc_lo, s15, v66, vcc_lo
	global_store_b128 v[5:6], v[1:4], off
	s_or_b32 exec_lo, exec_lo, s2
	s_and_saveexec_b32 s2, s4
	s_cbranch_execz .LBB117_103
.LBB117_106:                            ;   in Loop: Header=BB117_4 Depth=1
	v_add_f64 v[3:4], v[11:12], v[35:36]
	v_add_f64 v[1:2], v[9:10], v[33:34]
	v_add_co_u32 v5, vcc_lo, v81, s14
	v_add_co_ci_u32_e32 v6, vcc_lo, s15, v82, vcc_lo
	global_store_b128 v[5:6], v[1:4], off
	s_or_b32 exec_lo, exec_lo, s2
	s_and_saveexec_b32 s2, s5
	s_cbranch_execz .LBB117_3
.LBB117_107:                            ;   in Loop: Header=BB117_4 Depth=1
	s_delay_alu instid0(VALU_DEP_1) | instskip(NEXT) | instid1(VALU_DEP_3)
	v_add_f64 v[3:4], v[15:16], v[31:32]
	v_add_f64 v[1:2], v[13:14], v[29:30]
	v_add_co_u32 v5, vcc_lo, v83, s14
	v_add_co_ci_u32_e32 v6, vcc_lo, s15, v84, vcc_lo
	global_store_b128 v[5:6], v[1:4], off offset:-8
	s_branch .LBB117_3
.LBB117_108:
	s_mov_b32 s16, 0
.LBB117_109:
	s_delay_alu instid0(SALU_CYCLE_1)
	s_and_not1_b32 vcc_lo, exec_lo, s16
	s_cbranch_vccnz .LBB117_193
; %bb.110:
	v_dual_mov_b32 v49, 0 :: v_dual_lshlrev_b32 v48, 2, v0
	s_mov_b32 s2, 0
	s_mov_b32 s3, exec_lo
	s_delay_alu instid0(VALU_DEP_1)
	v_cmpx_gt_i64_e64 s[12:13], v[48:49]
	s_cbranch_execz .LBB117_193
; %bb.111:
	s_waitcnt lgkmcnt(0)
	v_cmp_neq_f64_e64 s4, s[8:9], 1.0
	v_cmp_neq_f64_e64 s5, s[10:11], 0
	s_load_b32 s0, s[0:1], 0xe34
	v_lshlrev_b32_e32 v58, 6, v0
	s_waitcnt lgkmcnt(0)
	s_and_b32 s0, s0, 0xffff
	s_delay_alu instid0(SALU_CYCLE_1) | instskip(SKIP_1) | instid1(VALU_DEP_3)
	v_add_lshl_u32 v48, v0, s0, 2
	s_lshl_b32 s3, s0, 2
	s_or_b32 s4, s4, s5
	s_lshl_b32 s5, s0, 6
	s_branch .LBB117_114
.LBB117_112:                            ;   in Loop: Header=BB117_114 Depth=1
	s_or_b32 exec_lo, exec_lo, s0
.LBB117_113:                            ;   in Loop: Header=BB117_114 Depth=1
	v_add_f64 v[10:11], v[10:11], v[52:53]
	v_add_f64 v[8:9], v[8:9], v[50:51]
	;; [unrolled: 1-line block ×8, first 2 shown]
	v_cmp_le_i64_e32 vcc_lo, s[12:13], v[48:49]
	v_cmp_lt_u64_e64 s0, 0xffff, v[48:49]
	v_add_co_u32 v16, s1, s28, v58
	s_delay_alu instid0(VALU_DEP_1)
	v_add_co_ci_u32_e64 v17, null, s29, 0, s1
	s_clause 0x3
	global_store_b128 v[16:17], v[8:11], off
	global_store_b128 v[16:17], v[4:7], off offset:16
	global_store_b128 v[16:17], v[12:15], off offset:32
	;; [unrolled: 1-line block ×3, first 2 shown]
	s_or_b32 s0, vcc_lo, s0
	s_add_u32 s22, s22, s5
	s_addc_u32 s23, s23, 0
	s_add_u32 s28, s28, s5
	s_addc_u32 s29, s29, 0
	;; [unrolled: 2-line block ×3, first 2 shown]
	v_add_co_u32 v48, vcc_lo, v48, s3
	s_add_u32 s26, s26, s5
	s_addc_u32 s27, s27, 0
	v_add_co_ci_u32_e32 v49, vcc_lo, 0, v49, vcc_lo
	s_and_b32 s0, exec_lo, s0
	s_delay_alu instid0(SALU_CYCLE_1) | instskip(NEXT) | instid1(SALU_CYCLE_1)
	s_or_b32 s2, s0, s2
	s_and_not1_b32 exec_lo, exec_lo, s2
	s_cbranch_execz .LBB117_193
.LBB117_114:                            ; =>This Inner Loop Header: Depth=1
	v_add_co_u32 v28, s0, s26, v58
	s_delay_alu instid0(VALU_DEP_1) | instskip(SKIP_1) | instid1(VALU_DEP_1)
	v_add_co_ci_u32_e64 v29, null, s27, 0, s0
	v_add_co_u32 v8, s0, s22, v58
	v_add_co_ci_u32_e64 v9, null, s23, 0, s0
	s_clause 0x1
	global_load_b128 v[44:47], v[28:29], off
	global_load_b128 v[36:39], v[28:29], off offset:16
	v_add_co_u32 v20, s0, s24, v58
	s_delay_alu instid0(VALU_DEP_1)
	v_add_co_ci_u32_e64 v21, null, s25, 0, s0
	s_clause 0x3
	global_load_b128 v[0:3], v[8:9], off offset:48
	global_load_b128 v[12:15], v[8:9], off offset:32
	;; [unrolled: 1-line block ×3, first 2 shown]
	global_load_b128 v[8:11], v[8:9], off
	s_clause 0x3
	global_load_b128 v[16:19], v[20:21], off offset:48
	global_load_b128 v[24:27], v[20:21], off offset:32
	;; [unrolled: 1-line block ×3, first 2 shown]
	global_load_b128 v[40:43], v[20:21], off
	s_clause 0x1
	global_load_b128 v[20:23], v[28:29], off offset:48
	global_load_b128 v[28:31], v[28:29], off offset:32
	s_waitcnt vmcnt(11)
	v_cmp_gt_f64_e32 vcc_lo, 0, v[44:45]
	v_xor_b32_e32 v50, 0x80000000, v45
	v_mov_b32_e32 v54, v44
	v_xor_b32_e32 v51, 0x80000000, v47
	s_delay_alu instid0(VALU_DEP_3) | instskip(SKIP_1) | instid1(VALU_DEP_3)
	v_dual_mov_b32 v56, v46 :: v_dual_cndmask_b32 v55, v45, v50
	v_cmp_gt_f64_e32 vcc_lo, 0, v[46:47]
	v_cndmask_b32_e32 v57, v47, v51, vcc_lo
	s_and_b32 vcc_lo, exec_lo, s4
	s_delay_alu instid0(VALU_DEP_1)
	v_cmp_ge_f64_e64 s0, v[54:55], v[56:57]
	s_cbranch_vccz .LBB117_124
; %bb.115:                              ;   in Loop: Header=BB117_114 Depth=1
                                        ; implicit-def: $vgpr50_vgpr51
                                        ; implicit-def: $vgpr52_vgpr53
	s_delay_alu instid0(VALU_DEP_1) | instskip(NEXT) | instid1(SALU_CYCLE_1)
	s_and_saveexec_b32 s1, s0
	s_xor_b32 s6, exec_lo, s1
	s_cbranch_execz .LBB117_121
; %bb.116:                              ;   in Loop: Header=BB117_114 Depth=1
	v_cmp_neq_f64_e32 vcc_lo, 0, v[44:45]
	v_cmp_neq_f64_e64 s1, 0, v[46:47]
                                        ; implicit-def: $vgpr50_vgpr51
                                        ; implicit-def: $vgpr52_vgpr53
	s_delay_alu instid0(VALU_DEP_1) | instskip(NEXT) | instid1(SALU_CYCLE_1)
	s_or_b32 s1, vcc_lo, s1
	s_and_saveexec_b32 s7, s1
	s_delay_alu instid0(SALU_CYCLE_1)
	s_xor_b32 s1, exec_lo, s7
	s_cbranch_execz .LBB117_118
; %bb.117:                              ;   in Loop: Header=BB117_114 Depth=1
	v_div_scale_f64 v[50:51], null, v[44:45], v[44:45], v[46:47]
	v_div_scale_f64 v[61:62], vcc_lo, v[46:47], v[44:45], v[46:47]
	s_delay_alu instid0(VALU_DEP_2) | instskip(SKIP_2) | instid1(VALU_DEP_1)
	v_rcp_f64_e32 v[52:53], v[50:51]
	s_waitcnt_depctr 0xfff
	v_fma_f64 v[59:60], -v[50:51], v[52:53], 1.0
	v_fma_f64 v[52:53], v[52:53], v[59:60], v[52:53]
	s_delay_alu instid0(VALU_DEP_1) | instskip(NEXT) | instid1(VALU_DEP_1)
	v_fma_f64 v[59:60], -v[50:51], v[52:53], 1.0
	v_fma_f64 v[52:53], v[52:53], v[59:60], v[52:53]
	s_delay_alu instid0(VALU_DEP_1) | instskip(NEXT) | instid1(VALU_DEP_1)
	v_mul_f64 v[59:60], v[61:62], v[52:53]
	v_fma_f64 v[50:51], -v[50:51], v[59:60], v[61:62]
	s_delay_alu instid0(VALU_DEP_1) | instskip(NEXT) | instid1(VALU_DEP_1)
	v_div_fmas_f64 v[50:51], v[50:51], v[52:53], v[59:60]
	v_div_fixup_f64 v[50:51], v[50:51], v[44:45], v[46:47]
	s_delay_alu instid0(VALU_DEP_1) | instskip(NEXT) | instid1(VALU_DEP_1)
	v_fma_f64 v[52:53], v[46:47], v[50:51], v[44:45]
	v_div_scale_f64 v[59:60], null, v[52:53], v[52:53], 1.0
	v_div_scale_f64 v[65:66], vcc_lo, 1.0, v[52:53], 1.0
	s_delay_alu instid0(VALU_DEP_2) | instskip(SKIP_2) | instid1(VALU_DEP_1)
	v_rcp_f64_e32 v[61:62], v[59:60]
	s_waitcnt_depctr 0xfff
	v_fma_f64 v[63:64], -v[59:60], v[61:62], 1.0
	v_fma_f64 v[61:62], v[61:62], v[63:64], v[61:62]
	s_delay_alu instid0(VALU_DEP_1) | instskip(NEXT) | instid1(VALU_DEP_1)
	v_fma_f64 v[63:64], -v[59:60], v[61:62], 1.0
	v_fma_f64 v[61:62], v[61:62], v[63:64], v[61:62]
	s_delay_alu instid0(VALU_DEP_1) | instskip(NEXT) | instid1(VALU_DEP_1)
	v_mul_f64 v[63:64], v[65:66], v[61:62]
	v_fma_f64 v[59:60], -v[59:60], v[63:64], v[65:66]
	s_delay_alu instid0(VALU_DEP_1) | instskip(SKIP_3) | instid1(VALU_DEP_3)
	v_div_fmas_f64 v[59:60], v[59:60], v[61:62], v[63:64]
	s_waitcnt vmcnt(2)
	v_fma_f64 v[61:62], v[42:43], v[50:51], v[40:41]
	v_fma_f64 v[50:51], -v[40:41], v[50:51], v[42:43]
	v_div_fixup_f64 v[59:60], v[59:60], v[52:53], 1.0
	s_delay_alu instid0(VALU_DEP_1) | instskip(NEXT) | instid1(VALU_DEP_3)
	v_mul_f64 v[52:53], v[61:62], v[59:60]
	v_mul_f64 v[50:51], v[50:51], v[59:60]
.LBB117_118:                            ;   in Loop: Header=BB117_114 Depth=1
	s_and_not1_saveexec_b32 s7, s1
	s_cbranch_execz .LBB117_120
; %bb.119:                              ;   in Loop: Header=BB117_114 Depth=1
	s_waitcnt vmcnt(2)
	v_div_scale_f64 v[50:51], null, v[54:55], v[54:55], v[40:41]
	v_div_scale_f64 v[52:53], null, v[56:57], v[56:57], v[42:43]
	v_div_scale_f64 v[67:68], vcc_lo, v[40:41], v[54:55], v[40:41]
	s_delay_alu instid0(VALU_DEP_3) | instskip(NEXT) | instid1(VALU_DEP_2)
	v_rcp_f64_e32 v[59:60], v[50:51]
	v_rcp_f64_e32 v[61:62], v[52:53]
	s_waitcnt_depctr 0xfff
	v_fma_f64 v[63:64], -v[50:51], v[59:60], 1.0
	v_fma_f64 v[65:66], -v[52:53], v[61:62], 1.0
	s_delay_alu instid0(VALU_DEP_2) | instskip(NEXT) | instid1(VALU_DEP_2)
	v_fma_f64 v[59:60], v[59:60], v[63:64], v[59:60]
	v_fma_f64 v[61:62], v[61:62], v[65:66], v[61:62]
	s_delay_alu instid0(VALU_DEP_2) | instskip(NEXT) | instid1(VALU_DEP_2)
	v_fma_f64 v[63:64], -v[50:51], v[59:60], 1.0
	v_fma_f64 v[65:66], -v[52:53], v[61:62], 1.0
	s_delay_alu instid0(VALU_DEP_2) | instskip(SKIP_1) | instid1(VALU_DEP_3)
	v_fma_f64 v[59:60], v[59:60], v[63:64], v[59:60]
	v_div_scale_f64 v[63:64], s1, v[42:43], v[56:57], v[42:43]
	v_fma_f64 v[61:62], v[61:62], v[65:66], v[61:62]
	s_delay_alu instid0(VALU_DEP_3) | instskip(NEXT) | instid1(VALU_DEP_2)
	v_mul_f64 v[65:66], v[67:68], v[59:60]
	v_mul_f64 v[69:70], v[63:64], v[61:62]
	s_delay_alu instid0(VALU_DEP_2) | instskip(NEXT) | instid1(VALU_DEP_2)
	v_fma_f64 v[50:51], -v[50:51], v[65:66], v[67:68]
	v_fma_f64 v[52:53], -v[52:53], v[69:70], v[63:64]
	s_delay_alu instid0(VALU_DEP_2) | instskip(SKIP_1) | instid1(VALU_DEP_2)
	v_div_fmas_f64 v[50:51], v[50:51], v[59:60], v[65:66]
	s_mov_b32 vcc_lo, s1
	v_div_fmas_f64 v[59:60], v[52:53], v[61:62], v[69:70]
	s_delay_alu instid0(VALU_DEP_2) | instskip(NEXT) | instid1(VALU_DEP_2)
	v_div_fixup_f64 v[52:53], v[50:51], v[54:55], v[40:41]
	v_div_fixup_f64 v[50:51], v[59:60], v[56:57], v[42:43]
.LBB117_120:                            ;   in Loop: Header=BB117_114 Depth=1
	s_or_b32 exec_lo, exec_lo, s7
.LBB117_121:                            ;   in Loop: Header=BB117_114 Depth=1
	s_and_not1_saveexec_b32 s1, s6
	s_cbranch_execz .LBB117_123
; %bb.122:                              ;   in Loop: Header=BB117_114 Depth=1
	v_div_scale_f64 v[50:51], null, v[46:47], v[46:47], v[44:45]
	v_div_scale_f64 v[61:62], vcc_lo, v[44:45], v[46:47], v[44:45]
	s_delay_alu instid0(VALU_DEP_2) | instskip(SKIP_2) | instid1(VALU_DEP_1)
	v_rcp_f64_e32 v[52:53], v[50:51]
	s_waitcnt_depctr 0xfff
	v_fma_f64 v[59:60], -v[50:51], v[52:53], 1.0
	v_fma_f64 v[52:53], v[52:53], v[59:60], v[52:53]
	s_delay_alu instid0(VALU_DEP_1) | instskip(NEXT) | instid1(VALU_DEP_1)
	v_fma_f64 v[59:60], -v[50:51], v[52:53], 1.0
	v_fma_f64 v[52:53], v[52:53], v[59:60], v[52:53]
	s_delay_alu instid0(VALU_DEP_1) | instskip(NEXT) | instid1(VALU_DEP_1)
	v_mul_f64 v[59:60], v[61:62], v[52:53]
	v_fma_f64 v[50:51], -v[50:51], v[59:60], v[61:62]
	s_delay_alu instid0(VALU_DEP_1) | instskip(NEXT) | instid1(VALU_DEP_1)
	v_div_fmas_f64 v[50:51], v[50:51], v[52:53], v[59:60]
	v_div_fixup_f64 v[50:51], v[50:51], v[46:47], v[44:45]
	s_delay_alu instid0(VALU_DEP_1) | instskip(NEXT) | instid1(VALU_DEP_1)
	v_fma_f64 v[52:53], v[44:45], v[50:51], v[46:47]
	v_div_scale_f64 v[59:60], null, v[52:53], v[52:53], 1.0
	v_div_scale_f64 v[65:66], vcc_lo, 1.0, v[52:53], 1.0
	s_delay_alu instid0(VALU_DEP_2) | instskip(SKIP_2) | instid1(VALU_DEP_1)
	v_rcp_f64_e32 v[61:62], v[59:60]
	s_waitcnt_depctr 0xfff
	v_fma_f64 v[63:64], -v[59:60], v[61:62], 1.0
	v_fma_f64 v[61:62], v[61:62], v[63:64], v[61:62]
	s_delay_alu instid0(VALU_DEP_1) | instskip(NEXT) | instid1(VALU_DEP_1)
	v_fma_f64 v[63:64], -v[59:60], v[61:62], 1.0
	v_fma_f64 v[61:62], v[61:62], v[63:64], v[61:62]
	s_delay_alu instid0(VALU_DEP_1) | instskip(NEXT) | instid1(VALU_DEP_1)
	v_mul_f64 v[63:64], v[65:66], v[61:62]
	v_fma_f64 v[59:60], -v[59:60], v[63:64], v[65:66]
	s_delay_alu instid0(VALU_DEP_1) | instskip(SKIP_3) | instid1(VALU_DEP_3)
	v_div_fmas_f64 v[59:60], v[59:60], v[61:62], v[63:64]
	s_waitcnt vmcnt(2)
	v_fma_f64 v[61:62], v[40:41], v[50:51], v[42:43]
	v_fma_f64 v[50:51], v[42:43], v[50:51], -v[40:41]
	v_div_fixup_f64 v[59:60], v[59:60], v[52:53], 1.0
	s_delay_alu instid0(VALU_DEP_1) | instskip(NEXT) | instid1(VALU_DEP_3)
	v_mul_f64 v[52:53], v[61:62], v[59:60]
	v_mul_f64 v[50:51], v[50:51], v[59:60]
.LBB117_123:                            ;   in Loop: Header=BB117_114 Depth=1
	s_or_b32 exec_lo, exec_lo, s1
	s_delay_alu instid0(VALU_DEP_1) | instskip(SKIP_1) | instid1(VALU_DEP_2)
	v_mul_f64 v[59:60], s[10:11], v[50:51]
	v_mul_f64 v[61:62], s[8:9], v[50:51]
	v_fma_f64 v[50:51], s[8:9], v[52:53], -v[59:60]
	s_delay_alu instid0(VALU_DEP_2)
	v_fma_f64 v[52:53], s[10:11], v[52:53], v[61:62]
	s_branch .LBB117_134
.LBB117_124:                            ;   in Loop: Header=BB117_114 Depth=1
                                        ; implicit-def: $vgpr52_vgpr53
                                        ; implicit-def: $vgpr50_vgpr51
	s_cbranch_execz .LBB117_134
; %bb.125:                              ;   in Loop: Header=BB117_114 Depth=1
                                        ; implicit-def: $vgpr52_vgpr53
                                        ; implicit-def: $vgpr50_vgpr51
	s_delay_alu instid0(VALU_DEP_1) | instskip(NEXT) | instid1(SALU_CYCLE_1)
	s_and_saveexec_b32 s1, s0
	s_xor_b32 s1, exec_lo, s1
	s_cbranch_execz .LBB117_131
; %bb.126:                              ;   in Loop: Header=BB117_114 Depth=1
	v_cmp_neq_f64_e32 vcc_lo, 0, v[44:45]
	v_cmp_neq_f64_e64 s0, 0, v[46:47]
                                        ; implicit-def: $vgpr52_vgpr53
                                        ; implicit-def: $vgpr50_vgpr51
	s_delay_alu instid0(VALU_DEP_1) | instskip(NEXT) | instid1(SALU_CYCLE_1)
	s_or_b32 s0, vcc_lo, s0
	s_and_saveexec_b32 s6, s0
	s_delay_alu instid0(SALU_CYCLE_1)
	s_xor_b32 s0, exec_lo, s6
	s_cbranch_execz .LBB117_128
; %bb.127:                              ;   in Loop: Header=BB117_114 Depth=1
	v_div_scale_f64 v[50:51], null, v[44:45], v[44:45], v[46:47]
	v_div_scale_f64 v[56:57], vcc_lo, v[46:47], v[44:45], v[46:47]
	s_delay_alu instid0(VALU_DEP_2) | instskip(SKIP_2) | instid1(VALU_DEP_1)
	v_rcp_f64_e32 v[52:53], v[50:51]
	s_waitcnt_depctr 0xfff
	v_fma_f64 v[54:55], -v[50:51], v[52:53], 1.0
	v_fma_f64 v[52:53], v[52:53], v[54:55], v[52:53]
	s_delay_alu instid0(VALU_DEP_1) | instskip(NEXT) | instid1(VALU_DEP_1)
	v_fma_f64 v[54:55], -v[50:51], v[52:53], 1.0
	v_fma_f64 v[52:53], v[52:53], v[54:55], v[52:53]
	s_delay_alu instid0(VALU_DEP_1) | instskip(NEXT) | instid1(VALU_DEP_1)
	v_mul_f64 v[54:55], v[56:57], v[52:53]
	v_fma_f64 v[50:51], -v[50:51], v[54:55], v[56:57]
	s_delay_alu instid0(VALU_DEP_1) | instskip(NEXT) | instid1(VALU_DEP_1)
	v_div_fmas_f64 v[50:51], v[50:51], v[52:53], v[54:55]
	v_div_fixup_f64 v[50:51], v[50:51], v[44:45], v[46:47]
	s_delay_alu instid0(VALU_DEP_1) | instskip(NEXT) | instid1(VALU_DEP_1)
	v_fma_f64 v[44:45], v[46:47], v[50:51], v[44:45]
	v_div_scale_f64 v[46:47], null, v[44:45], v[44:45], 1.0
	v_div_scale_f64 v[56:57], vcc_lo, 1.0, v[44:45], 1.0
	s_delay_alu instid0(VALU_DEP_2) | instskip(SKIP_2) | instid1(VALU_DEP_1)
	v_rcp_f64_e32 v[52:53], v[46:47]
	s_waitcnt_depctr 0xfff
	v_fma_f64 v[54:55], -v[46:47], v[52:53], 1.0
	v_fma_f64 v[52:53], v[52:53], v[54:55], v[52:53]
	s_delay_alu instid0(VALU_DEP_1) | instskip(NEXT) | instid1(VALU_DEP_1)
	v_fma_f64 v[54:55], -v[46:47], v[52:53], 1.0
	v_fma_f64 v[52:53], v[52:53], v[54:55], v[52:53]
	s_delay_alu instid0(VALU_DEP_1) | instskip(NEXT) | instid1(VALU_DEP_1)
	v_mul_f64 v[54:55], v[56:57], v[52:53]
	v_fma_f64 v[46:47], -v[46:47], v[54:55], v[56:57]
                                        ; implicit-def: $vgpr56_vgpr57
	s_delay_alu instid0(VALU_DEP_1) | instskip(SKIP_3) | instid1(VALU_DEP_3)
	v_div_fmas_f64 v[46:47], v[46:47], v[52:53], v[54:55]
	s_waitcnt vmcnt(2)
	v_fma_f64 v[52:53], v[42:43], v[50:51], v[40:41]
	v_fma_f64 v[40:41], -v[40:41], v[50:51], v[42:43]
                                        ; implicit-def: $vgpr54_vgpr55
	v_div_fixup_f64 v[44:45], v[46:47], v[44:45], 1.0
	s_delay_alu instid0(VALU_DEP_1) | instskip(NEXT) | instid1(VALU_DEP_3)
	v_mul_f64 v[50:51], v[52:53], v[44:45]
	v_mul_f64 v[52:53], v[40:41], v[44:45]
                                        ; implicit-def: $vgpr40_vgpr41
.LBB117_128:                            ;   in Loop: Header=BB117_114 Depth=1
	s_and_not1_saveexec_b32 s6, s0
	s_cbranch_execz .LBB117_130
; %bb.129:                              ;   in Loop: Header=BB117_114 Depth=1
	s_waitcnt vmcnt(2)
	v_div_scale_f64 v[44:45], null, v[54:55], v[54:55], v[40:41]
	v_div_scale_f64 v[46:47], null, v[56:57], v[56:57], v[42:43]
	v_div_scale_f64 v[63:64], vcc_lo, v[40:41], v[54:55], v[40:41]
	s_delay_alu instid0(VALU_DEP_3) | instskip(NEXT) | instid1(VALU_DEP_2)
	v_rcp_f64_e32 v[50:51], v[44:45]
	v_rcp_f64_e32 v[52:53], v[46:47]
	s_waitcnt_depctr 0xfff
	v_fma_f64 v[59:60], -v[44:45], v[50:51], 1.0
	v_fma_f64 v[61:62], -v[46:47], v[52:53], 1.0
	s_delay_alu instid0(VALU_DEP_2) | instskip(NEXT) | instid1(VALU_DEP_2)
	v_fma_f64 v[50:51], v[50:51], v[59:60], v[50:51]
	v_fma_f64 v[52:53], v[52:53], v[61:62], v[52:53]
	s_delay_alu instid0(VALU_DEP_2) | instskip(NEXT) | instid1(VALU_DEP_2)
	v_fma_f64 v[59:60], -v[44:45], v[50:51], 1.0
	v_fma_f64 v[61:62], -v[46:47], v[52:53], 1.0
	s_delay_alu instid0(VALU_DEP_2) | instskip(SKIP_1) | instid1(VALU_DEP_3)
	v_fma_f64 v[50:51], v[50:51], v[59:60], v[50:51]
	v_div_scale_f64 v[59:60], s0, v[42:43], v[56:57], v[42:43]
	v_fma_f64 v[52:53], v[52:53], v[61:62], v[52:53]
	s_delay_alu instid0(VALU_DEP_3) | instskip(NEXT) | instid1(VALU_DEP_2)
	v_mul_f64 v[61:62], v[63:64], v[50:51]
	v_mul_f64 v[65:66], v[59:60], v[52:53]
	s_delay_alu instid0(VALU_DEP_2) | instskip(NEXT) | instid1(VALU_DEP_2)
	v_fma_f64 v[44:45], -v[44:45], v[61:62], v[63:64]
	v_fma_f64 v[46:47], -v[46:47], v[65:66], v[59:60]
	s_delay_alu instid0(VALU_DEP_2) | instskip(SKIP_1) | instid1(VALU_DEP_2)
	v_div_fmas_f64 v[44:45], v[44:45], v[50:51], v[61:62]
	s_mov_b32 vcc_lo, s0
	v_div_fmas_f64 v[46:47], v[46:47], v[52:53], v[65:66]
	s_delay_alu instid0(VALU_DEP_2) | instskip(NEXT) | instid1(VALU_DEP_2)
	v_div_fixup_f64 v[50:51], v[44:45], v[54:55], v[40:41]
	v_div_fixup_f64 v[52:53], v[46:47], v[56:57], v[42:43]
.LBB117_130:                            ;   in Loop: Header=BB117_114 Depth=1
	s_or_b32 exec_lo, exec_lo, s6
                                        ; implicit-def: $vgpr46_vgpr47
                                        ; implicit-def: $vgpr40_vgpr41
.LBB117_131:                            ;   in Loop: Header=BB117_114 Depth=1
	s_and_not1_saveexec_b32 s0, s1
	s_cbranch_execz .LBB117_133
; %bb.132:                              ;   in Loop: Header=BB117_114 Depth=1
	v_div_scale_f64 v[50:51], null, v[46:47], v[46:47], v[44:45]
	v_div_scale_f64 v[56:57], vcc_lo, v[44:45], v[46:47], v[44:45]
	s_delay_alu instid0(VALU_DEP_2) | instskip(SKIP_2) | instid1(VALU_DEP_1)
	v_rcp_f64_e32 v[52:53], v[50:51]
	s_waitcnt_depctr 0xfff
	v_fma_f64 v[54:55], -v[50:51], v[52:53], 1.0
	v_fma_f64 v[52:53], v[52:53], v[54:55], v[52:53]
	s_delay_alu instid0(VALU_DEP_1) | instskip(NEXT) | instid1(VALU_DEP_1)
	v_fma_f64 v[54:55], -v[50:51], v[52:53], 1.0
	v_fma_f64 v[52:53], v[52:53], v[54:55], v[52:53]
	s_delay_alu instid0(VALU_DEP_1) | instskip(NEXT) | instid1(VALU_DEP_1)
	v_mul_f64 v[54:55], v[56:57], v[52:53]
	v_fma_f64 v[50:51], -v[50:51], v[54:55], v[56:57]
	s_delay_alu instid0(VALU_DEP_1) | instskip(NEXT) | instid1(VALU_DEP_1)
	v_div_fmas_f64 v[50:51], v[50:51], v[52:53], v[54:55]
	v_div_fixup_f64 v[50:51], v[50:51], v[46:47], v[44:45]
	s_delay_alu instid0(VALU_DEP_1) | instskip(NEXT) | instid1(VALU_DEP_1)
	v_fma_f64 v[44:45], v[44:45], v[50:51], v[46:47]
	v_div_scale_f64 v[46:47], null, v[44:45], v[44:45], 1.0
	v_div_scale_f64 v[56:57], vcc_lo, 1.0, v[44:45], 1.0
	s_delay_alu instid0(VALU_DEP_2) | instskip(SKIP_2) | instid1(VALU_DEP_1)
	v_rcp_f64_e32 v[52:53], v[46:47]
	s_waitcnt_depctr 0xfff
	v_fma_f64 v[54:55], -v[46:47], v[52:53], 1.0
	v_fma_f64 v[52:53], v[52:53], v[54:55], v[52:53]
	s_delay_alu instid0(VALU_DEP_1) | instskip(NEXT) | instid1(VALU_DEP_1)
	v_fma_f64 v[54:55], -v[46:47], v[52:53], 1.0
	v_fma_f64 v[52:53], v[52:53], v[54:55], v[52:53]
	s_delay_alu instid0(VALU_DEP_1) | instskip(NEXT) | instid1(VALU_DEP_1)
	v_mul_f64 v[54:55], v[56:57], v[52:53]
	v_fma_f64 v[46:47], -v[46:47], v[54:55], v[56:57]
	s_delay_alu instid0(VALU_DEP_1) | instskip(SKIP_3) | instid1(VALU_DEP_3)
	v_div_fmas_f64 v[46:47], v[46:47], v[52:53], v[54:55]
	s_waitcnt vmcnt(2)
	v_fma_f64 v[52:53], v[40:41], v[50:51], v[42:43]
	v_fma_f64 v[40:41], v[42:43], v[50:51], -v[40:41]
	v_div_fixup_f64 v[44:45], v[46:47], v[44:45], 1.0
	s_delay_alu instid0(VALU_DEP_1) | instskip(NEXT) | instid1(VALU_DEP_3)
	v_mul_f64 v[50:51], v[52:53], v[44:45]
	v_mul_f64 v[52:53], v[40:41], v[44:45]
.LBB117_133:                            ;   in Loop: Header=BB117_114 Depth=1
	s_or_b32 exec_lo, exec_lo, s0
.LBB117_134:                            ;   in Loop: Header=BB117_114 Depth=1
	s_waitcnt vmcnt(10)
	v_cmp_gt_f64_e32 vcc_lo, 0, v[36:37]
	s_waitcnt vmcnt(2)
	v_xor_b32_e32 v40, 0x80000000, v37
	v_mov_b32_e32 v44, v36
	v_xor_b32_e32 v41, 0x80000000, v39
	s_delay_alu instid0(VALU_DEP_3) | instskip(SKIP_1) | instid1(VALU_DEP_3)
	v_dual_mov_b32 v46, v38 :: v_dual_cndmask_b32 v45, v37, v40
	v_cmp_gt_f64_e32 vcc_lo, 0, v[38:39]
	v_cndmask_b32_e32 v47, v39, v41, vcc_lo
	s_and_not1_b32 vcc_lo, exec_lo, s4
	s_delay_alu instid0(VALU_DEP_1)
	v_cmp_ge_f64_e64 s0, v[44:45], v[46:47]
	s_cbranch_vccnz .LBB117_144
; %bb.135:                              ;   in Loop: Header=BB117_114 Depth=1
                                        ; implicit-def: $vgpr40_vgpr41
                                        ; implicit-def: $vgpr42_vgpr43
	s_delay_alu instid0(VALU_DEP_1) | instskip(NEXT) | instid1(SALU_CYCLE_1)
	s_and_saveexec_b32 s1, s0
	s_xor_b32 s6, exec_lo, s1
	s_cbranch_execz .LBB117_141
; %bb.136:                              ;   in Loop: Header=BB117_114 Depth=1
	v_cmp_neq_f64_e32 vcc_lo, 0, v[36:37]
	v_cmp_neq_f64_e64 s1, 0, v[38:39]
                                        ; implicit-def: $vgpr40_vgpr41
                                        ; implicit-def: $vgpr42_vgpr43
	s_delay_alu instid0(VALU_DEP_1) | instskip(NEXT) | instid1(SALU_CYCLE_1)
	s_or_b32 s1, vcc_lo, s1
	s_and_saveexec_b32 s7, s1
	s_delay_alu instid0(SALU_CYCLE_1)
	s_xor_b32 s1, exec_lo, s7
	s_cbranch_execz .LBB117_138
; %bb.137:                              ;   in Loop: Header=BB117_114 Depth=1
	v_div_scale_f64 v[40:41], null, v[36:37], v[36:37], v[38:39]
	v_div_scale_f64 v[56:57], vcc_lo, v[38:39], v[36:37], v[38:39]
	s_delay_alu instid0(VALU_DEP_2) | instskip(SKIP_2) | instid1(VALU_DEP_1)
	v_rcp_f64_e32 v[42:43], v[40:41]
	s_waitcnt_depctr 0xfff
	v_fma_f64 v[54:55], -v[40:41], v[42:43], 1.0
	v_fma_f64 v[42:43], v[42:43], v[54:55], v[42:43]
	s_delay_alu instid0(VALU_DEP_1) | instskip(NEXT) | instid1(VALU_DEP_1)
	v_fma_f64 v[54:55], -v[40:41], v[42:43], 1.0
	v_fma_f64 v[42:43], v[42:43], v[54:55], v[42:43]
	s_delay_alu instid0(VALU_DEP_1) | instskip(NEXT) | instid1(VALU_DEP_1)
	v_mul_f64 v[54:55], v[56:57], v[42:43]
	v_fma_f64 v[40:41], -v[40:41], v[54:55], v[56:57]
	s_delay_alu instid0(VALU_DEP_1) | instskip(NEXT) | instid1(VALU_DEP_1)
	v_div_fmas_f64 v[40:41], v[40:41], v[42:43], v[54:55]
	v_div_fixup_f64 v[40:41], v[40:41], v[36:37], v[38:39]
	s_delay_alu instid0(VALU_DEP_1) | instskip(NEXT) | instid1(VALU_DEP_1)
	v_fma_f64 v[42:43], v[38:39], v[40:41], v[36:37]
	v_div_scale_f64 v[54:55], null, v[42:43], v[42:43], 1.0
	v_div_scale_f64 v[61:62], vcc_lo, 1.0, v[42:43], 1.0
	s_delay_alu instid0(VALU_DEP_2) | instskip(SKIP_2) | instid1(VALU_DEP_1)
	v_rcp_f64_e32 v[56:57], v[54:55]
	s_waitcnt_depctr 0xfff
	v_fma_f64 v[59:60], -v[54:55], v[56:57], 1.0
	v_fma_f64 v[56:57], v[56:57], v[59:60], v[56:57]
	s_delay_alu instid0(VALU_DEP_1) | instskip(NEXT) | instid1(VALU_DEP_1)
	v_fma_f64 v[59:60], -v[54:55], v[56:57], 1.0
	v_fma_f64 v[56:57], v[56:57], v[59:60], v[56:57]
	s_delay_alu instid0(VALU_DEP_1) | instskip(NEXT) | instid1(VALU_DEP_1)
	v_mul_f64 v[59:60], v[61:62], v[56:57]
	v_fma_f64 v[54:55], -v[54:55], v[59:60], v[61:62]
	s_delay_alu instid0(VALU_DEP_1) | instskip(SKIP_2) | instid1(VALU_DEP_3)
	v_div_fmas_f64 v[54:55], v[54:55], v[56:57], v[59:60]
	v_fma_f64 v[56:57], v[34:35], v[40:41], v[32:33]
	v_fma_f64 v[40:41], -v[32:33], v[40:41], v[34:35]
	v_div_fixup_f64 v[54:55], v[54:55], v[42:43], 1.0
	s_delay_alu instid0(VALU_DEP_1) | instskip(NEXT) | instid1(VALU_DEP_3)
	v_mul_f64 v[42:43], v[56:57], v[54:55]
	v_mul_f64 v[40:41], v[40:41], v[54:55]
.LBB117_138:                            ;   in Loop: Header=BB117_114 Depth=1
	s_and_not1_saveexec_b32 s7, s1
	s_cbranch_execz .LBB117_140
; %bb.139:                              ;   in Loop: Header=BB117_114 Depth=1
	v_div_scale_f64 v[40:41], null, v[44:45], v[44:45], v[32:33]
	v_div_scale_f64 v[42:43], null, v[46:47], v[46:47], v[34:35]
	v_div_scale_f64 v[63:64], vcc_lo, v[32:33], v[44:45], v[32:33]
	s_delay_alu instid0(VALU_DEP_3) | instskip(NEXT) | instid1(VALU_DEP_2)
	v_rcp_f64_e32 v[54:55], v[40:41]
	v_rcp_f64_e32 v[56:57], v[42:43]
	s_waitcnt_depctr 0xfff
	v_fma_f64 v[59:60], -v[40:41], v[54:55], 1.0
	v_fma_f64 v[61:62], -v[42:43], v[56:57], 1.0
	s_delay_alu instid0(VALU_DEP_2) | instskip(NEXT) | instid1(VALU_DEP_2)
	v_fma_f64 v[54:55], v[54:55], v[59:60], v[54:55]
	v_fma_f64 v[56:57], v[56:57], v[61:62], v[56:57]
	s_delay_alu instid0(VALU_DEP_2) | instskip(NEXT) | instid1(VALU_DEP_2)
	v_fma_f64 v[59:60], -v[40:41], v[54:55], 1.0
	v_fma_f64 v[61:62], -v[42:43], v[56:57], 1.0
	s_delay_alu instid0(VALU_DEP_2) | instskip(SKIP_1) | instid1(VALU_DEP_3)
	v_fma_f64 v[54:55], v[54:55], v[59:60], v[54:55]
	v_div_scale_f64 v[59:60], s1, v[34:35], v[46:47], v[34:35]
	v_fma_f64 v[56:57], v[56:57], v[61:62], v[56:57]
	s_delay_alu instid0(VALU_DEP_3) | instskip(NEXT) | instid1(VALU_DEP_2)
	v_mul_f64 v[61:62], v[63:64], v[54:55]
	v_mul_f64 v[65:66], v[59:60], v[56:57]
	s_delay_alu instid0(VALU_DEP_2) | instskip(NEXT) | instid1(VALU_DEP_2)
	v_fma_f64 v[40:41], -v[40:41], v[61:62], v[63:64]
	v_fma_f64 v[42:43], -v[42:43], v[65:66], v[59:60]
	s_delay_alu instid0(VALU_DEP_2) | instskip(SKIP_1) | instid1(VALU_DEP_2)
	v_div_fmas_f64 v[40:41], v[40:41], v[54:55], v[61:62]
	s_mov_b32 vcc_lo, s1
	v_div_fmas_f64 v[54:55], v[42:43], v[56:57], v[65:66]
	s_delay_alu instid0(VALU_DEP_2) | instskip(NEXT) | instid1(VALU_DEP_2)
	v_div_fixup_f64 v[42:43], v[40:41], v[44:45], v[32:33]
	v_div_fixup_f64 v[40:41], v[54:55], v[46:47], v[34:35]
.LBB117_140:                            ;   in Loop: Header=BB117_114 Depth=1
	s_or_b32 exec_lo, exec_lo, s7
.LBB117_141:                            ;   in Loop: Header=BB117_114 Depth=1
	s_and_not1_saveexec_b32 s1, s6
	s_cbranch_execz .LBB117_143
; %bb.142:                              ;   in Loop: Header=BB117_114 Depth=1
	v_div_scale_f64 v[40:41], null, v[38:39], v[38:39], v[36:37]
	v_div_scale_f64 v[56:57], vcc_lo, v[36:37], v[38:39], v[36:37]
	s_delay_alu instid0(VALU_DEP_2) | instskip(SKIP_2) | instid1(VALU_DEP_1)
	v_rcp_f64_e32 v[42:43], v[40:41]
	s_waitcnt_depctr 0xfff
	v_fma_f64 v[54:55], -v[40:41], v[42:43], 1.0
	v_fma_f64 v[42:43], v[42:43], v[54:55], v[42:43]
	s_delay_alu instid0(VALU_DEP_1) | instskip(NEXT) | instid1(VALU_DEP_1)
	v_fma_f64 v[54:55], -v[40:41], v[42:43], 1.0
	v_fma_f64 v[42:43], v[42:43], v[54:55], v[42:43]
	s_delay_alu instid0(VALU_DEP_1) | instskip(NEXT) | instid1(VALU_DEP_1)
	v_mul_f64 v[54:55], v[56:57], v[42:43]
	v_fma_f64 v[40:41], -v[40:41], v[54:55], v[56:57]
	s_delay_alu instid0(VALU_DEP_1) | instskip(NEXT) | instid1(VALU_DEP_1)
	v_div_fmas_f64 v[40:41], v[40:41], v[42:43], v[54:55]
	v_div_fixup_f64 v[40:41], v[40:41], v[38:39], v[36:37]
	s_delay_alu instid0(VALU_DEP_1) | instskip(NEXT) | instid1(VALU_DEP_1)
	v_fma_f64 v[42:43], v[36:37], v[40:41], v[38:39]
	v_div_scale_f64 v[54:55], null, v[42:43], v[42:43], 1.0
	v_div_scale_f64 v[61:62], vcc_lo, 1.0, v[42:43], 1.0
	s_delay_alu instid0(VALU_DEP_2) | instskip(SKIP_2) | instid1(VALU_DEP_1)
	v_rcp_f64_e32 v[56:57], v[54:55]
	s_waitcnt_depctr 0xfff
	v_fma_f64 v[59:60], -v[54:55], v[56:57], 1.0
	v_fma_f64 v[56:57], v[56:57], v[59:60], v[56:57]
	s_delay_alu instid0(VALU_DEP_1) | instskip(NEXT) | instid1(VALU_DEP_1)
	v_fma_f64 v[59:60], -v[54:55], v[56:57], 1.0
	v_fma_f64 v[56:57], v[56:57], v[59:60], v[56:57]
	s_delay_alu instid0(VALU_DEP_1) | instskip(NEXT) | instid1(VALU_DEP_1)
	v_mul_f64 v[59:60], v[61:62], v[56:57]
	v_fma_f64 v[54:55], -v[54:55], v[59:60], v[61:62]
	s_delay_alu instid0(VALU_DEP_1) | instskip(SKIP_2) | instid1(VALU_DEP_3)
	v_div_fmas_f64 v[54:55], v[54:55], v[56:57], v[59:60]
	v_fma_f64 v[56:57], v[32:33], v[40:41], v[34:35]
	v_fma_f64 v[40:41], v[34:35], v[40:41], -v[32:33]
	v_div_fixup_f64 v[54:55], v[54:55], v[42:43], 1.0
	s_delay_alu instid0(VALU_DEP_1) | instskip(NEXT) | instid1(VALU_DEP_3)
	v_mul_f64 v[42:43], v[56:57], v[54:55]
	v_mul_f64 v[40:41], v[40:41], v[54:55]
.LBB117_143:                            ;   in Loop: Header=BB117_114 Depth=1
	s_or_b32 exec_lo, exec_lo, s1
	s_delay_alu instid0(VALU_DEP_1) | instskip(SKIP_1) | instid1(VALU_DEP_2)
	v_mul_f64 v[54:55], s[10:11], v[40:41]
	v_mul_f64 v[56:57], s[8:9], v[40:41]
	v_fma_f64 v[40:41], s[8:9], v[42:43], -v[54:55]
	s_delay_alu instid0(VALU_DEP_2)
	v_fma_f64 v[42:43], s[10:11], v[42:43], v[56:57]
	s_branch .LBB117_154
.LBB117_144:                            ;   in Loop: Header=BB117_114 Depth=1
                                        ; implicit-def: $vgpr42_vgpr43
                                        ; implicit-def: $vgpr40_vgpr41
	s_cbranch_execz .LBB117_154
; %bb.145:                              ;   in Loop: Header=BB117_114 Depth=1
                                        ; implicit-def: $vgpr42_vgpr43
                                        ; implicit-def: $vgpr40_vgpr41
	s_delay_alu instid0(VALU_DEP_1) | instskip(NEXT) | instid1(SALU_CYCLE_1)
	s_and_saveexec_b32 s1, s0
	s_xor_b32 s1, exec_lo, s1
	s_cbranch_execz .LBB117_151
; %bb.146:                              ;   in Loop: Header=BB117_114 Depth=1
	v_cmp_neq_f64_e32 vcc_lo, 0, v[36:37]
	v_cmp_neq_f64_e64 s0, 0, v[38:39]
                                        ; implicit-def: $vgpr42_vgpr43
                                        ; implicit-def: $vgpr40_vgpr41
	s_delay_alu instid0(VALU_DEP_1) | instskip(NEXT) | instid1(SALU_CYCLE_1)
	s_or_b32 s0, vcc_lo, s0
	s_and_saveexec_b32 s6, s0
	s_delay_alu instid0(SALU_CYCLE_1)
	s_xor_b32 s0, exec_lo, s6
	s_cbranch_execz .LBB117_148
; %bb.147:                              ;   in Loop: Header=BB117_114 Depth=1
	v_div_scale_f64 v[40:41], null, v[36:37], v[36:37], v[38:39]
	v_div_scale_f64 v[46:47], vcc_lo, v[38:39], v[36:37], v[38:39]
	s_delay_alu instid0(VALU_DEP_2) | instskip(SKIP_2) | instid1(VALU_DEP_1)
	v_rcp_f64_e32 v[42:43], v[40:41]
	s_waitcnt_depctr 0xfff
	v_fma_f64 v[44:45], -v[40:41], v[42:43], 1.0
	v_fma_f64 v[42:43], v[42:43], v[44:45], v[42:43]
	s_delay_alu instid0(VALU_DEP_1) | instskip(NEXT) | instid1(VALU_DEP_1)
	v_fma_f64 v[44:45], -v[40:41], v[42:43], 1.0
	v_fma_f64 v[42:43], v[42:43], v[44:45], v[42:43]
	s_delay_alu instid0(VALU_DEP_1) | instskip(NEXT) | instid1(VALU_DEP_1)
	v_mul_f64 v[44:45], v[46:47], v[42:43]
	v_fma_f64 v[40:41], -v[40:41], v[44:45], v[46:47]
	s_delay_alu instid0(VALU_DEP_1) | instskip(NEXT) | instid1(VALU_DEP_1)
	v_div_fmas_f64 v[40:41], v[40:41], v[42:43], v[44:45]
	v_div_fixup_f64 v[40:41], v[40:41], v[36:37], v[38:39]
	s_delay_alu instid0(VALU_DEP_1) | instskip(NEXT) | instid1(VALU_DEP_1)
	v_fma_f64 v[36:37], v[38:39], v[40:41], v[36:37]
	v_div_scale_f64 v[38:39], null, v[36:37], v[36:37], 1.0
	v_div_scale_f64 v[46:47], vcc_lo, 1.0, v[36:37], 1.0
	s_delay_alu instid0(VALU_DEP_2) | instskip(SKIP_2) | instid1(VALU_DEP_1)
	v_rcp_f64_e32 v[42:43], v[38:39]
	s_waitcnt_depctr 0xfff
	v_fma_f64 v[44:45], -v[38:39], v[42:43], 1.0
	v_fma_f64 v[42:43], v[42:43], v[44:45], v[42:43]
	s_delay_alu instid0(VALU_DEP_1) | instskip(NEXT) | instid1(VALU_DEP_1)
	v_fma_f64 v[44:45], -v[38:39], v[42:43], 1.0
	v_fma_f64 v[42:43], v[42:43], v[44:45], v[42:43]
	s_delay_alu instid0(VALU_DEP_1) | instskip(NEXT) | instid1(VALU_DEP_1)
	v_mul_f64 v[44:45], v[46:47], v[42:43]
	v_fma_f64 v[38:39], -v[38:39], v[44:45], v[46:47]
                                        ; implicit-def: $vgpr46_vgpr47
	s_delay_alu instid0(VALU_DEP_1) | instskip(SKIP_2) | instid1(VALU_DEP_3)
	v_div_fmas_f64 v[38:39], v[38:39], v[42:43], v[44:45]
	v_fma_f64 v[42:43], v[34:35], v[40:41], v[32:33]
	v_fma_f64 v[32:33], -v[32:33], v[40:41], v[34:35]
                                        ; implicit-def: $vgpr44_vgpr45
	v_div_fixup_f64 v[36:37], v[38:39], v[36:37], 1.0
	s_delay_alu instid0(VALU_DEP_1) | instskip(NEXT) | instid1(VALU_DEP_3)
	v_mul_f64 v[40:41], v[42:43], v[36:37]
	v_mul_f64 v[42:43], v[32:33], v[36:37]
                                        ; implicit-def: $vgpr32_vgpr33
.LBB117_148:                            ;   in Loop: Header=BB117_114 Depth=1
	s_and_not1_saveexec_b32 s6, s0
	s_cbranch_execz .LBB117_150
; %bb.149:                              ;   in Loop: Header=BB117_114 Depth=1
	v_div_scale_f64 v[36:37], null, v[44:45], v[44:45], v[32:33]
	v_div_scale_f64 v[38:39], null, v[46:47], v[46:47], v[34:35]
	v_div_scale_f64 v[59:60], vcc_lo, v[32:33], v[44:45], v[32:33]
	s_delay_alu instid0(VALU_DEP_3) | instskip(NEXT) | instid1(VALU_DEP_2)
	v_rcp_f64_e32 v[40:41], v[36:37]
	v_rcp_f64_e32 v[42:43], v[38:39]
	s_waitcnt_depctr 0xfff
	v_fma_f64 v[54:55], -v[36:37], v[40:41], 1.0
	v_fma_f64 v[56:57], -v[38:39], v[42:43], 1.0
	s_delay_alu instid0(VALU_DEP_2) | instskip(NEXT) | instid1(VALU_DEP_2)
	v_fma_f64 v[40:41], v[40:41], v[54:55], v[40:41]
	v_fma_f64 v[42:43], v[42:43], v[56:57], v[42:43]
	s_delay_alu instid0(VALU_DEP_2) | instskip(NEXT) | instid1(VALU_DEP_2)
	v_fma_f64 v[54:55], -v[36:37], v[40:41], 1.0
	v_fma_f64 v[56:57], -v[38:39], v[42:43], 1.0
	s_delay_alu instid0(VALU_DEP_2) | instskip(SKIP_1) | instid1(VALU_DEP_3)
	v_fma_f64 v[40:41], v[40:41], v[54:55], v[40:41]
	v_div_scale_f64 v[54:55], s0, v[34:35], v[46:47], v[34:35]
	v_fma_f64 v[42:43], v[42:43], v[56:57], v[42:43]
	s_delay_alu instid0(VALU_DEP_3) | instskip(NEXT) | instid1(VALU_DEP_2)
	v_mul_f64 v[56:57], v[59:60], v[40:41]
	v_mul_f64 v[61:62], v[54:55], v[42:43]
	s_delay_alu instid0(VALU_DEP_2) | instskip(NEXT) | instid1(VALU_DEP_2)
	v_fma_f64 v[36:37], -v[36:37], v[56:57], v[59:60]
	v_fma_f64 v[38:39], -v[38:39], v[61:62], v[54:55]
	s_delay_alu instid0(VALU_DEP_2) | instskip(SKIP_1) | instid1(VALU_DEP_2)
	v_div_fmas_f64 v[36:37], v[36:37], v[40:41], v[56:57]
	s_mov_b32 vcc_lo, s0
	v_div_fmas_f64 v[38:39], v[38:39], v[42:43], v[61:62]
	s_delay_alu instid0(VALU_DEP_2) | instskip(NEXT) | instid1(VALU_DEP_2)
	v_div_fixup_f64 v[40:41], v[36:37], v[44:45], v[32:33]
	v_div_fixup_f64 v[42:43], v[38:39], v[46:47], v[34:35]
.LBB117_150:                            ;   in Loop: Header=BB117_114 Depth=1
	s_or_b32 exec_lo, exec_lo, s6
                                        ; implicit-def: $vgpr38_vgpr39
                                        ; implicit-def: $vgpr32_vgpr33
.LBB117_151:                            ;   in Loop: Header=BB117_114 Depth=1
	s_and_not1_saveexec_b32 s0, s1
	s_cbranch_execz .LBB117_153
; %bb.152:                              ;   in Loop: Header=BB117_114 Depth=1
	v_div_scale_f64 v[40:41], null, v[38:39], v[38:39], v[36:37]
	v_div_scale_f64 v[46:47], vcc_lo, v[36:37], v[38:39], v[36:37]
	s_delay_alu instid0(VALU_DEP_2) | instskip(SKIP_2) | instid1(VALU_DEP_1)
	v_rcp_f64_e32 v[42:43], v[40:41]
	s_waitcnt_depctr 0xfff
	v_fma_f64 v[44:45], -v[40:41], v[42:43], 1.0
	v_fma_f64 v[42:43], v[42:43], v[44:45], v[42:43]
	s_delay_alu instid0(VALU_DEP_1) | instskip(NEXT) | instid1(VALU_DEP_1)
	v_fma_f64 v[44:45], -v[40:41], v[42:43], 1.0
	v_fma_f64 v[42:43], v[42:43], v[44:45], v[42:43]
	s_delay_alu instid0(VALU_DEP_1) | instskip(NEXT) | instid1(VALU_DEP_1)
	v_mul_f64 v[44:45], v[46:47], v[42:43]
	v_fma_f64 v[40:41], -v[40:41], v[44:45], v[46:47]
	s_delay_alu instid0(VALU_DEP_1) | instskip(NEXT) | instid1(VALU_DEP_1)
	v_div_fmas_f64 v[40:41], v[40:41], v[42:43], v[44:45]
	v_div_fixup_f64 v[40:41], v[40:41], v[38:39], v[36:37]
	s_delay_alu instid0(VALU_DEP_1) | instskip(NEXT) | instid1(VALU_DEP_1)
	v_fma_f64 v[36:37], v[36:37], v[40:41], v[38:39]
	v_div_scale_f64 v[38:39], null, v[36:37], v[36:37], 1.0
	v_div_scale_f64 v[46:47], vcc_lo, 1.0, v[36:37], 1.0
	s_delay_alu instid0(VALU_DEP_2) | instskip(SKIP_2) | instid1(VALU_DEP_1)
	v_rcp_f64_e32 v[42:43], v[38:39]
	s_waitcnt_depctr 0xfff
	v_fma_f64 v[44:45], -v[38:39], v[42:43], 1.0
	v_fma_f64 v[42:43], v[42:43], v[44:45], v[42:43]
	s_delay_alu instid0(VALU_DEP_1) | instskip(NEXT) | instid1(VALU_DEP_1)
	v_fma_f64 v[44:45], -v[38:39], v[42:43], 1.0
	v_fma_f64 v[42:43], v[42:43], v[44:45], v[42:43]
	s_delay_alu instid0(VALU_DEP_1) | instskip(NEXT) | instid1(VALU_DEP_1)
	v_mul_f64 v[44:45], v[46:47], v[42:43]
	v_fma_f64 v[38:39], -v[38:39], v[44:45], v[46:47]
	s_delay_alu instid0(VALU_DEP_1) | instskip(SKIP_2) | instid1(VALU_DEP_3)
	v_div_fmas_f64 v[38:39], v[38:39], v[42:43], v[44:45]
	v_fma_f64 v[42:43], v[32:33], v[40:41], v[34:35]
	v_fma_f64 v[32:33], v[34:35], v[40:41], -v[32:33]
	v_div_fixup_f64 v[36:37], v[38:39], v[36:37], 1.0
	s_delay_alu instid0(VALU_DEP_1) | instskip(NEXT) | instid1(VALU_DEP_3)
	v_mul_f64 v[40:41], v[42:43], v[36:37]
	v_mul_f64 v[42:43], v[32:33], v[36:37]
.LBB117_153:                            ;   in Loop: Header=BB117_114 Depth=1
	s_or_b32 exec_lo, exec_lo, s0
.LBB117_154:                            ;   in Loop: Header=BB117_114 Depth=1
	s_waitcnt vmcnt(0)
	v_cmp_gt_f64_e32 vcc_lo, 0, v[28:29]
	v_xor_b32_e32 v32, 0x80000000, v29
	v_mov_b32_e32 v36, v28
	v_xor_b32_e32 v33, 0x80000000, v31
	s_delay_alu instid0(VALU_DEP_3) | instskip(SKIP_1) | instid1(VALU_DEP_3)
	v_dual_mov_b32 v38, v30 :: v_dual_cndmask_b32 v37, v29, v32
	v_cmp_gt_f64_e32 vcc_lo, 0, v[30:31]
	v_cndmask_b32_e32 v39, v31, v33, vcc_lo
	s_and_not1_b32 vcc_lo, exec_lo, s4
	s_delay_alu instid0(VALU_DEP_1)
	v_cmp_ge_f64_e64 s0, v[36:37], v[38:39]
	s_cbranch_vccnz .LBB117_164
; %bb.155:                              ;   in Loop: Header=BB117_114 Depth=1
                                        ; implicit-def: $vgpr32_vgpr33
                                        ; implicit-def: $vgpr34_vgpr35
	s_delay_alu instid0(VALU_DEP_1) | instskip(NEXT) | instid1(SALU_CYCLE_1)
	s_and_saveexec_b32 s1, s0
	s_xor_b32 s6, exec_lo, s1
	s_cbranch_execz .LBB117_161
; %bb.156:                              ;   in Loop: Header=BB117_114 Depth=1
	v_cmp_neq_f64_e32 vcc_lo, 0, v[28:29]
	v_cmp_neq_f64_e64 s1, 0, v[30:31]
                                        ; implicit-def: $vgpr32_vgpr33
                                        ; implicit-def: $vgpr34_vgpr35
	s_delay_alu instid0(VALU_DEP_1) | instskip(NEXT) | instid1(SALU_CYCLE_1)
	s_or_b32 s1, vcc_lo, s1
	s_and_saveexec_b32 s7, s1
	s_delay_alu instid0(SALU_CYCLE_1)
	s_xor_b32 s1, exec_lo, s7
	s_cbranch_execz .LBB117_158
; %bb.157:                              ;   in Loop: Header=BB117_114 Depth=1
	v_div_scale_f64 v[32:33], null, v[28:29], v[28:29], v[30:31]
	v_div_scale_f64 v[46:47], vcc_lo, v[30:31], v[28:29], v[30:31]
	s_delay_alu instid0(VALU_DEP_2) | instskip(SKIP_2) | instid1(VALU_DEP_1)
	v_rcp_f64_e32 v[34:35], v[32:33]
	s_waitcnt_depctr 0xfff
	v_fma_f64 v[44:45], -v[32:33], v[34:35], 1.0
	v_fma_f64 v[34:35], v[34:35], v[44:45], v[34:35]
	s_delay_alu instid0(VALU_DEP_1) | instskip(NEXT) | instid1(VALU_DEP_1)
	v_fma_f64 v[44:45], -v[32:33], v[34:35], 1.0
	v_fma_f64 v[34:35], v[34:35], v[44:45], v[34:35]
	s_delay_alu instid0(VALU_DEP_1) | instskip(NEXT) | instid1(VALU_DEP_1)
	v_mul_f64 v[44:45], v[46:47], v[34:35]
	v_fma_f64 v[32:33], -v[32:33], v[44:45], v[46:47]
	s_delay_alu instid0(VALU_DEP_1) | instskip(NEXT) | instid1(VALU_DEP_1)
	v_div_fmas_f64 v[32:33], v[32:33], v[34:35], v[44:45]
	v_div_fixup_f64 v[32:33], v[32:33], v[28:29], v[30:31]
	s_delay_alu instid0(VALU_DEP_1) | instskip(NEXT) | instid1(VALU_DEP_1)
	v_fma_f64 v[34:35], v[30:31], v[32:33], v[28:29]
	v_div_scale_f64 v[44:45], null, v[34:35], v[34:35], 1.0
	v_div_scale_f64 v[56:57], vcc_lo, 1.0, v[34:35], 1.0
	s_delay_alu instid0(VALU_DEP_2) | instskip(SKIP_2) | instid1(VALU_DEP_1)
	v_rcp_f64_e32 v[46:47], v[44:45]
	s_waitcnt_depctr 0xfff
	v_fma_f64 v[54:55], -v[44:45], v[46:47], 1.0
	v_fma_f64 v[46:47], v[46:47], v[54:55], v[46:47]
	s_delay_alu instid0(VALU_DEP_1) | instskip(NEXT) | instid1(VALU_DEP_1)
	v_fma_f64 v[54:55], -v[44:45], v[46:47], 1.0
	v_fma_f64 v[46:47], v[46:47], v[54:55], v[46:47]
	s_delay_alu instid0(VALU_DEP_1) | instskip(NEXT) | instid1(VALU_DEP_1)
	v_mul_f64 v[54:55], v[56:57], v[46:47]
	v_fma_f64 v[44:45], -v[44:45], v[54:55], v[56:57]
	s_delay_alu instid0(VALU_DEP_1) | instskip(SKIP_2) | instid1(VALU_DEP_3)
	v_div_fmas_f64 v[44:45], v[44:45], v[46:47], v[54:55]
	v_fma_f64 v[46:47], v[26:27], v[32:33], v[24:25]
	v_fma_f64 v[32:33], -v[24:25], v[32:33], v[26:27]
	v_div_fixup_f64 v[44:45], v[44:45], v[34:35], 1.0
	s_delay_alu instid0(VALU_DEP_1) | instskip(NEXT) | instid1(VALU_DEP_3)
	v_mul_f64 v[34:35], v[46:47], v[44:45]
	v_mul_f64 v[32:33], v[32:33], v[44:45]
.LBB117_158:                            ;   in Loop: Header=BB117_114 Depth=1
	s_and_not1_saveexec_b32 s7, s1
	s_cbranch_execz .LBB117_160
; %bb.159:                              ;   in Loop: Header=BB117_114 Depth=1
	v_div_scale_f64 v[32:33], null, v[36:37], v[36:37], v[24:25]
	v_div_scale_f64 v[34:35], null, v[38:39], v[38:39], v[26:27]
	v_div_scale_f64 v[59:60], vcc_lo, v[24:25], v[36:37], v[24:25]
	s_delay_alu instid0(VALU_DEP_3) | instskip(NEXT) | instid1(VALU_DEP_2)
	v_rcp_f64_e32 v[44:45], v[32:33]
	v_rcp_f64_e32 v[46:47], v[34:35]
	s_waitcnt_depctr 0xfff
	v_fma_f64 v[54:55], -v[32:33], v[44:45], 1.0
	v_fma_f64 v[56:57], -v[34:35], v[46:47], 1.0
	s_delay_alu instid0(VALU_DEP_2) | instskip(NEXT) | instid1(VALU_DEP_2)
	v_fma_f64 v[44:45], v[44:45], v[54:55], v[44:45]
	v_fma_f64 v[46:47], v[46:47], v[56:57], v[46:47]
	s_delay_alu instid0(VALU_DEP_2) | instskip(NEXT) | instid1(VALU_DEP_2)
	v_fma_f64 v[54:55], -v[32:33], v[44:45], 1.0
	v_fma_f64 v[56:57], -v[34:35], v[46:47], 1.0
	s_delay_alu instid0(VALU_DEP_2) | instskip(SKIP_1) | instid1(VALU_DEP_3)
	v_fma_f64 v[44:45], v[44:45], v[54:55], v[44:45]
	v_div_scale_f64 v[54:55], s1, v[26:27], v[38:39], v[26:27]
	v_fma_f64 v[46:47], v[46:47], v[56:57], v[46:47]
	s_delay_alu instid0(VALU_DEP_3) | instskip(NEXT) | instid1(VALU_DEP_2)
	v_mul_f64 v[56:57], v[59:60], v[44:45]
	v_mul_f64 v[61:62], v[54:55], v[46:47]
	s_delay_alu instid0(VALU_DEP_2) | instskip(NEXT) | instid1(VALU_DEP_2)
	v_fma_f64 v[32:33], -v[32:33], v[56:57], v[59:60]
	v_fma_f64 v[34:35], -v[34:35], v[61:62], v[54:55]
	s_delay_alu instid0(VALU_DEP_2) | instskip(SKIP_1) | instid1(VALU_DEP_2)
	v_div_fmas_f64 v[32:33], v[32:33], v[44:45], v[56:57]
	s_mov_b32 vcc_lo, s1
	v_div_fmas_f64 v[44:45], v[34:35], v[46:47], v[61:62]
	s_delay_alu instid0(VALU_DEP_2) | instskip(NEXT) | instid1(VALU_DEP_2)
	v_div_fixup_f64 v[34:35], v[32:33], v[36:37], v[24:25]
	v_div_fixup_f64 v[32:33], v[44:45], v[38:39], v[26:27]
.LBB117_160:                            ;   in Loop: Header=BB117_114 Depth=1
	s_or_b32 exec_lo, exec_lo, s7
.LBB117_161:                            ;   in Loop: Header=BB117_114 Depth=1
	s_and_not1_saveexec_b32 s1, s6
	s_cbranch_execz .LBB117_163
; %bb.162:                              ;   in Loop: Header=BB117_114 Depth=1
	v_div_scale_f64 v[32:33], null, v[30:31], v[30:31], v[28:29]
	v_div_scale_f64 v[46:47], vcc_lo, v[28:29], v[30:31], v[28:29]
	s_delay_alu instid0(VALU_DEP_2) | instskip(SKIP_2) | instid1(VALU_DEP_1)
	v_rcp_f64_e32 v[34:35], v[32:33]
	s_waitcnt_depctr 0xfff
	v_fma_f64 v[44:45], -v[32:33], v[34:35], 1.0
	v_fma_f64 v[34:35], v[34:35], v[44:45], v[34:35]
	s_delay_alu instid0(VALU_DEP_1) | instskip(NEXT) | instid1(VALU_DEP_1)
	v_fma_f64 v[44:45], -v[32:33], v[34:35], 1.0
	v_fma_f64 v[34:35], v[34:35], v[44:45], v[34:35]
	s_delay_alu instid0(VALU_DEP_1) | instskip(NEXT) | instid1(VALU_DEP_1)
	v_mul_f64 v[44:45], v[46:47], v[34:35]
	v_fma_f64 v[32:33], -v[32:33], v[44:45], v[46:47]
	s_delay_alu instid0(VALU_DEP_1) | instskip(NEXT) | instid1(VALU_DEP_1)
	v_div_fmas_f64 v[32:33], v[32:33], v[34:35], v[44:45]
	v_div_fixup_f64 v[32:33], v[32:33], v[30:31], v[28:29]
	s_delay_alu instid0(VALU_DEP_1) | instskip(NEXT) | instid1(VALU_DEP_1)
	v_fma_f64 v[34:35], v[28:29], v[32:33], v[30:31]
	v_div_scale_f64 v[44:45], null, v[34:35], v[34:35], 1.0
	v_div_scale_f64 v[56:57], vcc_lo, 1.0, v[34:35], 1.0
	s_delay_alu instid0(VALU_DEP_2) | instskip(SKIP_2) | instid1(VALU_DEP_1)
	v_rcp_f64_e32 v[46:47], v[44:45]
	s_waitcnt_depctr 0xfff
	v_fma_f64 v[54:55], -v[44:45], v[46:47], 1.0
	v_fma_f64 v[46:47], v[46:47], v[54:55], v[46:47]
	s_delay_alu instid0(VALU_DEP_1) | instskip(NEXT) | instid1(VALU_DEP_1)
	v_fma_f64 v[54:55], -v[44:45], v[46:47], 1.0
	v_fma_f64 v[46:47], v[46:47], v[54:55], v[46:47]
	s_delay_alu instid0(VALU_DEP_1) | instskip(NEXT) | instid1(VALU_DEP_1)
	v_mul_f64 v[54:55], v[56:57], v[46:47]
	v_fma_f64 v[44:45], -v[44:45], v[54:55], v[56:57]
	s_delay_alu instid0(VALU_DEP_1) | instskip(SKIP_2) | instid1(VALU_DEP_3)
	v_div_fmas_f64 v[44:45], v[44:45], v[46:47], v[54:55]
	v_fma_f64 v[46:47], v[24:25], v[32:33], v[26:27]
	v_fma_f64 v[32:33], v[26:27], v[32:33], -v[24:25]
	v_div_fixup_f64 v[44:45], v[44:45], v[34:35], 1.0
	s_delay_alu instid0(VALU_DEP_1) | instskip(NEXT) | instid1(VALU_DEP_3)
	v_mul_f64 v[34:35], v[46:47], v[44:45]
	v_mul_f64 v[32:33], v[32:33], v[44:45]
.LBB117_163:                            ;   in Loop: Header=BB117_114 Depth=1
	s_or_b32 exec_lo, exec_lo, s1
	s_delay_alu instid0(VALU_DEP_1) | instskip(SKIP_1) | instid1(VALU_DEP_2)
	v_mul_f64 v[44:45], s[10:11], v[32:33]
	v_mul_f64 v[46:47], s[8:9], v[32:33]
	v_fma_f64 v[32:33], s[8:9], v[34:35], -v[44:45]
	s_delay_alu instid0(VALU_DEP_2)
	v_fma_f64 v[34:35], s[10:11], v[34:35], v[46:47]
	s_branch .LBB117_174
.LBB117_164:                            ;   in Loop: Header=BB117_114 Depth=1
                                        ; implicit-def: $vgpr34_vgpr35
                                        ; implicit-def: $vgpr32_vgpr33
	s_cbranch_execz .LBB117_174
; %bb.165:                              ;   in Loop: Header=BB117_114 Depth=1
                                        ; implicit-def: $vgpr34_vgpr35
                                        ; implicit-def: $vgpr32_vgpr33
	s_delay_alu instid0(VALU_DEP_1) | instskip(NEXT) | instid1(SALU_CYCLE_1)
	s_and_saveexec_b32 s1, s0
	s_xor_b32 s1, exec_lo, s1
	s_cbranch_execz .LBB117_171
; %bb.166:                              ;   in Loop: Header=BB117_114 Depth=1
	v_cmp_neq_f64_e32 vcc_lo, 0, v[28:29]
	v_cmp_neq_f64_e64 s0, 0, v[30:31]
                                        ; implicit-def: $vgpr34_vgpr35
                                        ; implicit-def: $vgpr32_vgpr33
	s_delay_alu instid0(VALU_DEP_1) | instskip(NEXT) | instid1(SALU_CYCLE_1)
	s_or_b32 s0, vcc_lo, s0
	s_and_saveexec_b32 s6, s0
	s_delay_alu instid0(SALU_CYCLE_1)
	s_xor_b32 s0, exec_lo, s6
	s_cbranch_execz .LBB117_168
; %bb.167:                              ;   in Loop: Header=BB117_114 Depth=1
	v_div_scale_f64 v[32:33], null, v[28:29], v[28:29], v[30:31]
	v_div_scale_f64 v[38:39], vcc_lo, v[30:31], v[28:29], v[30:31]
	s_delay_alu instid0(VALU_DEP_2) | instskip(SKIP_2) | instid1(VALU_DEP_1)
	v_rcp_f64_e32 v[34:35], v[32:33]
	s_waitcnt_depctr 0xfff
	v_fma_f64 v[36:37], -v[32:33], v[34:35], 1.0
	v_fma_f64 v[34:35], v[34:35], v[36:37], v[34:35]
	s_delay_alu instid0(VALU_DEP_1) | instskip(NEXT) | instid1(VALU_DEP_1)
	v_fma_f64 v[36:37], -v[32:33], v[34:35], 1.0
	v_fma_f64 v[34:35], v[34:35], v[36:37], v[34:35]
	s_delay_alu instid0(VALU_DEP_1) | instskip(NEXT) | instid1(VALU_DEP_1)
	v_mul_f64 v[36:37], v[38:39], v[34:35]
	v_fma_f64 v[32:33], -v[32:33], v[36:37], v[38:39]
	s_delay_alu instid0(VALU_DEP_1) | instskip(NEXT) | instid1(VALU_DEP_1)
	v_div_fmas_f64 v[32:33], v[32:33], v[34:35], v[36:37]
	v_div_fixup_f64 v[32:33], v[32:33], v[28:29], v[30:31]
	s_delay_alu instid0(VALU_DEP_1) | instskip(NEXT) | instid1(VALU_DEP_1)
	v_fma_f64 v[28:29], v[30:31], v[32:33], v[28:29]
	v_div_scale_f64 v[30:31], null, v[28:29], v[28:29], 1.0
	v_div_scale_f64 v[38:39], vcc_lo, 1.0, v[28:29], 1.0
	s_delay_alu instid0(VALU_DEP_2) | instskip(SKIP_2) | instid1(VALU_DEP_1)
	v_rcp_f64_e32 v[34:35], v[30:31]
	s_waitcnt_depctr 0xfff
	v_fma_f64 v[36:37], -v[30:31], v[34:35], 1.0
	v_fma_f64 v[34:35], v[34:35], v[36:37], v[34:35]
	s_delay_alu instid0(VALU_DEP_1) | instskip(NEXT) | instid1(VALU_DEP_1)
	v_fma_f64 v[36:37], -v[30:31], v[34:35], 1.0
	v_fma_f64 v[34:35], v[34:35], v[36:37], v[34:35]
	s_delay_alu instid0(VALU_DEP_1) | instskip(NEXT) | instid1(VALU_DEP_1)
	v_mul_f64 v[36:37], v[38:39], v[34:35]
	v_fma_f64 v[30:31], -v[30:31], v[36:37], v[38:39]
                                        ; implicit-def: $vgpr38_vgpr39
	s_delay_alu instid0(VALU_DEP_1) | instskip(SKIP_2) | instid1(VALU_DEP_3)
	v_div_fmas_f64 v[30:31], v[30:31], v[34:35], v[36:37]
	v_fma_f64 v[34:35], v[26:27], v[32:33], v[24:25]
	v_fma_f64 v[24:25], -v[24:25], v[32:33], v[26:27]
                                        ; implicit-def: $vgpr36_vgpr37
	v_div_fixup_f64 v[28:29], v[30:31], v[28:29], 1.0
	s_delay_alu instid0(VALU_DEP_1) | instskip(NEXT) | instid1(VALU_DEP_3)
	v_mul_f64 v[32:33], v[34:35], v[28:29]
	v_mul_f64 v[34:35], v[24:25], v[28:29]
                                        ; implicit-def: $vgpr24_vgpr25
.LBB117_168:                            ;   in Loop: Header=BB117_114 Depth=1
	s_and_not1_saveexec_b32 s6, s0
	s_cbranch_execz .LBB117_170
; %bb.169:                              ;   in Loop: Header=BB117_114 Depth=1
	v_div_scale_f64 v[28:29], null, v[36:37], v[36:37], v[24:25]
	v_div_scale_f64 v[30:31], null, v[38:39], v[38:39], v[26:27]
	v_div_scale_f64 v[54:55], vcc_lo, v[24:25], v[36:37], v[24:25]
	s_delay_alu instid0(VALU_DEP_3) | instskip(NEXT) | instid1(VALU_DEP_2)
	v_rcp_f64_e32 v[32:33], v[28:29]
	v_rcp_f64_e32 v[34:35], v[30:31]
	s_waitcnt_depctr 0xfff
	v_fma_f64 v[44:45], -v[28:29], v[32:33], 1.0
	v_fma_f64 v[46:47], -v[30:31], v[34:35], 1.0
	s_delay_alu instid0(VALU_DEP_2) | instskip(NEXT) | instid1(VALU_DEP_2)
	v_fma_f64 v[32:33], v[32:33], v[44:45], v[32:33]
	v_fma_f64 v[34:35], v[34:35], v[46:47], v[34:35]
	s_delay_alu instid0(VALU_DEP_2) | instskip(NEXT) | instid1(VALU_DEP_2)
	v_fma_f64 v[44:45], -v[28:29], v[32:33], 1.0
	v_fma_f64 v[46:47], -v[30:31], v[34:35], 1.0
	s_delay_alu instid0(VALU_DEP_2) | instskip(SKIP_1) | instid1(VALU_DEP_3)
	v_fma_f64 v[32:33], v[32:33], v[44:45], v[32:33]
	v_div_scale_f64 v[44:45], s0, v[26:27], v[38:39], v[26:27]
	v_fma_f64 v[34:35], v[34:35], v[46:47], v[34:35]
	s_delay_alu instid0(VALU_DEP_3) | instskip(NEXT) | instid1(VALU_DEP_2)
	v_mul_f64 v[46:47], v[54:55], v[32:33]
	v_mul_f64 v[56:57], v[44:45], v[34:35]
	s_delay_alu instid0(VALU_DEP_2) | instskip(NEXT) | instid1(VALU_DEP_2)
	v_fma_f64 v[28:29], -v[28:29], v[46:47], v[54:55]
	v_fma_f64 v[30:31], -v[30:31], v[56:57], v[44:45]
	s_delay_alu instid0(VALU_DEP_2) | instskip(SKIP_1) | instid1(VALU_DEP_2)
	v_div_fmas_f64 v[28:29], v[28:29], v[32:33], v[46:47]
	s_mov_b32 vcc_lo, s0
	v_div_fmas_f64 v[30:31], v[30:31], v[34:35], v[56:57]
	s_delay_alu instid0(VALU_DEP_2) | instskip(NEXT) | instid1(VALU_DEP_2)
	v_div_fixup_f64 v[32:33], v[28:29], v[36:37], v[24:25]
	v_div_fixup_f64 v[34:35], v[30:31], v[38:39], v[26:27]
.LBB117_170:                            ;   in Loop: Header=BB117_114 Depth=1
	s_or_b32 exec_lo, exec_lo, s6
                                        ; implicit-def: $vgpr30_vgpr31
                                        ; implicit-def: $vgpr24_vgpr25
.LBB117_171:                            ;   in Loop: Header=BB117_114 Depth=1
	s_and_not1_saveexec_b32 s0, s1
	s_cbranch_execz .LBB117_173
; %bb.172:                              ;   in Loop: Header=BB117_114 Depth=1
	v_div_scale_f64 v[32:33], null, v[30:31], v[30:31], v[28:29]
	v_div_scale_f64 v[38:39], vcc_lo, v[28:29], v[30:31], v[28:29]
	s_delay_alu instid0(VALU_DEP_2) | instskip(SKIP_2) | instid1(VALU_DEP_1)
	v_rcp_f64_e32 v[34:35], v[32:33]
	s_waitcnt_depctr 0xfff
	v_fma_f64 v[36:37], -v[32:33], v[34:35], 1.0
	v_fma_f64 v[34:35], v[34:35], v[36:37], v[34:35]
	s_delay_alu instid0(VALU_DEP_1) | instskip(NEXT) | instid1(VALU_DEP_1)
	v_fma_f64 v[36:37], -v[32:33], v[34:35], 1.0
	v_fma_f64 v[34:35], v[34:35], v[36:37], v[34:35]
	s_delay_alu instid0(VALU_DEP_1) | instskip(NEXT) | instid1(VALU_DEP_1)
	v_mul_f64 v[36:37], v[38:39], v[34:35]
	v_fma_f64 v[32:33], -v[32:33], v[36:37], v[38:39]
	s_delay_alu instid0(VALU_DEP_1) | instskip(NEXT) | instid1(VALU_DEP_1)
	v_div_fmas_f64 v[32:33], v[32:33], v[34:35], v[36:37]
	v_div_fixup_f64 v[32:33], v[32:33], v[30:31], v[28:29]
	s_delay_alu instid0(VALU_DEP_1) | instskip(NEXT) | instid1(VALU_DEP_1)
	v_fma_f64 v[28:29], v[28:29], v[32:33], v[30:31]
	v_div_scale_f64 v[30:31], null, v[28:29], v[28:29], 1.0
	v_div_scale_f64 v[38:39], vcc_lo, 1.0, v[28:29], 1.0
	s_delay_alu instid0(VALU_DEP_2) | instskip(SKIP_2) | instid1(VALU_DEP_1)
	v_rcp_f64_e32 v[34:35], v[30:31]
	s_waitcnt_depctr 0xfff
	v_fma_f64 v[36:37], -v[30:31], v[34:35], 1.0
	v_fma_f64 v[34:35], v[34:35], v[36:37], v[34:35]
	s_delay_alu instid0(VALU_DEP_1) | instskip(NEXT) | instid1(VALU_DEP_1)
	v_fma_f64 v[36:37], -v[30:31], v[34:35], 1.0
	v_fma_f64 v[34:35], v[34:35], v[36:37], v[34:35]
	s_delay_alu instid0(VALU_DEP_1) | instskip(NEXT) | instid1(VALU_DEP_1)
	v_mul_f64 v[36:37], v[38:39], v[34:35]
	v_fma_f64 v[30:31], -v[30:31], v[36:37], v[38:39]
	s_delay_alu instid0(VALU_DEP_1) | instskip(SKIP_2) | instid1(VALU_DEP_3)
	v_div_fmas_f64 v[30:31], v[30:31], v[34:35], v[36:37]
	v_fma_f64 v[34:35], v[24:25], v[32:33], v[26:27]
	v_fma_f64 v[24:25], v[26:27], v[32:33], -v[24:25]
	v_div_fixup_f64 v[28:29], v[30:31], v[28:29], 1.0
	s_delay_alu instid0(VALU_DEP_1) | instskip(NEXT) | instid1(VALU_DEP_3)
	v_mul_f64 v[32:33], v[34:35], v[28:29]
	v_mul_f64 v[34:35], v[24:25], v[28:29]
.LBB117_173:                            ;   in Loop: Header=BB117_114 Depth=1
	s_or_b32 exec_lo, exec_lo, s0
.LBB117_174:                            ;   in Loop: Header=BB117_114 Depth=1
	v_cmp_gt_f64_e32 vcc_lo, 0, v[20:21]
	v_xor_b32_e32 v25, 0x80000000, v21
	v_mov_b32_e32 v24, v20
	v_xor_b32_e32 v26, 0x80000000, v23
	s_delay_alu instid0(VALU_DEP_3) | instskip(SKIP_1) | instid1(VALU_DEP_3)
	v_cndmask_b32_e32 v25, v21, v25, vcc_lo
	v_cmp_gt_f64_e32 vcc_lo, 0, v[22:23]
	v_dual_cndmask_b32 v27, v23, v26 :: v_dual_mov_b32 v26, v22
	s_and_not1_b32 vcc_lo, exec_lo, s4
	s_delay_alu instid0(VALU_DEP_1)
	v_cmp_ge_f64_e64 s0, v[24:25], v[26:27]
	s_cbranch_vccnz .LBB117_184
; %bb.175:                              ;   in Loop: Header=BB117_114 Depth=1
                                        ; implicit-def: $vgpr28_vgpr29
                                        ; implicit-def: $vgpr30_vgpr31
	s_delay_alu instid0(VALU_DEP_1) | instskip(NEXT) | instid1(SALU_CYCLE_1)
	s_and_saveexec_b32 s1, s0
	s_xor_b32 s6, exec_lo, s1
	s_cbranch_execz .LBB117_181
; %bb.176:                              ;   in Loop: Header=BB117_114 Depth=1
	v_cmp_neq_f64_e32 vcc_lo, 0, v[20:21]
	v_cmp_neq_f64_e64 s1, 0, v[22:23]
                                        ; implicit-def: $vgpr28_vgpr29
                                        ; implicit-def: $vgpr30_vgpr31
	s_delay_alu instid0(VALU_DEP_1) | instskip(NEXT) | instid1(SALU_CYCLE_1)
	s_or_b32 s1, vcc_lo, s1
	s_and_saveexec_b32 s7, s1
	s_delay_alu instid0(SALU_CYCLE_1)
	s_xor_b32 s1, exec_lo, s7
	s_cbranch_execz .LBB117_178
; %bb.177:                              ;   in Loop: Header=BB117_114 Depth=1
	v_div_scale_f64 v[28:29], null, v[20:21], v[20:21], v[22:23]
	v_div_scale_f64 v[38:39], vcc_lo, v[22:23], v[20:21], v[22:23]
	s_delay_alu instid0(VALU_DEP_2) | instskip(SKIP_2) | instid1(VALU_DEP_1)
	v_rcp_f64_e32 v[30:31], v[28:29]
	s_waitcnt_depctr 0xfff
	v_fma_f64 v[36:37], -v[28:29], v[30:31], 1.0
	v_fma_f64 v[30:31], v[30:31], v[36:37], v[30:31]
	s_delay_alu instid0(VALU_DEP_1) | instskip(NEXT) | instid1(VALU_DEP_1)
	v_fma_f64 v[36:37], -v[28:29], v[30:31], 1.0
	v_fma_f64 v[30:31], v[30:31], v[36:37], v[30:31]
	s_delay_alu instid0(VALU_DEP_1) | instskip(NEXT) | instid1(VALU_DEP_1)
	v_mul_f64 v[36:37], v[38:39], v[30:31]
	v_fma_f64 v[28:29], -v[28:29], v[36:37], v[38:39]
	s_delay_alu instid0(VALU_DEP_1) | instskip(NEXT) | instid1(VALU_DEP_1)
	v_div_fmas_f64 v[28:29], v[28:29], v[30:31], v[36:37]
	v_div_fixup_f64 v[28:29], v[28:29], v[20:21], v[22:23]
	s_delay_alu instid0(VALU_DEP_1) | instskip(NEXT) | instid1(VALU_DEP_1)
	v_fma_f64 v[30:31], v[22:23], v[28:29], v[20:21]
	v_div_scale_f64 v[36:37], null, v[30:31], v[30:31], 1.0
	v_div_scale_f64 v[46:47], vcc_lo, 1.0, v[30:31], 1.0
	s_delay_alu instid0(VALU_DEP_2) | instskip(SKIP_2) | instid1(VALU_DEP_1)
	v_rcp_f64_e32 v[38:39], v[36:37]
	s_waitcnt_depctr 0xfff
	v_fma_f64 v[44:45], -v[36:37], v[38:39], 1.0
	v_fma_f64 v[38:39], v[38:39], v[44:45], v[38:39]
	s_delay_alu instid0(VALU_DEP_1) | instskip(NEXT) | instid1(VALU_DEP_1)
	v_fma_f64 v[44:45], -v[36:37], v[38:39], 1.0
	v_fma_f64 v[38:39], v[38:39], v[44:45], v[38:39]
	s_delay_alu instid0(VALU_DEP_1) | instskip(NEXT) | instid1(VALU_DEP_1)
	v_mul_f64 v[44:45], v[46:47], v[38:39]
	v_fma_f64 v[36:37], -v[36:37], v[44:45], v[46:47]
	s_delay_alu instid0(VALU_DEP_1) | instskip(SKIP_2) | instid1(VALU_DEP_3)
	v_div_fmas_f64 v[36:37], v[36:37], v[38:39], v[44:45]
	v_fma_f64 v[38:39], v[18:19], v[28:29], v[16:17]
	v_fma_f64 v[28:29], -v[16:17], v[28:29], v[18:19]
	v_div_fixup_f64 v[36:37], v[36:37], v[30:31], 1.0
	s_delay_alu instid0(VALU_DEP_1) | instskip(NEXT) | instid1(VALU_DEP_3)
	v_mul_f64 v[30:31], v[38:39], v[36:37]
	v_mul_f64 v[28:29], v[28:29], v[36:37]
.LBB117_178:                            ;   in Loop: Header=BB117_114 Depth=1
	s_and_not1_saveexec_b32 s7, s1
	s_cbranch_execz .LBB117_180
; %bb.179:                              ;   in Loop: Header=BB117_114 Depth=1
	v_div_scale_f64 v[28:29], null, v[24:25], v[24:25], v[16:17]
	v_div_scale_f64 v[30:31], null, v[26:27], v[26:27], v[18:19]
	v_div_scale_f64 v[54:55], vcc_lo, v[16:17], v[24:25], v[16:17]
	s_delay_alu instid0(VALU_DEP_3) | instskip(NEXT) | instid1(VALU_DEP_2)
	v_rcp_f64_e32 v[36:37], v[28:29]
	v_rcp_f64_e32 v[38:39], v[30:31]
	s_waitcnt_depctr 0xfff
	v_fma_f64 v[44:45], -v[28:29], v[36:37], 1.0
	v_fma_f64 v[46:47], -v[30:31], v[38:39], 1.0
	s_delay_alu instid0(VALU_DEP_2) | instskip(NEXT) | instid1(VALU_DEP_2)
	v_fma_f64 v[36:37], v[36:37], v[44:45], v[36:37]
	v_fma_f64 v[38:39], v[38:39], v[46:47], v[38:39]
	s_delay_alu instid0(VALU_DEP_2) | instskip(NEXT) | instid1(VALU_DEP_2)
	v_fma_f64 v[44:45], -v[28:29], v[36:37], 1.0
	v_fma_f64 v[46:47], -v[30:31], v[38:39], 1.0
	s_delay_alu instid0(VALU_DEP_2) | instskip(SKIP_1) | instid1(VALU_DEP_3)
	v_fma_f64 v[36:37], v[36:37], v[44:45], v[36:37]
	v_div_scale_f64 v[44:45], s1, v[18:19], v[26:27], v[18:19]
	v_fma_f64 v[38:39], v[38:39], v[46:47], v[38:39]
	s_delay_alu instid0(VALU_DEP_3) | instskip(NEXT) | instid1(VALU_DEP_2)
	v_mul_f64 v[46:47], v[54:55], v[36:37]
	v_mul_f64 v[56:57], v[44:45], v[38:39]
	s_delay_alu instid0(VALU_DEP_2) | instskip(NEXT) | instid1(VALU_DEP_2)
	v_fma_f64 v[28:29], -v[28:29], v[46:47], v[54:55]
	v_fma_f64 v[30:31], -v[30:31], v[56:57], v[44:45]
	s_delay_alu instid0(VALU_DEP_2) | instskip(SKIP_1) | instid1(VALU_DEP_2)
	v_div_fmas_f64 v[28:29], v[28:29], v[36:37], v[46:47]
	s_mov_b32 vcc_lo, s1
	v_div_fmas_f64 v[36:37], v[30:31], v[38:39], v[56:57]
	s_delay_alu instid0(VALU_DEP_2) | instskip(NEXT) | instid1(VALU_DEP_2)
	v_div_fixup_f64 v[30:31], v[28:29], v[24:25], v[16:17]
	v_div_fixup_f64 v[28:29], v[36:37], v[26:27], v[18:19]
.LBB117_180:                            ;   in Loop: Header=BB117_114 Depth=1
	s_or_b32 exec_lo, exec_lo, s7
.LBB117_181:                            ;   in Loop: Header=BB117_114 Depth=1
	s_and_not1_saveexec_b32 s1, s6
	s_cbranch_execz .LBB117_183
; %bb.182:                              ;   in Loop: Header=BB117_114 Depth=1
	v_div_scale_f64 v[28:29], null, v[22:23], v[22:23], v[20:21]
	v_div_scale_f64 v[38:39], vcc_lo, v[20:21], v[22:23], v[20:21]
	s_delay_alu instid0(VALU_DEP_2) | instskip(SKIP_2) | instid1(VALU_DEP_1)
	v_rcp_f64_e32 v[30:31], v[28:29]
	s_waitcnt_depctr 0xfff
	v_fma_f64 v[36:37], -v[28:29], v[30:31], 1.0
	v_fma_f64 v[30:31], v[30:31], v[36:37], v[30:31]
	s_delay_alu instid0(VALU_DEP_1) | instskip(NEXT) | instid1(VALU_DEP_1)
	v_fma_f64 v[36:37], -v[28:29], v[30:31], 1.0
	v_fma_f64 v[30:31], v[30:31], v[36:37], v[30:31]
	s_delay_alu instid0(VALU_DEP_1) | instskip(NEXT) | instid1(VALU_DEP_1)
	v_mul_f64 v[36:37], v[38:39], v[30:31]
	v_fma_f64 v[28:29], -v[28:29], v[36:37], v[38:39]
	s_delay_alu instid0(VALU_DEP_1) | instskip(NEXT) | instid1(VALU_DEP_1)
	v_div_fmas_f64 v[28:29], v[28:29], v[30:31], v[36:37]
	v_div_fixup_f64 v[28:29], v[28:29], v[22:23], v[20:21]
	s_delay_alu instid0(VALU_DEP_1) | instskip(NEXT) | instid1(VALU_DEP_1)
	v_fma_f64 v[30:31], v[20:21], v[28:29], v[22:23]
	v_div_scale_f64 v[36:37], null, v[30:31], v[30:31], 1.0
	v_div_scale_f64 v[46:47], vcc_lo, 1.0, v[30:31], 1.0
	s_delay_alu instid0(VALU_DEP_2) | instskip(SKIP_2) | instid1(VALU_DEP_1)
	v_rcp_f64_e32 v[38:39], v[36:37]
	s_waitcnt_depctr 0xfff
	v_fma_f64 v[44:45], -v[36:37], v[38:39], 1.0
	v_fma_f64 v[38:39], v[38:39], v[44:45], v[38:39]
	s_delay_alu instid0(VALU_DEP_1) | instskip(NEXT) | instid1(VALU_DEP_1)
	v_fma_f64 v[44:45], -v[36:37], v[38:39], 1.0
	v_fma_f64 v[38:39], v[38:39], v[44:45], v[38:39]
	s_delay_alu instid0(VALU_DEP_1) | instskip(NEXT) | instid1(VALU_DEP_1)
	v_mul_f64 v[44:45], v[46:47], v[38:39]
	v_fma_f64 v[36:37], -v[36:37], v[44:45], v[46:47]
	s_delay_alu instid0(VALU_DEP_1) | instskip(SKIP_2) | instid1(VALU_DEP_3)
	v_div_fmas_f64 v[36:37], v[36:37], v[38:39], v[44:45]
	v_fma_f64 v[38:39], v[16:17], v[28:29], v[18:19]
	v_fma_f64 v[28:29], v[18:19], v[28:29], -v[16:17]
	v_div_fixup_f64 v[36:37], v[36:37], v[30:31], 1.0
	s_delay_alu instid0(VALU_DEP_1) | instskip(NEXT) | instid1(VALU_DEP_3)
	v_mul_f64 v[30:31], v[38:39], v[36:37]
	v_mul_f64 v[28:29], v[28:29], v[36:37]
.LBB117_183:                            ;   in Loop: Header=BB117_114 Depth=1
	s_or_b32 exec_lo, exec_lo, s1
	s_delay_alu instid0(VALU_DEP_1) | instskip(SKIP_1) | instid1(VALU_DEP_2)
	v_mul_f64 v[36:37], s[10:11], v[28:29]
	v_mul_f64 v[38:39], s[8:9], v[28:29]
	v_fma_f64 v[28:29], s[8:9], v[30:31], -v[36:37]
	s_delay_alu instid0(VALU_DEP_2)
	v_fma_f64 v[30:31], s[10:11], v[30:31], v[38:39]
	s_branch .LBB117_113
.LBB117_184:                            ;   in Loop: Header=BB117_114 Depth=1
                                        ; implicit-def: $vgpr30_vgpr31
                                        ; implicit-def: $vgpr28_vgpr29
	s_cbranch_execz .LBB117_113
; %bb.185:                              ;   in Loop: Header=BB117_114 Depth=1
                                        ; implicit-def: $vgpr30_vgpr31
                                        ; implicit-def: $vgpr28_vgpr29
	s_delay_alu instid0(VALU_DEP_1) | instskip(NEXT) | instid1(SALU_CYCLE_1)
	s_and_saveexec_b32 s1, s0
	s_xor_b32 s1, exec_lo, s1
	s_cbranch_execz .LBB117_191
; %bb.186:                              ;   in Loop: Header=BB117_114 Depth=1
	v_cmp_neq_f64_e32 vcc_lo, 0, v[20:21]
	v_cmp_neq_f64_e64 s0, 0, v[22:23]
                                        ; implicit-def: $vgpr30_vgpr31
                                        ; implicit-def: $vgpr28_vgpr29
	s_delay_alu instid0(VALU_DEP_1) | instskip(NEXT) | instid1(SALU_CYCLE_1)
	s_or_b32 s0, vcc_lo, s0
	s_and_saveexec_b32 s6, s0
	s_delay_alu instid0(SALU_CYCLE_1)
	s_xor_b32 s0, exec_lo, s6
	s_cbranch_execz .LBB117_188
; %bb.187:                              ;   in Loop: Header=BB117_114 Depth=1
	v_div_scale_f64 v[24:25], null, v[20:21], v[20:21], v[22:23]
	v_div_scale_f64 v[30:31], vcc_lo, v[22:23], v[20:21], v[22:23]
	s_delay_alu instid0(VALU_DEP_2) | instskip(SKIP_2) | instid1(VALU_DEP_1)
	v_rcp_f64_e32 v[26:27], v[24:25]
	s_waitcnt_depctr 0xfff
	v_fma_f64 v[28:29], -v[24:25], v[26:27], 1.0
	v_fma_f64 v[26:27], v[26:27], v[28:29], v[26:27]
	s_delay_alu instid0(VALU_DEP_1) | instskip(NEXT) | instid1(VALU_DEP_1)
	v_fma_f64 v[28:29], -v[24:25], v[26:27], 1.0
	v_fma_f64 v[26:27], v[26:27], v[28:29], v[26:27]
	s_delay_alu instid0(VALU_DEP_1) | instskip(NEXT) | instid1(VALU_DEP_1)
	v_mul_f64 v[28:29], v[30:31], v[26:27]
	v_fma_f64 v[24:25], -v[24:25], v[28:29], v[30:31]
	s_delay_alu instid0(VALU_DEP_1) | instskip(NEXT) | instid1(VALU_DEP_1)
	v_div_fmas_f64 v[24:25], v[24:25], v[26:27], v[28:29]
	v_div_fixup_f64 v[24:25], v[24:25], v[20:21], v[22:23]
	s_delay_alu instid0(VALU_DEP_1) | instskip(NEXT) | instid1(VALU_DEP_1)
	v_fma_f64 v[20:21], v[22:23], v[24:25], v[20:21]
	v_div_scale_f64 v[22:23], null, v[20:21], v[20:21], 1.0
	v_div_scale_f64 v[30:31], vcc_lo, 1.0, v[20:21], 1.0
	s_delay_alu instid0(VALU_DEP_2) | instskip(SKIP_2) | instid1(VALU_DEP_1)
	v_rcp_f64_e32 v[26:27], v[22:23]
	s_waitcnt_depctr 0xfff
	v_fma_f64 v[28:29], -v[22:23], v[26:27], 1.0
	v_fma_f64 v[26:27], v[26:27], v[28:29], v[26:27]
	s_delay_alu instid0(VALU_DEP_1) | instskip(NEXT) | instid1(VALU_DEP_1)
	v_fma_f64 v[28:29], -v[22:23], v[26:27], 1.0
	v_fma_f64 v[26:27], v[26:27], v[28:29], v[26:27]
	s_delay_alu instid0(VALU_DEP_1) | instskip(NEXT) | instid1(VALU_DEP_1)
	v_mul_f64 v[28:29], v[30:31], v[26:27]
	v_fma_f64 v[22:23], -v[22:23], v[28:29], v[30:31]
	s_delay_alu instid0(VALU_DEP_1) | instskip(SKIP_2) | instid1(VALU_DEP_3)
	v_div_fmas_f64 v[22:23], v[22:23], v[26:27], v[28:29]
	v_fma_f64 v[26:27], v[18:19], v[24:25], v[16:17]
	v_fma_f64 v[16:17], -v[16:17], v[24:25], v[18:19]
                                        ; implicit-def: $vgpr24_vgpr25
	v_div_fixup_f64 v[20:21], v[22:23], v[20:21], 1.0
	s_delay_alu instid0(VALU_DEP_1) | instskip(NEXT) | instid1(VALU_DEP_3)
	v_mul_f64 v[28:29], v[26:27], v[20:21]
	v_mul_f64 v[30:31], v[16:17], v[20:21]
                                        ; implicit-def: $vgpr16_vgpr17
                                        ; implicit-def: $vgpr26_vgpr27
.LBB117_188:                            ;   in Loop: Header=BB117_114 Depth=1
	s_and_not1_saveexec_b32 s6, s0
	s_cbranch_execz .LBB117_190
; %bb.189:                              ;   in Loop: Header=BB117_114 Depth=1
	v_div_scale_f64 v[20:21], null, v[24:25], v[24:25], v[16:17]
	v_div_scale_f64 v[22:23], null, v[26:27], v[26:27], v[18:19]
	v_div_scale_f64 v[44:45], vcc_lo, v[16:17], v[24:25], v[16:17]
	s_delay_alu instid0(VALU_DEP_3) | instskip(NEXT) | instid1(VALU_DEP_2)
	v_rcp_f64_e32 v[28:29], v[20:21]
	v_rcp_f64_e32 v[30:31], v[22:23]
	s_waitcnt_depctr 0xfff
	v_fma_f64 v[36:37], -v[20:21], v[28:29], 1.0
	v_fma_f64 v[38:39], -v[22:23], v[30:31], 1.0
	s_delay_alu instid0(VALU_DEP_2) | instskip(NEXT) | instid1(VALU_DEP_2)
	v_fma_f64 v[28:29], v[28:29], v[36:37], v[28:29]
	v_fma_f64 v[30:31], v[30:31], v[38:39], v[30:31]
	s_delay_alu instid0(VALU_DEP_2) | instskip(NEXT) | instid1(VALU_DEP_2)
	v_fma_f64 v[36:37], -v[20:21], v[28:29], 1.0
	v_fma_f64 v[38:39], -v[22:23], v[30:31], 1.0
	s_delay_alu instid0(VALU_DEP_2) | instskip(SKIP_1) | instid1(VALU_DEP_3)
	v_fma_f64 v[28:29], v[28:29], v[36:37], v[28:29]
	v_div_scale_f64 v[36:37], s0, v[18:19], v[26:27], v[18:19]
	v_fma_f64 v[30:31], v[30:31], v[38:39], v[30:31]
	s_delay_alu instid0(VALU_DEP_3) | instskip(NEXT) | instid1(VALU_DEP_2)
	v_mul_f64 v[38:39], v[44:45], v[28:29]
	v_mul_f64 v[46:47], v[36:37], v[30:31]
	s_delay_alu instid0(VALU_DEP_2) | instskip(NEXT) | instid1(VALU_DEP_2)
	v_fma_f64 v[20:21], -v[20:21], v[38:39], v[44:45]
	v_fma_f64 v[22:23], -v[22:23], v[46:47], v[36:37]
	s_delay_alu instid0(VALU_DEP_2) | instskip(SKIP_1) | instid1(VALU_DEP_2)
	v_div_fmas_f64 v[20:21], v[20:21], v[28:29], v[38:39]
	s_mov_b32 vcc_lo, s0
	v_div_fmas_f64 v[22:23], v[22:23], v[30:31], v[46:47]
	s_delay_alu instid0(VALU_DEP_2) | instskip(NEXT) | instid1(VALU_DEP_2)
	v_div_fixup_f64 v[28:29], v[20:21], v[24:25], v[16:17]
	v_div_fixup_f64 v[30:31], v[22:23], v[26:27], v[18:19]
.LBB117_190:                            ;   in Loop: Header=BB117_114 Depth=1
	s_or_b32 exec_lo, exec_lo, s6
                                        ; implicit-def: $vgpr22_vgpr23
                                        ; implicit-def: $vgpr16_vgpr17
.LBB117_191:                            ;   in Loop: Header=BB117_114 Depth=1
	s_and_not1_saveexec_b32 s0, s1
	s_cbranch_execz .LBB117_112
; %bb.192:                              ;   in Loop: Header=BB117_114 Depth=1
	v_div_scale_f64 v[24:25], null, v[22:23], v[22:23], v[20:21]
	v_div_scale_f64 v[30:31], vcc_lo, v[20:21], v[22:23], v[20:21]
	s_delay_alu instid0(VALU_DEP_2) | instskip(SKIP_2) | instid1(VALU_DEP_1)
	v_rcp_f64_e32 v[26:27], v[24:25]
	s_waitcnt_depctr 0xfff
	v_fma_f64 v[28:29], -v[24:25], v[26:27], 1.0
	v_fma_f64 v[26:27], v[26:27], v[28:29], v[26:27]
	s_delay_alu instid0(VALU_DEP_1) | instskip(NEXT) | instid1(VALU_DEP_1)
	v_fma_f64 v[28:29], -v[24:25], v[26:27], 1.0
	v_fma_f64 v[26:27], v[26:27], v[28:29], v[26:27]
	s_delay_alu instid0(VALU_DEP_1) | instskip(NEXT) | instid1(VALU_DEP_1)
	v_mul_f64 v[28:29], v[30:31], v[26:27]
	v_fma_f64 v[24:25], -v[24:25], v[28:29], v[30:31]
	s_delay_alu instid0(VALU_DEP_1) | instskip(NEXT) | instid1(VALU_DEP_1)
	v_div_fmas_f64 v[24:25], v[24:25], v[26:27], v[28:29]
	v_div_fixup_f64 v[24:25], v[24:25], v[22:23], v[20:21]
	s_delay_alu instid0(VALU_DEP_1) | instskip(NEXT) | instid1(VALU_DEP_1)
	v_fma_f64 v[20:21], v[20:21], v[24:25], v[22:23]
	v_div_scale_f64 v[22:23], null, v[20:21], v[20:21], 1.0
	v_div_scale_f64 v[30:31], vcc_lo, 1.0, v[20:21], 1.0
	s_delay_alu instid0(VALU_DEP_2) | instskip(SKIP_2) | instid1(VALU_DEP_1)
	v_rcp_f64_e32 v[26:27], v[22:23]
	s_waitcnt_depctr 0xfff
	v_fma_f64 v[28:29], -v[22:23], v[26:27], 1.0
	v_fma_f64 v[26:27], v[26:27], v[28:29], v[26:27]
	s_delay_alu instid0(VALU_DEP_1) | instskip(NEXT) | instid1(VALU_DEP_1)
	v_fma_f64 v[28:29], -v[22:23], v[26:27], 1.0
	v_fma_f64 v[26:27], v[26:27], v[28:29], v[26:27]
	s_delay_alu instid0(VALU_DEP_1) | instskip(NEXT) | instid1(VALU_DEP_1)
	v_mul_f64 v[28:29], v[30:31], v[26:27]
	v_fma_f64 v[22:23], -v[22:23], v[28:29], v[30:31]
	s_delay_alu instid0(VALU_DEP_1) | instskip(SKIP_2) | instid1(VALU_DEP_3)
	v_div_fmas_f64 v[22:23], v[22:23], v[26:27], v[28:29]
	v_fma_f64 v[26:27], v[16:17], v[24:25], v[18:19]
	v_fma_f64 v[16:17], v[18:19], v[24:25], -v[16:17]
	v_div_fixup_f64 v[20:21], v[22:23], v[20:21], 1.0
	s_delay_alu instid0(VALU_DEP_1) | instskip(NEXT) | instid1(VALU_DEP_3)
	v_mul_f64 v[28:29], v[26:27], v[20:21]
	v_mul_f64 v[30:31], v[16:17], v[20:21]
	s_branch .LBB117_112
.LBB117_193:
	s_nop 0
	s_sendmsg sendmsg(MSG_DEALLOC_VGPRS)
	s_endpgm
	.section	.rodata,"a",@progbits
	.p2align	6, 0x0
	.amdhsa_kernel _ZN2at6native12_GLOBAL__N_125multi_tensor_apply_kernelINS1_28TensorListScalarListMetadataIN3c107complexIdEELi4EEENS1_28PointwiseOpScalarListFunctorIS6_Li4ELi3ELi3EEEJSt7dividesIS6_EEEEvT_T0_DpT1_
		.amdhsa_group_segment_fixed_size 0
		.amdhsa_private_segment_fixed_size 0
		.amdhsa_kernarg_size 3880
		.amdhsa_user_sgpr_count 15
		.amdhsa_user_sgpr_dispatch_ptr 0
		.amdhsa_user_sgpr_queue_ptr 0
		.amdhsa_user_sgpr_kernarg_segment_ptr 1
		.amdhsa_user_sgpr_dispatch_id 0
		.amdhsa_user_sgpr_private_segment_size 0
		.amdhsa_wavefront_size32 1
		.amdhsa_uses_dynamic_stack 0
		.amdhsa_enable_private_segment 0
		.amdhsa_system_sgpr_workgroup_id_x 1
		.amdhsa_system_sgpr_workgroup_id_y 0
		.amdhsa_system_sgpr_workgroup_id_z 0
		.amdhsa_system_sgpr_workgroup_info 0
		.amdhsa_system_vgpr_workitem_id 0
		.amdhsa_next_free_vgpr 103
		.amdhsa_next_free_sgpr 37
		.amdhsa_reserve_vcc 1
		.amdhsa_float_round_mode_32 0
		.amdhsa_float_round_mode_16_64 0
		.amdhsa_float_denorm_mode_32 3
		.amdhsa_float_denorm_mode_16_64 3
		.amdhsa_dx10_clamp 1
		.amdhsa_ieee_mode 1
		.amdhsa_fp16_overflow 0
		.amdhsa_workgroup_processor_mode 1
		.amdhsa_memory_ordered 1
		.amdhsa_forward_progress 0
		.amdhsa_shared_vgpr_count 0
		.amdhsa_exception_fp_ieee_invalid_op 0
		.amdhsa_exception_fp_denorm_src 0
		.amdhsa_exception_fp_ieee_div_zero 0
		.amdhsa_exception_fp_ieee_overflow 0
		.amdhsa_exception_fp_ieee_underflow 0
		.amdhsa_exception_fp_ieee_inexact 0
		.amdhsa_exception_int_div_zero 0
	.end_amdhsa_kernel
	.section	.text._ZN2at6native12_GLOBAL__N_125multi_tensor_apply_kernelINS1_28TensorListScalarListMetadataIN3c107complexIdEELi4EEENS1_28PointwiseOpScalarListFunctorIS6_Li4ELi3ELi3EEEJSt7dividesIS6_EEEEvT_T0_DpT1_,"axG",@progbits,_ZN2at6native12_GLOBAL__N_125multi_tensor_apply_kernelINS1_28TensorListScalarListMetadataIN3c107complexIdEELi4EEENS1_28PointwiseOpScalarListFunctorIS6_Li4ELi3ELi3EEEJSt7dividesIS6_EEEEvT_T0_DpT1_,comdat
.Lfunc_end117:
	.size	_ZN2at6native12_GLOBAL__N_125multi_tensor_apply_kernelINS1_28TensorListScalarListMetadataIN3c107complexIdEELi4EEENS1_28PointwiseOpScalarListFunctorIS6_Li4ELi3ELi3EEEJSt7dividesIS6_EEEEvT_T0_DpT1_, .Lfunc_end117-_ZN2at6native12_GLOBAL__N_125multi_tensor_apply_kernelINS1_28TensorListScalarListMetadataIN3c107complexIdEELi4EEENS1_28PointwiseOpScalarListFunctorIS6_Li4ELi3ELi3EEEJSt7dividesIS6_EEEEvT_T0_DpT1_
                                        ; -- End function
	.section	.AMDGPU.csdata,"",@progbits
; Kernel info:
; codeLenInByte = 16048
; NumSgprs: 39
; NumVgprs: 103
; ScratchSize: 0
; MemoryBound: 1
; FloatMode: 240
; IeeeMode: 1
; LDSByteSize: 0 bytes/workgroup (compile time only)
; SGPRBlocks: 4
; VGPRBlocks: 12
; NumSGPRsForWavesPerEU: 39
; NumVGPRsForWavesPerEU: 103
; Occupancy: 12
; WaveLimiterHint : 0
; COMPUTE_PGM_RSRC2:SCRATCH_EN: 0
; COMPUTE_PGM_RSRC2:USER_SGPR: 15
; COMPUTE_PGM_RSRC2:TRAP_HANDLER: 0
; COMPUTE_PGM_RSRC2:TGID_X_EN: 1
; COMPUTE_PGM_RSRC2:TGID_Y_EN: 0
; COMPUTE_PGM_RSRC2:TGID_Z_EN: 0
; COMPUTE_PGM_RSRC2:TIDIG_COMP_CNT: 0
	.section	.text._ZN2at6native12_GLOBAL__N_125multi_tensor_apply_kernelINS1_28TensorListScalarListMetadataIN3c107complexIfEELi4EEENS1_28PointwiseOpScalarListFunctorIS6_Li4ELi3ELi3EEEJSt7dividesIS6_EEEEvT_T0_DpT1_,"axG",@progbits,_ZN2at6native12_GLOBAL__N_125multi_tensor_apply_kernelINS1_28TensorListScalarListMetadataIN3c107complexIfEELi4EEENS1_28PointwiseOpScalarListFunctorIS6_Li4ELi3ELi3EEEJSt7dividesIS6_EEEEvT_T0_DpT1_,comdat
	.globl	_ZN2at6native12_GLOBAL__N_125multi_tensor_apply_kernelINS1_28TensorListScalarListMetadataIN3c107complexIfEELi4EEENS1_28PointwiseOpScalarListFunctorIS6_Li4ELi3ELi3EEEJSt7dividesIS6_EEEEvT_T0_DpT1_ ; -- Begin function _ZN2at6native12_GLOBAL__N_125multi_tensor_apply_kernelINS1_28TensorListScalarListMetadataIN3c107complexIfEELi4EEENS1_28PointwiseOpScalarListFunctorIS6_Li4ELi3ELi3EEEJSt7dividesIS6_EEEEvT_T0_DpT1_
	.p2align	8
	.type	_ZN2at6native12_GLOBAL__N_125multi_tensor_apply_kernelINS1_28TensorListScalarListMetadataIN3c107complexIfEELi4EEENS1_28PointwiseOpScalarListFunctorIS6_Li4ELi3ELi3EEEJSt7dividesIS6_EEEEvT_T0_DpT1_,@function
_ZN2at6native12_GLOBAL__N_125multi_tensor_apply_kernelINS1_28TensorListScalarListMetadataIN3c107complexIfEELi4EEENS1_28PointwiseOpScalarListFunctorIS6_Li4ELi3ELi3EEEJSt7dividesIS6_EEEEvT_T0_DpT1_: ; @_ZN2at6native12_GLOBAL__N_125multi_tensor_apply_kernelINS1_28TensorListScalarListMetadataIN3c107complexIfEELi4EEENS1_28PointwiseOpScalarListFunctorIS6_Li4ELi3ELi3EEEJSt7dividesIS6_EEEEvT_T0_DpT1_
; %bb.0:
	v_mov_b32_e32 v1, s15
	s_add_u32 s2, s0, s15
	s_mul_hi_u32 s3, s15, 3
	s_mul_i32 s15, s15, 3
	s_addc_u32 s4, s1, 0
	global_load_u8 v1, v1, s[0:1] offset:1728
	s_add_u32 s2, s2, s15
	s_addc_u32 s3, s4, s3
	s_load_b32 s10, s[2:3], 0x800
	s_waitcnt lgkmcnt(0)
	s_ashr_i32 s11, s10, 31
	s_delay_alu instid0(SALU_CYCLE_1) | instskip(SKIP_2) | instid1(VALU_DEP_1)
	s_lshl_b64 s[12:13], s[10:11], 19
	s_waitcnt vmcnt(0)
	v_readfirstlane_b32 s5, v1
	s_lshl_b32 s14, s5, 3
	s_clause 0x5
	s_load_b64 s[2:3], s[0:1], s14 offset:0x0
	s_load_b64 s[4:5], s[0:1], s14 offset:0x120
	;; [unrolled: 1-line block ×6, first 2 shown]
	s_waitcnt lgkmcnt(0)
	s_add_u32 s20, s2, s12
	s_addc_u32 s21, s3, s13
	s_add_u32 s22, s4, s12
	s_addc_u32 s23, s5, s13
	s_and_b32 s16, s22, 31
	s_add_u32 s24, s6, s12
	s_addc_u32 s25, s7, s13
	s_add_u32 s26, s18, s12
	s_addc_u32 s27, s19, s13
	s_or_b32 s17, s26, s24
	s_delay_alu instid0(SALU_CYCLE_1) | instskip(NEXT) | instid1(SALU_CYCLE_1)
	s_and_b32 s17, s17, 31
	s_cmp_eq_u32 s17, 0
	s_mov_b32 s17, 0
	s_cselect_b32 s30, -1, 0
	s_and_b32 s28, s20, 31
	s_cmp_eq_u64 s[16:17], 0
	s_mov_b32 s29, s17
	s_cselect_b32 s16, -1, 0
	s_lshl_b64 s[10:11], s[10:11], 16
	s_and_b32 s30, s30, s16
	s_sub_u32 s10, s14, s10
	s_subb_u32 s11, s15, s11
	s_and_b32 s16, s14, 3
	s_delay_alu instid0(SALU_CYCLE_1) | instskip(NEXT) | instid1(SALU_CYCLE_1)
	s_or_b64 s[14:15], s[28:29], s[16:17]
	s_cmp_eq_u64 s[14:15], 0
	s_cselect_b32 s14, -1, 0
	s_delay_alu instid0(SALU_CYCLE_1) | instskip(NEXT) | instid1(SALU_CYCLE_1)
	s_and_b32 s14, s30, s14
	s_and_b32 vcc_lo, exec_lo, s14
	s_mov_b32 s14, -1
	s_cbranch_vccnz .LBB118_109
; %bb.1:
	v_cmp_lt_i64_e64 s14, s[10:11], 1
	s_delay_alu instid0(VALU_DEP_1)
	s_and_b32 vcc_lo, exec_lo, s14
	s_cbranch_vccnz .LBB118_108
; %bb.2:
	s_load_b32 s14, s[0:1], 0xd14
	v_dual_mov_b32 v1, 0 :: v_dual_lshlrev_b32 v2, 3, v0
	v_cmp_gt_u64_e64 s16, 0x10000, s[10:11]
	v_cmp_neq_f32_e64 s31, s8, 1.0
	s_mov_b32 s15, 0
	s_delay_alu instid0(VALU_DEP_3) | instskip(SKIP_1) | instid1(VALU_DEP_1)
	v_mov_b32_e32 v3, v1
	v_add_co_u32 v27, s17, s2, v2
	v_add_co_ci_u32_e64 v28, null, s3, 0, s17
	v_add_co_u32 v29, s17, s4, v2
	s_delay_alu instid0(VALU_DEP_1)
	v_add_co_ci_u32_e64 v30, null, s5, 0, s17
	s_waitcnt lgkmcnt(0)
	s_and_b32 s28, s14, 0xffff
	s_and_b32 s14, s16, exec_lo
	s_cselect_b32 s17, s11, 0
	s_cselect_b32 s16, s10, 0x10000
	s_and_b32 s14, s9, 0x7fffffff
	s_lshl_b32 s29, s28, 1
	s_cmp_lg_u32 s14, 0
	v_add_co_u32 v6, s14, v2, s18
	v_mad_u64_u32 v[4:5], null, s28, 24, v[2:3]
	v_add_co_ci_u32_e64 v7, null, 0, s19, s14
	s_delay_alu instid0(VALU_DEP_3) | instskip(SKIP_1) | instid1(VALU_DEP_2)
	v_add_co_u32 v33, vcc_lo, v6, 4
	s_cselect_b32 s14, -1, 0
	v_add_co_ci_u32_e32 v34, vcc_lo, 0, v7, vcc_lo
	s_delay_alu instid0(VALU_DEP_4)
	v_add_co_u32 v35, vcc_lo, s2, v4
	v_add_co_ci_u32_e32 v36, vcc_lo, s3, v5, vcc_lo
	v_add_co_u32 v37, vcc_lo, s4, v4
	v_add_co_ci_u32_e32 v38, vcc_lo, s5, v5, vcc_lo
	v_add_co_u32 v39, vcc_lo, s6, v4
	s_or_b32 s31, s31, s14
	v_add_co_u32 v31, s14, s6, v2
	v_add_co_ci_u32_e32 v40, vcc_lo, s7, v5, vcc_lo
	v_add_co_u32 v3, vcc_lo, v4, s18
	v_add_co_ci_u32_e64 v32, null, s7, 0, s14
	s_lshl_b32 s14, s28, 4
	v_add_co_ci_u32_e32 v4, vcc_lo, s19, v5, vcc_lo
	v_add_co_u32 v2, s14, s14, v2
	s_delay_alu instid0(VALU_DEP_1) | instskip(SKIP_1) | instid1(VALU_DEP_4)
	v_add_co_ci_u32_e64 v5, null, 0, 0, s14
	v_add_co_u32 v41, vcc_lo, v3, 4
	v_add_co_ci_u32_e32 v42, vcc_lo, 0, v4, vcc_lo
	s_delay_alu instid0(VALU_DEP_4) | instskip(NEXT) | instid1(VALU_DEP_4)
	v_add_co_u32 v43, vcc_lo, s2, v2
	v_add_co_ci_u32_e32 v44, vcc_lo, s3, v5, vcc_lo
	v_add_co_u32 v45, vcc_lo, s4, v2
	v_add_co_ci_u32_e32 v46, vcc_lo, s5, v5, vcc_lo
	v_add_lshl_u32 v3, v0, s28, 3
	v_add_co_u32 v47, vcc_lo, s6, v2
	v_add_co_ci_u32_e32 v48, vcc_lo, s7, v5, vcc_lo
	v_add_co_u32 v2, vcc_lo, v2, s18
	s_delay_alu instid0(VALU_DEP_4)
	v_add_co_u32 v53, s2, s2, v3
	v_add_co_ci_u32_e32 v4, vcc_lo, s19, v5, vcc_lo
	v_add_co_ci_u32_e64 v54, null, s3, 0, s2
	v_add_co_u32 v55, s2, s4, v3
	v_add_co_u32 v49, s14, s18, v3
	v_add_co_u32 v51, vcc_lo, v2, 4
	v_add_co_ci_u32_e64 v56, null, s5, 0, s2
	v_add_co_u32 v57, s2, s6, v3
	v_mov_b32_e32 v2, v1
	v_add_co_ci_u32_e64 v50, null, s19, 0, s14
	v_add_co_ci_u32_e32 v52, vcc_lo, 0, v4, vcc_lo
	v_add_co_ci_u32_e64 v58, null, s7, 0, s2
	v_mov_b32_e32 v1, v0
	s_lshl_b32 s14, s28, 2
	s_mul_i32 s30, s28, 3
	s_lshl_b32 s33, s28, 5
	s_mov_b64 s[18:19], s[14:15]
	s_branch .LBB118_4
.LBB118_3:                              ;   in Loop: Header=BB118_4 Depth=1
	s_or_b32 exec_lo, exec_lo, s2
	v_add_co_u32 v27, vcc_lo, v27, s33
	v_add_co_ci_u32_e32 v28, vcc_lo, 0, v28, vcc_lo
	v_add_co_u32 v29, vcc_lo, v29, s33
	v_add_co_ci_u32_e32 v30, vcc_lo, 0, v30, vcc_lo
	;; [unrolled: 2-line block ×15, first 2 shown]
	v_cmp_ge_i64_e64 s2, s[18:19], s[10:11]
	v_cmp_lt_u64_e64 s3, 0xffff, s[18:19]
	v_add_co_u32 v55, vcc_lo, v55, s33
	v_add_co_ci_u32_e32 v56, vcc_lo, 0, v56, vcc_lo
	v_add_co_u32 v57, vcc_lo, v57, s33
	v_add_co_ci_u32_e32 v58, vcc_lo, 0, v58, vcc_lo
	s_or_b32 s2, s2, s3
	s_add_u32 s18, s18, s14
	s_addc_u32 s19, s19, 0
	s_and_b32 vcc_lo, exec_lo, s2
	s_cbranch_vccnz .LBB118_108
.LBB118_4:                              ; =>This Inner Loop Header: Depth=1
	v_cmp_gt_u64_e64 s2, s[16:17], v[1:2]
	v_dual_mov_b32 v24, 0 :: v_dual_mov_b32 v23, 0
	v_dual_mov_b32 v4, 0 :: v_dual_mov_b32 v3, 0
	s_delay_alu instid0(VALU_DEP_3)
	s_and_saveexec_b32 s3, s2
	s_cbranch_execz .LBB118_6
; %bb.5:                                ;   in Loop: Header=BB118_4 Depth=1
	v_add_co_u32 v3, vcc_lo, v27, s12
	v_add_co_ci_u32_e32 v4, vcc_lo, s13, v28, vcc_lo
	v_add_co_u32 v5, vcc_lo, v29, s12
	v_add_co_ci_u32_e32 v6, vcc_lo, s13, v30, vcc_lo
	global_load_b64 v[3:4], v[3:4], off
	global_load_b64 v[23:24], v[5:6], off
.LBB118_6:                              ;   in Loop: Header=BB118_4 Depth=1
	s_or_b32 exec_lo, exec_lo, s3
	v_dual_mov_b32 v20, 0 :: v_dual_mov_b32 v25, 0
	v_mov_b32_e32 v26, 0
	s_and_saveexec_b32 s3, s2
	s_cbranch_execz .LBB118_8
; %bb.7:                                ;   in Loop: Header=BB118_4 Depth=1
	v_add_co_u32 v5, vcc_lo, v31, s12
	v_add_co_ci_u32_e32 v6, vcc_lo, s13, v32, vcc_lo
	global_load_b64 v[25:26], v[5:6], off
.LBB118_8:                              ;   in Loop: Header=BB118_4 Depth=1
	s_or_b32 exec_lo, exec_lo, s3
	v_add_co_u32 v5, vcc_lo, s28, v1
	v_add_co_ci_u32_e32 v6, vcc_lo, 0, v2, vcc_lo
	v_mov_b32_e32 v19, 0
	s_delay_alu instid0(VALU_DEP_2) | instskip(SKIP_1) | instid1(VALU_DEP_2)
	v_cmp_gt_u64_e64 s3, s[16:17], v[5:6]
	v_dual_mov_b32 v6, 0 :: v_dual_mov_b32 v5, 0
	s_and_saveexec_b32 s4, s3
	s_cbranch_execz .LBB118_10
; %bb.9:                                ;   in Loop: Header=BB118_4 Depth=1
	v_add_co_u32 v5, vcc_lo, v53, s12
	v_add_co_ci_u32_e32 v6, vcc_lo, s13, v54, vcc_lo
	v_add_co_u32 v7, vcc_lo, v55, s12
	v_add_co_ci_u32_e32 v8, vcc_lo, s13, v56, vcc_lo
	global_load_b64 v[5:6], v[5:6], off
	global_load_b64 v[19:20], v[7:8], off
.LBB118_10:                             ;   in Loop: Header=BB118_4 Depth=1
	s_or_b32 exec_lo, exec_lo, s4
	v_dual_mov_b32 v16, 0 :: v_dual_mov_b32 v21, 0
	v_mov_b32_e32 v22, 0
	s_and_saveexec_b32 s4, s3
	s_cbranch_execz .LBB118_12
; %bb.11:                               ;   in Loop: Header=BB118_4 Depth=1
	v_add_co_u32 v7, vcc_lo, v57, s12
	v_add_co_ci_u32_e32 v8, vcc_lo, s13, v58, vcc_lo
	global_load_b64 v[21:22], v[7:8], off
.LBB118_12:                             ;   in Loop: Header=BB118_4 Depth=1
	s_or_b32 exec_lo, exec_lo, s4
	v_add_co_u32 v7, vcc_lo, s29, v1
	v_add_co_ci_u32_e32 v8, vcc_lo, 0, v2, vcc_lo
	v_mov_b32_e32 v15, 0
	s_delay_alu instid0(VALU_DEP_2) | instskip(SKIP_1) | instid1(VALU_DEP_2)
	v_cmp_gt_u64_e64 s4, s[16:17], v[7:8]
	v_dual_mov_b32 v8, 0 :: v_dual_mov_b32 v7, 0
	s_and_saveexec_b32 s5, s4
	s_cbranch_execz .LBB118_14
; %bb.13:                               ;   in Loop: Header=BB118_4 Depth=1
	v_add_co_u32 v7, vcc_lo, v43, s12
	v_add_co_ci_u32_e32 v8, vcc_lo, s13, v44, vcc_lo
	v_add_co_u32 v9, vcc_lo, v45, s12
	v_add_co_ci_u32_e32 v10, vcc_lo, s13, v46, vcc_lo
	global_load_b64 v[7:8], v[7:8], off
	global_load_b64 v[15:16], v[9:10], off
.LBB118_14:                             ;   in Loop: Header=BB118_4 Depth=1
	s_or_b32 exec_lo, exec_lo, s5
	v_dual_mov_b32 v12, 0 :: v_dual_mov_b32 v17, 0
	v_mov_b32_e32 v18, 0
	s_and_saveexec_b32 s5, s4
	s_cbranch_execz .LBB118_16
; %bb.15:                               ;   in Loop: Header=BB118_4 Depth=1
	v_add_co_u32 v9, vcc_lo, v47, s12
	v_add_co_ci_u32_e32 v10, vcc_lo, s13, v48, vcc_lo
	global_load_b64 v[17:18], v[9:10], off
.LBB118_16:                             ;   in Loop: Header=BB118_4 Depth=1
	s_or_b32 exec_lo, exec_lo, s5
	v_add_co_u32 v9, vcc_lo, s30, v1
	v_add_co_ci_u32_e32 v10, vcc_lo, 0, v2, vcc_lo
	v_mov_b32_e32 v11, 0
	s_delay_alu instid0(VALU_DEP_2) | instskip(SKIP_1) | instid1(VALU_DEP_2)
	v_cmp_gt_u64_e64 s5, s[16:17], v[9:10]
	v_dual_mov_b32 v10, 0 :: v_dual_mov_b32 v9, 0
	s_and_saveexec_b32 s6, s5
	s_cbranch_execz .LBB118_18
; %bb.17:                               ;   in Loop: Header=BB118_4 Depth=1
	v_add_co_u32 v9, vcc_lo, v35, s12
	v_add_co_ci_u32_e32 v10, vcc_lo, s13, v36, vcc_lo
	v_add_co_u32 v11, vcc_lo, v37, s12
	v_add_co_ci_u32_e32 v12, vcc_lo, s13, v38, vcc_lo
	global_load_b64 v[9:10], v[9:10], off
	global_load_b64 v[11:12], v[11:12], off
.LBB118_18:                             ;   in Loop: Header=BB118_4 Depth=1
	s_or_b32 exec_lo, exec_lo, s6
	v_dual_mov_b32 v14, 0 :: v_dual_mov_b32 v13, 0
	s_and_saveexec_b32 s6, s5
	s_cbranch_execz .LBB118_20
; %bb.19:                               ;   in Loop: Header=BB118_4 Depth=1
	v_add_co_u32 v13, vcc_lo, v39, s12
	v_add_co_ci_u32_e32 v14, vcc_lo, s13, v40, vcc_lo
	global_load_b64 v[13:14], v[13:14], off
.LBB118_20:                             ;   in Loop: Header=BB118_4 Depth=1
	s_or_b32 exec_lo, exec_lo, s6
	s_waitcnt vmcnt(0)
	v_cmp_gt_f32_e32 vcc_lo, 0, v25
	v_cndmask_b32_e64 v61, v25, -v25, vcc_lo
	v_cmp_gt_f32_e32 vcc_lo, 0, v26
	v_cndmask_b32_e64 v62, v26, -v26, vcc_lo
	s_and_b32 vcc_lo, exec_lo, s31
	s_delay_alu instid0(VALU_DEP_1)
	v_cmp_ge_f32_e64 s6, v61, v62
	s_cbranch_vccz .LBB118_30
; %bb.21:                               ;   in Loop: Header=BB118_4 Depth=1
                                        ; implicit-def: $vgpr59
                                        ; implicit-def: $vgpr63
	s_delay_alu instid0(VALU_DEP_1) | instskip(NEXT) | instid1(SALU_CYCLE_1)
	s_and_saveexec_b32 s7, s6
	s_xor_b32 s15, exec_lo, s7
	s_cbranch_execz .LBB118_27
; %bb.22:                               ;   in Loop: Header=BB118_4 Depth=1
	v_cmp_neq_f32_e32 vcc_lo, 0, v25
	v_cmp_neq_f32_e64 s7, 0, v26
                                        ; implicit-def: $vgpr59
                                        ; implicit-def: $vgpr63
	s_delay_alu instid0(VALU_DEP_1) | instskip(NEXT) | instid1(SALU_CYCLE_1)
	s_or_b32 s7, s7, vcc_lo
	s_and_saveexec_b32 s34, s7
	s_delay_alu instid0(SALU_CYCLE_1)
	s_xor_b32 s7, exec_lo, s34
	s_cbranch_execz .LBB118_24
; %bb.23:                               ;   in Loop: Header=BB118_4 Depth=1
	v_div_scale_f32 v59, null, v25, v25, v26
	v_div_scale_f32 v64, vcc_lo, v26, v25, v26
	s_delay_alu instid0(VALU_DEP_2) | instskip(SKIP_2) | instid1(VALU_DEP_1)
	v_rcp_f32_e32 v60, v59
	s_waitcnt_depctr 0xfff
	v_fma_f32 v63, -v59, v60, 1.0
	v_fmac_f32_e32 v60, v63, v60
	s_delay_alu instid0(VALU_DEP_1) | instskip(NEXT) | instid1(VALU_DEP_1)
	v_mul_f32_e32 v63, v64, v60
	v_fma_f32 v65, -v59, v63, v64
	s_delay_alu instid0(VALU_DEP_1) | instskip(NEXT) | instid1(VALU_DEP_1)
	v_fmac_f32_e32 v63, v65, v60
	v_fma_f32 v59, -v59, v63, v64
	s_delay_alu instid0(VALU_DEP_1) | instskip(NEXT) | instid1(VALU_DEP_1)
	v_div_fmas_f32 v59, v59, v60, v63
	v_div_fixup_f32 v59, v59, v25, v26
	s_delay_alu instid0(VALU_DEP_1) | instskip(NEXT) | instid1(VALU_DEP_1)
	v_fma_f32 v60, v26, v59, v25
	v_div_scale_f32 v63, null, v60, v60, 1.0
	v_div_scale_f32 v66, vcc_lo, 1.0, v60, 1.0
	s_delay_alu instid0(VALU_DEP_2) | instskip(SKIP_2) | instid1(VALU_DEP_1)
	v_rcp_f32_e32 v64, v63
	s_waitcnt_depctr 0xfff
	v_fma_f32 v65, -v63, v64, 1.0
	v_fmac_f32_e32 v64, v65, v64
	s_delay_alu instid0(VALU_DEP_1) | instskip(NEXT) | instid1(VALU_DEP_1)
	v_mul_f32_e32 v65, v66, v64
	v_fma_f32 v67, -v63, v65, v66
	s_delay_alu instid0(VALU_DEP_1) | instskip(NEXT) | instid1(VALU_DEP_1)
	v_fmac_f32_e32 v65, v67, v64
	v_fma_f32 v63, -v63, v65, v66
	s_delay_alu instid0(VALU_DEP_1) | instskip(SKIP_2) | instid1(VALU_DEP_3)
	v_div_fmas_f32 v63, v63, v64, v65
	v_fma_f32 v64, v24, v59, v23
	v_fma_f32 v59, -v23, v59, v24
	v_div_fixup_f32 v60, v63, v60, 1.0
	s_delay_alu instid0(VALU_DEP_1) | instskip(NEXT) | instid1(VALU_DEP_3)
	v_mul_f32_e32 v63, v64, v60
	v_mul_f32_e32 v59, v59, v60
.LBB118_24:                             ;   in Loop: Header=BB118_4 Depth=1
	s_and_not1_saveexec_b32 s34, s7
	s_cbranch_execz .LBB118_26
; %bb.25:                               ;   in Loop: Header=BB118_4 Depth=1
	v_div_scale_f32 v59, null, v61, v61, v23
	v_div_scale_f32 v60, null, v62, v62, v24
	v_div_scale_f32 v67, vcc_lo, v23, v61, v23
	s_delay_alu instid0(VALU_DEP_3) | instskip(NEXT) | instid1(VALU_DEP_2)
	v_rcp_f32_e32 v63, v59
	v_rcp_f32_e32 v64, v60
	s_waitcnt_depctr 0xfff
	v_fma_f32 v65, -v59, v63, 1.0
	v_fma_f32 v66, -v60, v64, 1.0
	s_delay_alu instid0(VALU_DEP_1) | instskip(SKIP_1) | instid1(VALU_DEP_2)
	v_dual_fmac_f32 v63, v65, v63 :: v_dual_fmac_f32 v64, v66, v64
	v_div_scale_f32 v65, s7, v24, v62, v24
	v_mul_f32_e32 v66, v67, v63
	s_delay_alu instid0(VALU_DEP_2) | instskip(NEXT) | instid1(VALU_DEP_2)
	v_mul_f32_e32 v68, v65, v64
	v_fma_f32 v69, -v59, v66, v67
	s_delay_alu instid0(VALU_DEP_2) | instskip(NEXT) | instid1(VALU_DEP_2)
	v_fma_f32 v70, -v60, v68, v65
	v_fmac_f32_e32 v66, v69, v63
	s_delay_alu instid0(VALU_DEP_2) | instskip(NEXT) | instid1(VALU_DEP_2)
	v_fmac_f32_e32 v68, v70, v64
	v_fma_f32 v59, -v59, v66, v67
	s_delay_alu instid0(VALU_DEP_2) | instskip(NEXT) | instid1(VALU_DEP_2)
	v_fma_f32 v60, -v60, v68, v65
	v_div_fmas_f32 v59, v59, v63, v66
	s_mov_b32 vcc_lo, s7
	s_delay_alu instid0(VALU_DEP_2) | instskip(NEXT) | instid1(VALU_DEP_2)
	v_div_fmas_f32 v60, v60, v64, v68
	v_div_fixup_f32 v63, v59, v61, v23
	s_delay_alu instid0(VALU_DEP_2)
	v_div_fixup_f32 v59, v60, v62, v24
.LBB118_26:                             ;   in Loop: Header=BB118_4 Depth=1
	s_or_b32 exec_lo, exec_lo, s34
.LBB118_27:                             ;   in Loop: Header=BB118_4 Depth=1
	s_and_not1_saveexec_b32 s7, s15
	s_cbranch_execz .LBB118_29
; %bb.28:                               ;   in Loop: Header=BB118_4 Depth=1
	v_div_scale_f32 v59, null, v26, v26, v25
	v_div_scale_f32 v64, vcc_lo, v25, v26, v25
	s_delay_alu instid0(VALU_DEP_2) | instskip(SKIP_2) | instid1(VALU_DEP_1)
	v_rcp_f32_e32 v60, v59
	s_waitcnt_depctr 0xfff
	v_fma_f32 v63, -v59, v60, 1.0
	v_fmac_f32_e32 v60, v63, v60
	s_delay_alu instid0(VALU_DEP_1) | instskip(NEXT) | instid1(VALU_DEP_1)
	v_mul_f32_e32 v63, v64, v60
	v_fma_f32 v65, -v59, v63, v64
	s_delay_alu instid0(VALU_DEP_1) | instskip(NEXT) | instid1(VALU_DEP_1)
	v_fmac_f32_e32 v63, v65, v60
	v_fma_f32 v59, -v59, v63, v64
	s_delay_alu instid0(VALU_DEP_1) | instskip(NEXT) | instid1(VALU_DEP_1)
	v_div_fmas_f32 v59, v59, v60, v63
	v_div_fixup_f32 v59, v59, v26, v25
	s_delay_alu instid0(VALU_DEP_1) | instskip(NEXT) | instid1(VALU_DEP_1)
	v_fma_f32 v60, v25, v59, v26
	v_div_scale_f32 v63, null, v60, v60, 1.0
	v_div_scale_f32 v66, vcc_lo, 1.0, v60, 1.0
	s_delay_alu instid0(VALU_DEP_2) | instskip(SKIP_2) | instid1(VALU_DEP_1)
	v_rcp_f32_e32 v64, v63
	s_waitcnt_depctr 0xfff
	v_fma_f32 v65, -v63, v64, 1.0
	v_fmac_f32_e32 v64, v65, v64
	s_delay_alu instid0(VALU_DEP_1) | instskip(NEXT) | instid1(VALU_DEP_1)
	v_mul_f32_e32 v65, v66, v64
	v_fma_f32 v67, -v63, v65, v66
	s_delay_alu instid0(VALU_DEP_1) | instskip(NEXT) | instid1(VALU_DEP_1)
	v_fmac_f32_e32 v65, v67, v64
	v_fma_f32 v63, -v63, v65, v66
	s_delay_alu instid0(VALU_DEP_1) | instskip(SKIP_2) | instid1(VALU_DEP_3)
	v_div_fmas_f32 v63, v63, v64, v65
	v_fma_f32 v64, v23, v59, v24
	v_fma_f32 v59, v24, v59, -v23
	v_div_fixup_f32 v60, v63, v60, 1.0
	s_delay_alu instid0(VALU_DEP_1) | instskip(NEXT) | instid1(VALU_DEP_3)
	v_mul_f32_e32 v63, v64, v60
	v_mul_f32_e32 v59, v59, v60
.LBB118_29:                             ;   in Loop: Header=BB118_4 Depth=1
	s_or_b32 exec_lo, exec_lo, s7
	s_delay_alu instid0(VALU_DEP_1) | instskip(SKIP_1) | instid1(VALU_DEP_2)
	v_mul_f32_e32 v60, s9, v59
	v_mul_f32_e32 v59, s8, v59
	v_fma_f32 v60, v63, s8, -v60
	s_delay_alu instid0(VALU_DEP_2)
	v_fmac_f32_e32 v59, s9, v63
	s_branch .LBB118_40
.LBB118_30:                             ;   in Loop: Header=BB118_4 Depth=1
                                        ; implicit-def: $vgpr59
                                        ; implicit-def: $vgpr60
	s_cbranch_execz .LBB118_40
; %bb.31:                               ;   in Loop: Header=BB118_4 Depth=1
                                        ; implicit-def: $vgpr59
                                        ; implicit-def: $vgpr60
	s_delay_alu instid0(VALU_DEP_1) | instskip(NEXT) | instid1(SALU_CYCLE_1)
	s_and_saveexec_b32 s7, s6
	s_xor_b32 s7, exec_lo, s7
	s_cbranch_execz .LBB118_37
; %bb.32:                               ;   in Loop: Header=BB118_4 Depth=1
	v_cmp_neq_f32_e32 vcc_lo, 0, v25
	v_cmp_neq_f32_e64 s6, 0, v26
                                        ; implicit-def: $vgpr59
                                        ; implicit-def: $vgpr60
	s_delay_alu instid0(VALU_DEP_1) | instskip(NEXT) | instid1(SALU_CYCLE_1)
	s_or_b32 s6, s6, vcc_lo
	s_and_saveexec_b32 s15, s6
	s_delay_alu instid0(SALU_CYCLE_1)
	s_xor_b32 s6, exec_lo, s15
	s_cbranch_execz .LBB118_34
; %bb.33:                               ;   in Loop: Header=BB118_4 Depth=1
	v_div_scale_f32 v59, null, v25, v25, v26
	v_div_scale_f32 v62, vcc_lo, v26, v25, v26
	s_delay_alu instid0(VALU_DEP_2) | instskip(SKIP_2) | instid1(VALU_DEP_1)
	v_rcp_f32_e32 v60, v59
	s_waitcnt_depctr 0xfff
	v_fma_f32 v61, -v59, v60, 1.0
	v_fmac_f32_e32 v60, v61, v60
	s_delay_alu instid0(VALU_DEP_1) | instskip(NEXT) | instid1(VALU_DEP_1)
	v_mul_f32_e32 v61, v62, v60
	v_fma_f32 v63, -v59, v61, v62
	s_delay_alu instid0(VALU_DEP_1) | instskip(NEXT) | instid1(VALU_DEP_1)
	v_fmac_f32_e32 v61, v63, v60
	v_fma_f32 v59, -v59, v61, v62
	s_delay_alu instid0(VALU_DEP_1) | instskip(NEXT) | instid1(VALU_DEP_1)
	v_div_fmas_f32 v59, v59, v60, v61
	v_div_fixup_f32 v59, v59, v25, v26
	s_delay_alu instid0(VALU_DEP_1) | instskip(NEXT) | instid1(VALU_DEP_1)
	v_fmac_f32_e32 v25, v26, v59
	v_div_scale_f32 v26, null, v25, v25, 1.0
	v_div_scale_f32 v62, vcc_lo, 1.0, v25, 1.0
	s_delay_alu instid0(VALU_DEP_2) | instskip(SKIP_2) | instid1(VALU_DEP_1)
	v_rcp_f32_e32 v60, v26
	s_waitcnt_depctr 0xfff
	v_fma_f32 v61, -v26, v60, 1.0
	v_fmac_f32_e32 v60, v61, v60
	s_delay_alu instid0(VALU_DEP_1) | instskip(NEXT) | instid1(VALU_DEP_1)
	v_mul_f32_e32 v61, v62, v60
	v_fma_f32 v63, -v26, v61, v62
	s_delay_alu instid0(VALU_DEP_1) | instskip(NEXT) | instid1(VALU_DEP_1)
	v_fmac_f32_e32 v61, v63, v60
	v_fma_f32 v26, -v26, v61, v62
                                        ; implicit-def: $vgpr62
	s_delay_alu instid0(VALU_DEP_1) | instskip(SKIP_2) | instid1(VALU_DEP_3)
	v_div_fmas_f32 v26, v26, v60, v61
	v_fma_f32 v60, v24, v59, v23
	v_fma_f32 v23, -v23, v59, v24
                                        ; implicit-def: $vgpr61
	v_div_fixup_f32 v25, v26, v25, 1.0
	s_delay_alu instid0(VALU_DEP_1) | instskip(NEXT) | instid1(VALU_DEP_4)
	v_mul_f32_e32 v59, v23, v25
	v_mul_f32_e32 v60, v60, v25
                                        ; implicit-def: $vgpr23
.LBB118_34:                             ;   in Loop: Header=BB118_4 Depth=1
	s_and_not1_saveexec_b32 s15, s6
	s_cbranch_execz .LBB118_36
; %bb.35:                               ;   in Loop: Header=BB118_4 Depth=1
	v_div_scale_f32 v25, null, v61, v61, v23
	v_div_scale_f32 v26, null, v62, v62, v24
	v_div_scale_f32 v65, vcc_lo, v23, v61, v23
	s_delay_alu instid0(VALU_DEP_3) | instskip(NEXT) | instid1(VALU_DEP_2)
	v_rcp_f32_e32 v59, v25
	v_rcp_f32_e32 v60, v26
	s_waitcnt_depctr 0xfff
	v_fma_f32 v63, -v25, v59, 1.0
	v_fma_f32 v64, -v26, v60, 1.0
	s_delay_alu instid0(VALU_DEP_1) | instskip(SKIP_1) | instid1(VALU_DEP_2)
	v_dual_fmac_f32 v59, v63, v59 :: v_dual_fmac_f32 v60, v64, v60
	v_div_scale_f32 v63, s6, v24, v62, v24
	v_mul_f32_e32 v64, v65, v59
	s_delay_alu instid0(VALU_DEP_2) | instskip(NEXT) | instid1(VALU_DEP_2)
	v_mul_f32_e32 v66, v63, v60
	v_fma_f32 v67, -v25, v64, v65
	s_delay_alu instid0(VALU_DEP_2) | instskip(NEXT) | instid1(VALU_DEP_2)
	v_fma_f32 v68, -v26, v66, v63
	v_fmac_f32_e32 v64, v67, v59
	s_delay_alu instid0(VALU_DEP_2) | instskip(NEXT) | instid1(VALU_DEP_2)
	v_fmac_f32_e32 v66, v68, v60
	v_fma_f32 v25, -v25, v64, v65
	s_delay_alu instid0(VALU_DEP_2) | instskip(NEXT) | instid1(VALU_DEP_2)
	v_fma_f32 v26, -v26, v66, v63
	v_div_fmas_f32 v25, v25, v59, v64
	s_mov_b32 vcc_lo, s6
	s_delay_alu instid0(VALU_DEP_2) | instskip(NEXT) | instid1(VALU_DEP_2)
	v_div_fmas_f32 v26, v26, v60, v66
	v_div_fixup_f32 v60, v25, v61, v23
	s_delay_alu instid0(VALU_DEP_2)
	v_div_fixup_f32 v59, v26, v62, v24
.LBB118_36:                             ;   in Loop: Header=BB118_4 Depth=1
	s_or_b32 exec_lo, exec_lo, s15
                                        ; implicit-def: $vgpr26
                                        ; implicit-def: $vgpr23
.LBB118_37:                             ;   in Loop: Header=BB118_4 Depth=1
	s_and_not1_saveexec_b32 s6, s7
	s_cbranch_execz .LBB118_39
; %bb.38:                               ;   in Loop: Header=BB118_4 Depth=1
	v_div_scale_f32 v59, null, v26, v26, v25
	v_div_scale_f32 v62, vcc_lo, v25, v26, v25
	s_delay_alu instid0(VALU_DEP_2) | instskip(SKIP_2) | instid1(VALU_DEP_1)
	v_rcp_f32_e32 v60, v59
	s_waitcnt_depctr 0xfff
	v_fma_f32 v61, -v59, v60, 1.0
	v_fmac_f32_e32 v60, v61, v60
	s_delay_alu instid0(VALU_DEP_1) | instskip(NEXT) | instid1(VALU_DEP_1)
	v_mul_f32_e32 v61, v62, v60
	v_fma_f32 v63, -v59, v61, v62
	s_delay_alu instid0(VALU_DEP_1) | instskip(NEXT) | instid1(VALU_DEP_1)
	v_fmac_f32_e32 v61, v63, v60
	v_fma_f32 v59, -v59, v61, v62
	s_delay_alu instid0(VALU_DEP_1) | instskip(NEXT) | instid1(VALU_DEP_1)
	v_div_fmas_f32 v59, v59, v60, v61
	v_div_fixup_f32 v59, v59, v26, v25
	s_delay_alu instid0(VALU_DEP_1) | instskip(NEXT) | instid1(VALU_DEP_1)
	v_fmac_f32_e32 v26, v25, v59
	v_div_scale_f32 v25, null, v26, v26, 1.0
	v_div_scale_f32 v62, vcc_lo, 1.0, v26, 1.0
	s_delay_alu instid0(VALU_DEP_2) | instskip(SKIP_2) | instid1(VALU_DEP_1)
	v_rcp_f32_e32 v60, v25
	s_waitcnt_depctr 0xfff
	v_fma_f32 v61, -v25, v60, 1.0
	v_fmac_f32_e32 v60, v61, v60
	s_delay_alu instid0(VALU_DEP_1) | instskip(NEXT) | instid1(VALU_DEP_1)
	v_mul_f32_e32 v61, v62, v60
	v_fma_f32 v63, -v25, v61, v62
	s_delay_alu instid0(VALU_DEP_1) | instskip(NEXT) | instid1(VALU_DEP_1)
	v_fmac_f32_e32 v61, v63, v60
	v_fma_f32 v25, -v25, v61, v62
	s_delay_alu instid0(VALU_DEP_1) | instskip(SKIP_2) | instid1(VALU_DEP_3)
	v_div_fmas_f32 v25, v25, v60, v61
	v_fma_f32 v60, v23, v59, v24
	v_fma_f32 v23, v24, v59, -v23
	v_div_fixup_f32 v25, v25, v26, 1.0
	s_delay_alu instid0(VALU_DEP_1) | instskip(NEXT) | instid1(VALU_DEP_3)
	v_mul_f32_e32 v60, v60, v25
	v_mul_f32_e32 v59, v23, v25
.LBB118_39:                             ;   in Loop: Header=BB118_4 Depth=1
	s_or_b32 exec_lo, exec_lo, s6
.LBB118_40:                             ;   in Loop: Header=BB118_4 Depth=1
	v_cmp_gt_f32_e32 vcc_lo, 0, v21
	v_cndmask_b32_e64 v25, v21, -v21, vcc_lo
	v_cmp_gt_f32_e32 vcc_lo, 0, v22
	v_cndmask_b32_e64 v26, v22, -v22, vcc_lo
	s_and_not1_b32 vcc_lo, exec_lo, s31
	s_delay_alu instid0(VALU_DEP_1)
	v_cmp_ge_f32_e64 s6, v25, v26
	s_cbranch_vccnz .LBB118_50
; %bb.41:                               ;   in Loop: Header=BB118_4 Depth=1
                                        ; implicit-def: $vgpr23
                                        ; implicit-def: $vgpr61
	s_delay_alu instid0(VALU_DEP_1) | instskip(NEXT) | instid1(SALU_CYCLE_1)
	s_and_saveexec_b32 s7, s6
	s_xor_b32 s15, exec_lo, s7
	s_cbranch_execz .LBB118_47
; %bb.42:                               ;   in Loop: Header=BB118_4 Depth=1
	v_cmp_neq_f32_e32 vcc_lo, 0, v21
	v_cmp_neq_f32_e64 s7, 0, v22
                                        ; implicit-def: $vgpr23
                                        ; implicit-def: $vgpr61
	s_delay_alu instid0(VALU_DEP_1) | instskip(NEXT) | instid1(SALU_CYCLE_1)
	s_or_b32 s7, s7, vcc_lo
	s_and_saveexec_b32 s34, s7
	s_delay_alu instid0(SALU_CYCLE_1)
	s_xor_b32 s7, exec_lo, s34
	s_cbranch_execz .LBB118_44
; %bb.43:                               ;   in Loop: Header=BB118_4 Depth=1
	v_div_scale_f32 v23, null, v21, v21, v22
	v_div_scale_f32 v62, vcc_lo, v22, v21, v22
	s_delay_alu instid0(VALU_DEP_2) | instskip(SKIP_2) | instid1(VALU_DEP_1)
	v_rcp_f32_e32 v24, v23
	s_waitcnt_depctr 0xfff
	v_fma_f32 v61, -v23, v24, 1.0
	v_fmac_f32_e32 v24, v61, v24
	s_delay_alu instid0(VALU_DEP_1) | instskip(NEXT) | instid1(VALU_DEP_1)
	v_mul_f32_e32 v61, v62, v24
	v_fma_f32 v63, -v23, v61, v62
	s_delay_alu instid0(VALU_DEP_1) | instskip(NEXT) | instid1(VALU_DEP_1)
	v_fmac_f32_e32 v61, v63, v24
	v_fma_f32 v23, -v23, v61, v62
	s_delay_alu instid0(VALU_DEP_1) | instskip(NEXT) | instid1(VALU_DEP_1)
	v_div_fmas_f32 v23, v23, v24, v61
	v_div_fixup_f32 v23, v23, v21, v22
	s_delay_alu instid0(VALU_DEP_1) | instskip(NEXT) | instid1(VALU_DEP_1)
	v_fma_f32 v24, v22, v23, v21
	v_div_scale_f32 v61, null, v24, v24, 1.0
	v_div_scale_f32 v64, vcc_lo, 1.0, v24, 1.0
	s_delay_alu instid0(VALU_DEP_2) | instskip(SKIP_2) | instid1(VALU_DEP_1)
	v_rcp_f32_e32 v62, v61
	s_waitcnt_depctr 0xfff
	v_fma_f32 v63, -v61, v62, 1.0
	v_fmac_f32_e32 v62, v63, v62
	s_delay_alu instid0(VALU_DEP_1) | instskip(NEXT) | instid1(VALU_DEP_1)
	v_mul_f32_e32 v63, v64, v62
	v_fma_f32 v65, -v61, v63, v64
	s_delay_alu instid0(VALU_DEP_1) | instskip(NEXT) | instid1(VALU_DEP_1)
	v_fmac_f32_e32 v63, v65, v62
	v_fma_f32 v61, -v61, v63, v64
	s_delay_alu instid0(VALU_DEP_1) | instskip(SKIP_2) | instid1(VALU_DEP_3)
	v_div_fmas_f32 v61, v61, v62, v63
	v_fma_f32 v62, v20, v23, v19
	v_fma_f32 v23, -v19, v23, v20
	v_div_fixup_f32 v24, v61, v24, 1.0
	s_delay_alu instid0(VALU_DEP_1) | instskip(NEXT) | instid1(VALU_DEP_3)
	v_mul_f32_e32 v61, v62, v24
	v_mul_f32_e32 v23, v23, v24
.LBB118_44:                             ;   in Loop: Header=BB118_4 Depth=1
	s_and_not1_saveexec_b32 s34, s7
	s_cbranch_execz .LBB118_46
; %bb.45:                               ;   in Loop: Header=BB118_4 Depth=1
	v_div_scale_f32 v23, null, v25, v25, v19
	v_div_scale_f32 v24, null, v26, v26, v20
	v_div_scale_f32 v65, vcc_lo, v19, v25, v19
	s_delay_alu instid0(VALU_DEP_3) | instskip(NEXT) | instid1(VALU_DEP_2)
	v_rcp_f32_e32 v61, v23
	v_rcp_f32_e32 v62, v24
	s_waitcnt_depctr 0xfff
	v_fma_f32 v63, -v23, v61, 1.0
	v_fma_f32 v64, -v24, v62, 1.0
	s_delay_alu instid0(VALU_DEP_1) | instskip(SKIP_1) | instid1(VALU_DEP_2)
	v_dual_fmac_f32 v61, v63, v61 :: v_dual_fmac_f32 v62, v64, v62
	v_div_scale_f32 v63, s7, v20, v26, v20
	v_mul_f32_e32 v64, v65, v61
	s_delay_alu instid0(VALU_DEP_2) | instskip(NEXT) | instid1(VALU_DEP_2)
	v_mul_f32_e32 v66, v63, v62
	v_fma_f32 v67, -v23, v64, v65
	s_delay_alu instid0(VALU_DEP_2) | instskip(NEXT) | instid1(VALU_DEP_2)
	v_fma_f32 v68, -v24, v66, v63
	v_fmac_f32_e32 v64, v67, v61
	s_delay_alu instid0(VALU_DEP_2) | instskip(NEXT) | instid1(VALU_DEP_2)
	v_fmac_f32_e32 v66, v68, v62
	v_fma_f32 v23, -v23, v64, v65
	s_delay_alu instid0(VALU_DEP_2) | instskip(NEXT) | instid1(VALU_DEP_2)
	v_fma_f32 v24, -v24, v66, v63
	v_div_fmas_f32 v23, v23, v61, v64
	s_mov_b32 vcc_lo, s7
	s_delay_alu instid0(VALU_DEP_2) | instskip(NEXT) | instid1(VALU_DEP_2)
	v_div_fmas_f32 v24, v24, v62, v66
	v_div_fixup_f32 v61, v23, v25, v19
	s_delay_alu instid0(VALU_DEP_2)
	v_div_fixup_f32 v23, v24, v26, v20
.LBB118_46:                             ;   in Loop: Header=BB118_4 Depth=1
	s_or_b32 exec_lo, exec_lo, s34
.LBB118_47:                             ;   in Loop: Header=BB118_4 Depth=1
	s_and_not1_saveexec_b32 s7, s15
	s_cbranch_execz .LBB118_49
; %bb.48:                               ;   in Loop: Header=BB118_4 Depth=1
	v_div_scale_f32 v23, null, v22, v22, v21
	v_div_scale_f32 v62, vcc_lo, v21, v22, v21
	s_delay_alu instid0(VALU_DEP_2) | instskip(SKIP_2) | instid1(VALU_DEP_1)
	v_rcp_f32_e32 v24, v23
	s_waitcnt_depctr 0xfff
	v_fma_f32 v61, -v23, v24, 1.0
	v_fmac_f32_e32 v24, v61, v24
	s_delay_alu instid0(VALU_DEP_1) | instskip(NEXT) | instid1(VALU_DEP_1)
	v_mul_f32_e32 v61, v62, v24
	v_fma_f32 v63, -v23, v61, v62
	s_delay_alu instid0(VALU_DEP_1) | instskip(NEXT) | instid1(VALU_DEP_1)
	v_fmac_f32_e32 v61, v63, v24
	v_fma_f32 v23, -v23, v61, v62
	s_delay_alu instid0(VALU_DEP_1) | instskip(NEXT) | instid1(VALU_DEP_1)
	v_div_fmas_f32 v23, v23, v24, v61
	v_div_fixup_f32 v23, v23, v22, v21
	s_delay_alu instid0(VALU_DEP_1) | instskip(NEXT) | instid1(VALU_DEP_1)
	v_fma_f32 v24, v21, v23, v22
	v_div_scale_f32 v61, null, v24, v24, 1.0
	v_div_scale_f32 v64, vcc_lo, 1.0, v24, 1.0
	s_delay_alu instid0(VALU_DEP_2) | instskip(SKIP_2) | instid1(VALU_DEP_1)
	v_rcp_f32_e32 v62, v61
	s_waitcnt_depctr 0xfff
	v_fma_f32 v63, -v61, v62, 1.0
	v_fmac_f32_e32 v62, v63, v62
	s_delay_alu instid0(VALU_DEP_1) | instskip(NEXT) | instid1(VALU_DEP_1)
	v_mul_f32_e32 v63, v64, v62
	v_fma_f32 v65, -v61, v63, v64
	s_delay_alu instid0(VALU_DEP_1) | instskip(NEXT) | instid1(VALU_DEP_1)
	v_fmac_f32_e32 v63, v65, v62
	v_fma_f32 v61, -v61, v63, v64
	s_delay_alu instid0(VALU_DEP_1) | instskip(SKIP_2) | instid1(VALU_DEP_3)
	v_div_fmas_f32 v61, v61, v62, v63
	v_fma_f32 v62, v19, v23, v20
	v_fma_f32 v23, v20, v23, -v19
	v_div_fixup_f32 v24, v61, v24, 1.0
	s_delay_alu instid0(VALU_DEP_1) | instskip(NEXT) | instid1(VALU_DEP_3)
	v_mul_f32_e32 v61, v62, v24
	v_mul_f32_e32 v23, v23, v24
.LBB118_49:                             ;   in Loop: Header=BB118_4 Depth=1
	s_or_b32 exec_lo, exec_lo, s7
	s_delay_alu instid0(VALU_DEP_1) | instskip(SKIP_1) | instid1(VALU_DEP_1)
	v_mul_f32_e32 v24, s9, v23
	v_mul_f32_e32 v23, s8, v23
	v_fmac_f32_e32 v23, s9, v61
	s_delay_alu instid0(VALU_DEP_3)
	v_fma_f32 v24, v61, s8, -v24
	s_branch .LBB118_60
.LBB118_50:                             ;   in Loop: Header=BB118_4 Depth=1
                                        ; implicit-def: $vgpr23
                                        ; implicit-def: $vgpr24
	s_cbranch_execz .LBB118_60
; %bb.51:                               ;   in Loop: Header=BB118_4 Depth=1
                                        ; implicit-def: $vgpr23
                                        ; implicit-def: $vgpr24
	s_delay_alu instid0(VALU_DEP_1) | instskip(NEXT) | instid1(SALU_CYCLE_1)
	s_and_saveexec_b32 s7, s6
	s_xor_b32 s7, exec_lo, s7
	s_cbranch_execz .LBB118_57
; %bb.52:                               ;   in Loop: Header=BB118_4 Depth=1
	v_cmp_neq_f32_e32 vcc_lo, 0, v21
	v_cmp_neq_f32_e64 s6, 0, v22
                                        ; implicit-def: $vgpr23
                                        ; implicit-def: $vgpr24
	s_delay_alu instid0(VALU_DEP_1) | instskip(NEXT) | instid1(SALU_CYCLE_1)
	s_or_b32 s6, s6, vcc_lo
	s_and_saveexec_b32 s15, s6
	s_delay_alu instid0(SALU_CYCLE_1)
	s_xor_b32 s6, exec_lo, s15
	s_cbranch_execz .LBB118_54
; %bb.53:                               ;   in Loop: Header=BB118_4 Depth=1
	v_div_scale_f32 v23, null, v21, v21, v22
	v_div_scale_f32 v26, vcc_lo, v22, v21, v22
	s_delay_alu instid0(VALU_DEP_2) | instskip(SKIP_2) | instid1(VALU_DEP_1)
	v_rcp_f32_e32 v24, v23
	s_waitcnt_depctr 0xfff
	v_fma_f32 v25, -v23, v24, 1.0
	v_fmac_f32_e32 v24, v25, v24
	s_delay_alu instid0(VALU_DEP_1) | instskip(NEXT) | instid1(VALU_DEP_1)
	v_mul_f32_e32 v25, v26, v24
	v_fma_f32 v61, -v23, v25, v26
	s_delay_alu instid0(VALU_DEP_1) | instskip(NEXT) | instid1(VALU_DEP_1)
	v_fmac_f32_e32 v25, v61, v24
	v_fma_f32 v23, -v23, v25, v26
	s_delay_alu instid0(VALU_DEP_1) | instskip(NEXT) | instid1(VALU_DEP_1)
	v_div_fmas_f32 v23, v23, v24, v25
	v_div_fixup_f32 v23, v23, v21, v22
	s_delay_alu instid0(VALU_DEP_1) | instskip(NEXT) | instid1(VALU_DEP_1)
	v_fmac_f32_e32 v21, v22, v23
	v_div_scale_f32 v22, null, v21, v21, 1.0
	v_div_scale_f32 v26, vcc_lo, 1.0, v21, 1.0
	s_delay_alu instid0(VALU_DEP_2) | instskip(SKIP_2) | instid1(VALU_DEP_1)
	v_rcp_f32_e32 v24, v22
	s_waitcnt_depctr 0xfff
	v_fma_f32 v25, -v22, v24, 1.0
	v_fmac_f32_e32 v24, v25, v24
	s_delay_alu instid0(VALU_DEP_1) | instskip(NEXT) | instid1(VALU_DEP_1)
	v_mul_f32_e32 v25, v26, v24
	v_fma_f32 v61, -v22, v25, v26
	s_delay_alu instid0(VALU_DEP_1) | instskip(NEXT) | instid1(VALU_DEP_1)
	v_fmac_f32_e32 v25, v61, v24
	v_fma_f32 v22, -v22, v25, v26
                                        ; implicit-def: $vgpr26
	s_delay_alu instid0(VALU_DEP_1) | instskip(SKIP_2) | instid1(VALU_DEP_3)
	v_div_fmas_f32 v22, v22, v24, v25
	v_fma_f32 v24, v20, v23, v19
	v_fma_f32 v19, -v19, v23, v20
                                        ; implicit-def: $vgpr25
	v_div_fixup_f32 v21, v22, v21, 1.0
	s_delay_alu instid0(VALU_DEP_1) | instskip(NEXT) | instid1(VALU_DEP_4)
	v_mul_f32_e32 v23, v19, v21
	v_mul_f32_e32 v24, v24, v21
                                        ; implicit-def: $vgpr19
.LBB118_54:                             ;   in Loop: Header=BB118_4 Depth=1
	s_and_not1_saveexec_b32 s15, s6
	s_cbranch_execz .LBB118_56
; %bb.55:                               ;   in Loop: Header=BB118_4 Depth=1
	v_div_scale_f32 v21, null, v25, v25, v19
	v_div_scale_f32 v22, null, v26, v26, v20
	v_div_scale_f32 v63, vcc_lo, v19, v25, v19
	s_delay_alu instid0(VALU_DEP_3) | instskip(NEXT) | instid1(VALU_DEP_2)
	v_rcp_f32_e32 v23, v21
	v_rcp_f32_e32 v24, v22
	s_waitcnt_depctr 0xfff
	v_fma_f32 v61, -v21, v23, 1.0
	v_fma_f32 v62, -v22, v24, 1.0
	s_delay_alu instid0(VALU_DEP_1) | instskip(SKIP_1) | instid1(VALU_DEP_2)
	v_dual_fmac_f32 v23, v61, v23 :: v_dual_fmac_f32 v24, v62, v24
	v_div_scale_f32 v61, s6, v20, v26, v20
	v_mul_f32_e32 v62, v63, v23
	s_delay_alu instid0(VALU_DEP_2) | instskip(NEXT) | instid1(VALU_DEP_2)
	v_mul_f32_e32 v64, v61, v24
	v_fma_f32 v65, -v21, v62, v63
	s_delay_alu instid0(VALU_DEP_2) | instskip(NEXT) | instid1(VALU_DEP_2)
	v_fma_f32 v66, -v22, v64, v61
	v_fmac_f32_e32 v62, v65, v23
	s_delay_alu instid0(VALU_DEP_2) | instskip(NEXT) | instid1(VALU_DEP_2)
	v_fmac_f32_e32 v64, v66, v24
	v_fma_f32 v21, -v21, v62, v63
	s_delay_alu instid0(VALU_DEP_2) | instskip(NEXT) | instid1(VALU_DEP_2)
	v_fma_f32 v22, -v22, v64, v61
	v_div_fmas_f32 v21, v21, v23, v62
	s_mov_b32 vcc_lo, s6
	s_delay_alu instid0(VALU_DEP_2) | instskip(NEXT) | instid1(VALU_DEP_2)
	v_div_fmas_f32 v22, v22, v24, v64
	v_div_fixup_f32 v24, v21, v25, v19
	s_delay_alu instid0(VALU_DEP_2)
	v_div_fixup_f32 v23, v22, v26, v20
.LBB118_56:                             ;   in Loop: Header=BB118_4 Depth=1
	s_or_b32 exec_lo, exec_lo, s15
                                        ; implicit-def: $vgpr22
                                        ; implicit-def: $vgpr19
.LBB118_57:                             ;   in Loop: Header=BB118_4 Depth=1
	s_and_not1_saveexec_b32 s6, s7
	s_cbranch_execz .LBB118_59
; %bb.58:                               ;   in Loop: Header=BB118_4 Depth=1
	v_div_scale_f32 v23, null, v22, v22, v21
	v_div_scale_f32 v26, vcc_lo, v21, v22, v21
	s_delay_alu instid0(VALU_DEP_2) | instskip(SKIP_2) | instid1(VALU_DEP_1)
	v_rcp_f32_e32 v24, v23
	s_waitcnt_depctr 0xfff
	v_fma_f32 v25, -v23, v24, 1.0
	v_fmac_f32_e32 v24, v25, v24
	s_delay_alu instid0(VALU_DEP_1) | instskip(NEXT) | instid1(VALU_DEP_1)
	v_mul_f32_e32 v25, v26, v24
	v_fma_f32 v61, -v23, v25, v26
	s_delay_alu instid0(VALU_DEP_1) | instskip(NEXT) | instid1(VALU_DEP_1)
	v_fmac_f32_e32 v25, v61, v24
	v_fma_f32 v23, -v23, v25, v26
	s_delay_alu instid0(VALU_DEP_1) | instskip(NEXT) | instid1(VALU_DEP_1)
	v_div_fmas_f32 v23, v23, v24, v25
	v_div_fixup_f32 v23, v23, v22, v21
	s_delay_alu instid0(VALU_DEP_1) | instskip(NEXT) | instid1(VALU_DEP_1)
	v_fmac_f32_e32 v22, v21, v23
	v_div_scale_f32 v21, null, v22, v22, 1.0
	v_div_scale_f32 v26, vcc_lo, 1.0, v22, 1.0
	s_delay_alu instid0(VALU_DEP_2) | instskip(SKIP_2) | instid1(VALU_DEP_1)
	v_rcp_f32_e32 v24, v21
	s_waitcnt_depctr 0xfff
	v_fma_f32 v25, -v21, v24, 1.0
	v_fmac_f32_e32 v24, v25, v24
	s_delay_alu instid0(VALU_DEP_1) | instskip(NEXT) | instid1(VALU_DEP_1)
	v_mul_f32_e32 v25, v26, v24
	v_fma_f32 v61, -v21, v25, v26
	s_delay_alu instid0(VALU_DEP_1) | instskip(NEXT) | instid1(VALU_DEP_1)
	v_fmac_f32_e32 v25, v61, v24
	v_fma_f32 v21, -v21, v25, v26
	s_delay_alu instid0(VALU_DEP_1) | instskip(SKIP_2) | instid1(VALU_DEP_3)
	v_div_fmas_f32 v21, v21, v24, v25
	v_fma_f32 v24, v19, v23, v20
	v_fma_f32 v19, v20, v23, -v19
	v_div_fixup_f32 v21, v21, v22, 1.0
	s_delay_alu instid0(VALU_DEP_1) | instskip(NEXT) | instid1(VALU_DEP_3)
	v_mul_f32_e32 v24, v24, v21
	v_mul_f32_e32 v23, v19, v21
.LBB118_59:                             ;   in Loop: Header=BB118_4 Depth=1
	s_or_b32 exec_lo, exec_lo, s6
.LBB118_60:                             ;   in Loop: Header=BB118_4 Depth=1
	v_cmp_gt_f32_e32 vcc_lo, 0, v17
	v_cndmask_b32_e64 v21, v17, -v17, vcc_lo
	v_cmp_gt_f32_e32 vcc_lo, 0, v18
	v_cndmask_b32_e64 v22, v18, -v18, vcc_lo
	s_and_not1_b32 vcc_lo, exec_lo, s31
	s_delay_alu instid0(VALU_DEP_1)
	v_cmp_ge_f32_e64 s6, v21, v22
	s_cbranch_vccnz .LBB118_70
; %bb.61:                               ;   in Loop: Header=BB118_4 Depth=1
                                        ; implicit-def: $vgpr19
                                        ; implicit-def: $vgpr25
	s_delay_alu instid0(VALU_DEP_1) | instskip(NEXT) | instid1(SALU_CYCLE_1)
	s_and_saveexec_b32 s7, s6
	s_xor_b32 s15, exec_lo, s7
	s_cbranch_execz .LBB118_67
; %bb.62:                               ;   in Loop: Header=BB118_4 Depth=1
	v_cmp_neq_f32_e32 vcc_lo, 0, v17
	v_cmp_neq_f32_e64 s7, 0, v18
                                        ; implicit-def: $vgpr19
                                        ; implicit-def: $vgpr25
	s_delay_alu instid0(VALU_DEP_1) | instskip(NEXT) | instid1(SALU_CYCLE_1)
	s_or_b32 s7, s7, vcc_lo
	s_and_saveexec_b32 s34, s7
	s_delay_alu instid0(SALU_CYCLE_1)
	s_xor_b32 s7, exec_lo, s34
	s_cbranch_execz .LBB118_64
; %bb.63:                               ;   in Loop: Header=BB118_4 Depth=1
	v_div_scale_f32 v19, null, v17, v17, v18
	v_div_scale_f32 v26, vcc_lo, v18, v17, v18
	s_delay_alu instid0(VALU_DEP_2) | instskip(SKIP_2) | instid1(VALU_DEP_1)
	v_rcp_f32_e32 v20, v19
	s_waitcnt_depctr 0xfff
	v_fma_f32 v25, -v19, v20, 1.0
	v_fmac_f32_e32 v20, v25, v20
	s_delay_alu instid0(VALU_DEP_1) | instskip(NEXT) | instid1(VALU_DEP_1)
	v_mul_f32_e32 v25, v26, v20
	v_fma_f32 v61, -v19, v25, v26
	s_delay_alu instid0(VALU_DEP_1) | instskip(NEXT) | instid1(VALU_DEP_1)
	v_fmac_f32_e32 v25, v61, v20
	v_fma_f32 v19, -v19, v25, v26
	s_delay_alu instid0(VALU_DEP_1) | instskip(NEXT) | instid1(VALU_DEP_1)
	v_div_fmas_f32 v19, v19, v20, v25
	v_div_fixup_f32 v19, v19, v17, v18
	s_delay_alu instid0(VALU_DEP_1) | instskip(NEXT) | instid1(VALU_DEP_1)
	v_fma_f32 v20, v18, v19, v17
	v_div_scale_f32 v25, null, v20, v20, 1.0
	v_div_scale_f32 v62, vcc_lo, 1.0, v20, 1.0
	s_delay_alu instid0(VALU_DEP_2) | instskip(SKIP_2) | instid1(VALU_DEP_1)
	v_rcp_f32_e32 v26, v25
	s_waitcnt_depctr 0xfff
	v_fma_f32 v61, -v25, v26, 1.0
	v_fmac_f32_e32 v26, v61, v26
	s_delay_alu instid0(VALU_DEP_1) | instskip(NEXT) | instid1(VALU_DEP_1)
	v_mul_f32_e32 v61, v62, v26
	v_fma_f32 v63, -v25, v61, v62
	s_delay_alu instid0(VALU_DEP_1) | instskip(NEXT) | instid1(VALU_DEP_1)
	v_fmac_f32_e32 v61, v63, v26
	v_fma_f32 v25, -v25, v61, v62
	s_delay_alu instid0(VALU_DEP_1) | instskip(SKIP_2) | instid1(VALU_DEP_3)
	v_div_fmas_f32 v25, v25, v26, v61
	v_fma_f32 v26, v16, v19, v15
	v_fma_f32 v19, -v15, v19, v16
	v_div_fixup_f32 v20, v25, v20, 1.0
	s_delay_alu instid0(VALU_DEP_1) | instskip(NEXT) | instid1(VALU_DEP_3)
	v_mul_f32_e32 v25, v26, v20
	v_mul_f32_e32 v19, v19, v20
.LBB118_64:                             ;   in Loop: Header=BB118_4 Depth=1
	s_and_not1_saveexec_b32 s34, s7
	s_cbranch_execz .LBB118_66
; %bb.65:                               ;   in Loop: Header=BB118_4 Depth=1
	v_div_scale_f32 v19, null, v21, v21, v15
	v_div_scale_f32 v20, null, v22, v22, v16
	v_div_scale_f32 v63, vcc_lo, v15, v21, v15
	s_delay_alu instid0(VALU_DEP_3) | instskip(NEXT) | instid1(VALU_DEP_2)
	v_rcp_f32_e32 v25, v19
	v_rcp_f32_e32 v26, v20
	s_waitcnt_depctr 0xfff
	v_fma_f32 v61, -v19, v25, 1.0
	v_fma_f32 v62, -v20, v26, 1.0
	s_delay_alu instid0(VALU_DEP_1) | instskip(SKIP_1) | instid1(VALU_DEP_2)
	v_dual_fmac_f32 v25, v61, v25 :: v_dual_fmac_f32 v26, v62, v26
	v_div_scale_f32 v61, s7, v16, v22, v16
	v_mul_f32_e32 v62, v63, v25
	s_delay_alu instid0(VALU_DEP_2) | instskip(NEXT) | instid1(VALU_DEP_2)
	v_mul_f32_e32 v64, v61, v26
	v_fma_f32 v65, -v19, v62, v63
	s_delay_alu instid0(VALU_DEP_2) | instskip(NEXT) | instid1(VALU_DEP_2)
	v_fma_f32 v66, -v20, v64, v61
	v_fmac_f32_e32 v62, v65, v25
	s_delay_alu instid0(VALU_DEP_2) | instskip(NEXT) | instid1(VALU_DEP_2)
	v_fmac_f32_e32 v64, v66, v26
	v_fma_f32 v19, -v19, v62, v63
	s_delay_alu instid0(VALU_DEP_2) | instskip(NEXT) | instid1(VALU_DEP_2)
	v_fma_f32 v20, -v20, v64, v61
	v_div_fmas_f32 v19, v19, v25, v62
	s_mov_b32 vcc_lo, s7
	s_delay_alu instid0(VALU_DEP_2) | instskip(NEXT) | instid1(VALU_DEP_2)
	v_div_fmas_f32 v20, v20, v26, v64
	v_div_fixup_f32 v25, v19, v21, v15
	s_delay_alu instid0(VALU_DEP_2)
	v_div_fixup_f32 v19, v20, v22, v16
.LBB118_66:                             ;   in Loop: Header=BB118_4 Depth=1
	s_or_b32 exec_lo, exec_lo, s34
.LBB118_67:                             ;   in Loop: Header=BB118_4 Depth=1
	s_and_not1_saveexec_b32 s7, s15
	s_cbranch_execz .LBB118_69
; %bb.68:                               ;   in Loop: Header=BB118_4 Depth=1
	v_div_scale_f32 v19, null, v18, v18, v17
	v_div_scale_f32 v26, vcc_lo, v17, v18, v17
	s_delay_alu instid0(VALU_DEP_2) | instskip(SKIP_2) | instid1(VALU_DEP_1)
	v_rcp_f32_e32 v20, v19
	s_waitcnt_depctr 0xfff
	v_fma_f32 v25, -v19, v20, 1.0
	v_fmac_f32_e32 v20, v25, v20
	s_delay_alu instid0(VALU_DEP_1) | instskip(NEXT) | instid1(VALU_DEP_1)
	v_mul_f32_e32 v25, v26, v20
	v_fma_f32 v61, -v19, v25, v26
	s_delay_alu instid0(VALU_DEP_1) | instskip(NEXT) | instid1(VALU_DEP_1)
	v_fmac_f32_e32 v25, v61, v20
	v_fma_f32 v19, -v19, v25, v26
	s_delay_alu instid0(VALU_DEP_1) | instskip(NEXT) | instid1(VALU_DEP_1)
	v_div_fmas_f32 v19, v19, v20, v25
	v_div_fixup_f32 v19, v19, v18, v17
	s_delay_alu instid0(VALU_DEP_1) | instskip(NEXT) | instid1(VALU_DEP_1)
	v_fma_f32 v20, v17, v19, v18
	v_div_scale_f32 v25, null, v20, v20, 1.0
	v_div_scale_f32 v62, vcc_lo, 1.0, v20, 1.0
	s_delay_alu instid0(VALU_DEP_2) | instskip(SKIP_2) | instid1(VALU_DEP_1)
	v_rcp_f32_e32 v26, v25
	s_waitcnt_depctr 0xfff
	v_fma_f32 v61, -v25, v26, 1.0
	v_fmac_f32_e32 v26, v61, v26
	s_delay_alu instid0(VALU_DEP_1) | instskip(NEXT) | instid1(VALU_DEP_1)
	v_mul_f32_e32 v61, v62, v26
	v_fma_f32 v63, -v25, v61, v62
	s_delay_alu instid0(VALU_DEP_1) | instskip(NEXT) | instid1(VALU_DEP_1)
	v_fmac_f32_e32 v61, v63, v26
	v_fma_f32 v25, -v25, v61, v62
	s_delay_alu instid0(VALU_DEP_1) | instskip(SKIP_2) | instid1(VALU_DEP_3)
	v_div_fmas_f32 v25, v25, v26, v61
	v_fma_f32 v26, v15, v19, v16
	v_fma_f32 v19, v16, v19, -v15
	v_div_fixup_f32 v20, v25, v20, 1.0
	s_delay_alu instid0(VALU_DEP_1) | instskip(NEXT) | instid1(VALU_DEP_3)
	v_mul_f32_e32 v25, v26, v20
	v_mul_f32_e32 v19, v19, v20
.LBB118_69:                             ;   in Loop: Header=BB118_4 Depth=1
	s_or_b32 exec_lo, exec_lo, s7
	s_delay_alu instid0(VALU_DEP_1) | instskip(SKIP_1) | instid1(VALU_DEP_1)
	v_mul_f32_e32 v20, s9, v19
	v_mul_f32_e32 v19, s8, v19
	v_fmac_f32_e32 v19, s9, v25
	s_delay_alu instid0(VALU_DEP_3)
	v_fma_f32 v20, v25, s8, -v20
	s_branch .LBB118_80
.LBB118_70:                             ;   in Loop: Header=BB118_4 Depth=1
                                        ; implicit-def: $vgpr19
                                        ; implicit-def: $vgpr20
	s_cbranch_execz .LBB118_80
; %bb.71:                               ;   in Loop: Header=BB118_4 Depth=1
                                        ; implicit-def: $vgpr19
                                        ; implicit-def: $vgpr20
	s_delay_alu instid0(VALU_DEP_1) | instskip(NEXT) | instid1(SALU_CYCLE_1)
	s_and_saveexec_b32 s7, s6
	s_xor_b32 s7, exec_lo, s7
	s_cbranch_execz .LBB118_77
; %bb.72:                               ;   in Loop: Header=BB118_4 Depth=1
	v_cmp_neq_f32_e32 vcc_lo, 0, v17
	v_cmp_neq_f32_e64 s6, 0, v18
                                        ; implicit-def: $vgpr19
                                        ; implicit-def: $vgpr20
	s_delay_alu instid0(VALU_DEP_1) | instskip(NEXT) | instid1(SALU_CYCLE_1)
	s_or_b32 s6, s6, vcc_lo
	s_and_saveexec_b32 s15, s6
	s_delay_alu instid0(SALU_CYCLE_1)
	s_xor_b32 s6, exec_lo, s15
	s_cbranch_execz .LBB118_74
; %bb.73:                               ;   in Loop: Header=BB118_4 Depth=1
	v_div_scale_f32 v19, null, v17, v17, v18
	v_div_scale_f32 v22, vcc_lo, v18, v17, v18
	s_delay_alu instid0(VALU_DEP_2) | instskip(SKIP_2) | instid1(VALU_DEP_1)
	v_rcp_f32_e32 v20, v19
	s_waitcnt_depctr 0xfff
	v_fma_f32 v21, -v19, v20, 1.0
	v_fmac_f32_e32 v20, v21, v20
	s_delay_alu instid0(VALU_DEP_1) | instskip(NEXT) | instid1(VALU_DEP_1)
	v_mul_f32_e32 v21, v22, v20
	v_fma_f32 v25, -v19, v21, v22
	s_delay_alu instid0(VALU_DEP_1) | instskip(NEXT) | instid1(VALU_DEP_1)
	v_fmac_f32_e32 v21, v25, v20
	v_fma_f32 v19, -v19, v21, v22
	s_delay_alu instid0(VALU_DEP_1) | instskip(NEXT) | instid1(VALU_DEP_1)
	v_div_fmas_f32 v19, v19, v20, v21
	v_div_fixup_f32 v19, v19, v17, v18
	s_delay_alu instid0(VALU_DEP_1) | instskip(NEXT) | instid1(VALU_DEP_1)
	v_fmac_f32_e32 v17, v18, v19
	v_div_scale_f32 v18, null, v17, v17, 1.0
	v_div_scale_f32 v22, vcc_lo, 1.0, v17, 1.0
	s_delay_alu instid0(VALU_DEP_2) | instskip(SKIP_2) | instid1(VALU_DEP_1)
	v_rcp_f32_e32 v20, v18
	s_waitcnt_depctr 0xfff
	v_fma_f32 v21, -v18, v20, 1.0
	v_fmac_f32_e32 v20, v21, v20
	s_delay_alu instid0(VALU_DEP_1) | instskip(NEXT) | instid1(VALU_DEP_1)
	v_mul_f32_e32 v21, v22, v20
	v_fma_f32 v25, -v18, v21, v22
	s_delay_alu instid0(VALU_DEP_1) | instskip(NEXT) | instid1(VALU_DEP_1)
	v_fmac_f32_e32 v21, v25, v20
	v_fma_f32 v18, -v18, v21, v22
                                        ; implicit-def: $vgpr22
	s_delay_alu instid0(VALU_DEP_1) | instskip(SKIP_2) | instid1(VALU_DEP_3)
	v_div_fmas_f32 v18, v18, v20, v21
	v_fma_f32 v20, v16, v19, v15
	v_fma_f32 v15, -v15, v19, v16
                                        ; implicit-def: $vgpr21
	v_div_fixup_f32 v17, v18, v17, 1.0
	s_delay_alu instid0(VALU_DEP_1) | instskip(NEXT) | instid1(VALU_DEP_4)
	v_mul_f32_e32 v19, v15, v17
	v_mul_f32_e32 v20, v20, v17
                                        ; implicit-def: $vgpr15
.LBB118_74:                             ;   in Loop: Header=BB118_4 Depth=1
	s_and_not1_saveexec_b32 s15, s6
	s_cbranch_execz .LBB118_76
; %bb.75:                               ;   in Loop: Header=BB118_4 Depth=1
	v_div_scale_f32 v17, null, v21, v21, v15
	v_div_scale_f32 v18, null, v22, v22, v16
	v_div_scale_f32 v61, vcc_lo, v15, v21, v15
	s_delay_alu instid0(VALU_DEP_3) | instskip(NEXT) | instid1(VALU_DEP_2)
	v_rcp_f32_e32 v19, v17
	v_rcp_f32_e32 v20, v18
	s_waitcnt_depctr 0xfff
	v_fma_f32 v25, -v17, v19, 1.0
	v_fma_f32 v26, -v18, v20, 1.0
	s_delay_alu instid0(VALU_DEP_1) | instskip(SKIP_1) | instid1(VALU_DEP_2)
	v_dual_fmac_f32 v19, v25, v19 :: v_dual_fmac_f32 v20, v26, v20
	v_div_scale_f32 v25, s6, v16, v22, v16
	v_mul_f32_e32 v26, v61, v19
	s_delay_alu instid0(VALU_DEP_2) | instskip(NEXT) | instid1(VALU_DEP_2)
	v_mul_f32_e32 v62, v25, v20
	v_fma_f32 v63, -v17, v26, v61
	s_delay_alu instid0(VALU_DEP_2) | instskip(NEXT) | instid1(VALU_DEP_2)
	v_fma_f32 v64, -v18, v62, v25
	v_fmac_f32_e32 v26, v63, v19
	s_delay_alu instid0(VALU_DEP_2) | instskip(NEXT) | instid1(VALU_DEP_2)
	v_fmac_f32_e32 v62, v64, v20
	v_fma_f32 v17, -v17, v26, v61
	s_delay_alu instid0(VALU_DEP_2) | instskip(NEXT) | instid1(VALU_DEP_2)
	v_fma_f32 v18, -v18, v62, v25
	v_div_fmas_f32 v17, v17, v19, v26
	s_mov_b32 vcc_lo, s6
	s_delay_alu instid0(VALU_DEP_2) | instskip(NEXT) | instid1(VALU_DEP_2)
	v_div_fmas_f32 v18, v18, v20, v62
	v_div_fixup_f32 v20, v17, v21, v15
	s_delay_alu instid0(VALU_DEP_2)
	v_div_fixup_f32 v19, v18, v22, v16
.LBB118_76:                             ;   in Loop: Header=BB118_4 Depth=1
	s_or_b32 exec_lo, exec_lo, s15
                                        ; implicit-def: $vgpr18
                                        ; implicit-def: $vgpr15
.LBB118_77:                             ;   in Loop: Header=BB118_4 Depth=1
	s_and_not1_saveexec_b32 s6, s7
	s_cbranch_execz .LBB118_79
; %bb.78:                               ;   in Loop: Header=BB118_4 Depth=1
	v_div_scale_f32 v19, null, v18, v18, v17
	v_div_scale_f32 v22, vcc_lo, v17, v18, v17
	s_delay_alu instid0(VALU_DEP_2) | instskip(SKIP_2) | instid1(VALU_DEP_1)
	v_rcp_f32_e32 v20, v19
	s_waitcnt_depctr 0xfff
	v_fma_f32 v21, -v19, v20, 1.0
	v_fmac_f32_e32 v20, v21, v20
	s_delay_alu instid0(VALU_DEP_1) | instskip(NEXT) | instid1(VALU_DEP_1)
	v_mul_f32_e32 v21, v22, v20
	v_fma_f32 v25, -v19, v21, v22
	s_delay_alu instid0(VALU_DEP_1) | instskip(NEXT) | instid1(VALU_DEP_1)
	v_fmac_f32_e32 v21, v25, v20
	v_fma_f32 v19, -v19, v21, v22
	s_delay_alu instid0(VALU_DEP_1) | instskip(NEXT) | instid1(VALU_DEP_1)
	v_div_fmas_f32 v19, v19, v20, v21
	v_div_fixup_f32 v19, v19, v18, v17
	s_delay_alu instid0(VALU_DEP_1) | instskip(NEXT) | instid1(VALU_DEP_1)
	v_fmac_f32_e32 v18, v17, v19
	v_div_scale_f32 v17, null, v18, v18, 1.0
	v_div_scale_f32 v22, vcc_lo, 1.0, v18, 1.0
	s_delay_alu instid0(VALU_DEP_2) | instskip(SKIP_2) | instid1(VALU_DEP_1)
	v_rcp_f32_e32 v20, v17
	s_waitcnt_depctr 0xfff
	v_fma_f32 v21, -v17, v20, 1.0
	v_fmac_f32_e32 v20, v21, v20
	s_delay_alu instid0(VALU_DEP_1) | instskip(NEXT) | instid1(VALU_DEP_1)
	v_mul_f32_e32 v21, v22, v20
	v_fma_f32 v25, -v17, v21, v22
	s_delay_alu instid0(VALU_DEP_1) | instskip(NEXT) | instid1(VALU_DEP_1)
	v_fmac_f32_e32 v21, v25, v20
	v_fma_f32 v17, -v17, v21, v22
	s_delay_alu instid0(VALU_DEP_1) | instskip(SKIP_2) | instid1(VALU_DEP_3)
	v_div_fmas_f32 v17, v17, v20, v21
	v_fma_f32 v20, v15, v19, v16
	v_fma_f32 v15, v16, v19, -v15
	v_div_fixup_f32 v17, v17, v18, 1.0
	s_delay_alu instid0(VALU_DEP_1) | instskip(NEXT) | instid1(VALU_DEP_3)
	v_mul_f32_e32 v20, v20, v17
	v_mul_f32_e32 v19, v15, v17
.LBB118_79:                             ;   in Loop: Header=BB118_4 Depth=1
	s_or_b32 exec_lo, exec_lo, s6
.LBB118_80:                             ;   in Loop: Header=BB118_4 Depth=1
	v_cmp_gt_f32_e32 vcc_lo, 0, v13
	v_cndmask_b32_e64 v15, v13, -v13, vcc_lo
	v_cmp_gt_f32_e32 vcc_lo, 0, v14
	v_cndmask_b32_e64 v16, v14, -v14, vcc_lo
	s_and_not1_b32 vcc_lo, exec_lo, s31
	s_delay_alu instid0(VALU_DEP_1)
	v_cmp_ge_f32_e64 s6, v15, v16
	s_cbranch_vccnz .LBB118_90
; %bb.81:                               ;   in Loop: Header=BB118_4 Depth=1
                                        ; implicit-def: $vgpr17
                                        ; implicit-def: $vgpr21
	s_delay_alu instid0(VALU_DEP_1) | instskip(NEXT) | instid1(SALU_CYCLE_1)
	s_and_saveexec_b32 s7, s6
	s_xor_b32 s15, exec_lo, s7
	s_cbranch_execz .LBB118_87
; %bb.82:                               ;   in Loop: Header=BB118_4 Depth=1
	v_cmp_neq_f32_e32 vcc_lo, 0, v13
	v_cmp_neq_f32_e64 s7, 0, v14
                                        ; implicit-def: $vgpr17
                                        ; implicit-def: $vgpr21
	s_delay_alu instid0(VALU_DEP_1) | instskip(NEXT) | instid1(SALU_CYCLE_1)
	s_or_b32 s7, s7, vcc_lo
	s_and_saveexec_b32 s34, s7
	s_delay_alu instid0(SALU_CYCLE_1)
	s_xor_b32 s7, exec_lo, s34
	s_cbranch_execz .LBB118_84
; %bb.83:                               ;   in Loop: Header=BB118_4 Depth=1
	v_div_scale_f32 v17, null, v13, v13, v14
	v_div_scale_f32 v22, vcc_lo, v14, v13, v14
	s_delay_alu instid0(VALU_DEP_2) | instskip(SKIP_2) | instid1(VALU_DEP_1)
	v_rcp_f32_e32 v18, v17
	s_waitcnt_depctr 0xfff
	v_fma_f32 v21, -v17, v18, 1.0
	v_fmac_f32_e32 v18, v21, v18
	s_delay_alu instid0(VALU_DEP_1) | instskip(NEXT) | instid1(VALU_DEP_1)
	v_mul_f32_e32 v21, v22, v18
	v_fma_f32 v25, -v17, v21, v22
	s_delay_alu instid0(VALU_DEP_1) | instskip(NEXT) | instid1(VALU_DEP_1)
	v_fmac_f32_e32 v21, v25, v18
	v_fma_f32 v17, -v17, v21, v22
	s_delay_alu instid0(VALU_DEP_1) | instskip(NEXT) | instid1(VALU_DEP_1)
	v_div_fmas_f32 v17, v17, v18, v21
	v_div_fixup_f32 v17, v17, v13, v14
	s_delay_alu instid0(VALU_DEP_1) | instskip(NEXT) | instid1(VALU_DEP_1)
	v_fma_f32 v18, v14, v17, v13
	v_div_scale_f32 v21, null, v18, v18, 1.0
	v_div_scale_f32 v26, vcc_lo, 1.0, v18, 1.0
	s_delay_alu instid0(VALU_DEP_2) | instskip(SKIP_2) | instid1(VALU_DEP_1)
	v_rcp_f32_e32 v22, v21
	s_waitcnt_depctr 0xfff
	v_fma_f32 v25, -v21, v22, 1.0
	v_fmac_f32_e32 v22, v25, v22
	s_delay_alu instid0(VALU_DEP_1) | instskip(NEXT) | instid1(VALU_DEP_1)
	v_mul_f32_e32 v25, v26, v22
	v_fma_f32 v61, -v21, v25, v26
	s_delay_alu instid0(VALU_DEP_1) | instskip(NEXT) | instid1(VALU_DEP_1)
	v_fmac_f32_e32 v25, v61, v22
	v_fma_f32 v21, -v21, v25, v26
	s_delay_alu instid0(VALU_DEP_1) | instskip(SKIP_2) | instid1(VALU_DEP_3)
	v_div_fmas_f32 v21, v21, v22, v25
	v_fma_f32 v22, v12, v17, v11
	v_fma_f32 v17, -v11, v17, v12
	v_div_fixup_f32 v18, v21, v18, 1.0
	s_delay_alu instid0(VALU_DEP_1) | instskip(NEXT) | instid1(VALU_DEP_3)
	v_mul_f32_e32 v21, v22, v18
	v_mul_f32_e32 v17, v17, v18
.LBB118_84:                             ;   in Loop: Header=BB118_4 Depth=1
	s_and_not1_saveexec_b32 s34, s7
	s_cbranch_execz .LBB118_86
; %bb.85:                               ;   in Loop: Header=BB118_4 Depth=1
	v_div_scale_f32 v17, null, v15, v15, v11
	v_div_scale_f32 v18, null, v16, v16, v12
	v_div_scale_f32 v61, vcc_lo, v11, v15, v11
	s_delay_alu instid0(VALU_DEP_3) | instskip(NEXT) | instid1(VALU_DEP_2)
	v_rcp_f32_e32 v21, v17
	v_rcp_f32_e32 v22, v18
	s_waitcnt_depctr 0xfff
	v_fma_f32 v25, -v17, v21, 1.0
	v_fma_f32 v26, -v18, v22, 1.0
	s_delay_alu instid0(VALU_DEP_1) | instskip(SKIP_1) | instid1(VALU_DEP_2)
	v_dual_fmac_f32 v21, v25, v21 :: v_dual_fmac_f32 v22, v26, v22
	v_div_scale_f32 v25, s7, v12, v16, v12
	v_mul_f32_e32 v26, v61, v21
	s_delay_alu instid0(VALU_DEP_2) | instskip(NEXT) | instid1(VALU_DEP_2)
	v_mul_f32_e32 v62, v25, v22
	v_fma_f32 v63, -v17, v26, v61
	s_delay_alu instid0(VALU_DEP_2) | instskip(NEXT) | instid1(VALU_DEP_2)
	v_fma_f32 v64, -v18, v62, v25
	v_fmac_f32_e32 v26, v63, v21
	s_delay_alu instid0(VALU_DEP_2) | instskip(NEXT) | instid1(VALU_DEP_2)
	v_fmac_f32_e32 v62, v64, v22
	v_fma_f32 v17, -v17, v26, v61
	s_delay_alu instid0(VALU_DEP_2) | instskip(NEXT) | instid1(VALU_DEP_2)
	v_fma_f32 v18, -v18, v62, v25
	v_div_fmas_f32 v17, v17, v21, v26
	s_mov_b32 vcc_lo, s7
	s_delay_alu instid0(VALU_DEP_2) | instskip(NEXT) | instid1(VALU_DEP_2)
	v_div_fmas_f32 v18, v18, v22, v62
	v_div_fixup_f32 v21, v17, v15, v11
	s_delay_alu instid0(VALU_DEP_2)
	v_div_fixup_f32 v17, v18, v16, v12
.LBB118_86:                             ;   in Loop: Header=BB118_4 Depth=1
	s_or_b32 exec_lo, exec_lo, s34
.LBB118_87:                             ;   in Loop: Header=BB118_4 Depth=1
	s_and_not1_saveexec_b32 s7, s15
	s_cbranch_execz .LBB118_89
; %bb.88:                               ;   in Loop: Header=BB118_4 Depth=1
	v_div_scale_f32 v17, null, v14, v14, v13
	v_div_scale_f32 v22, vcc_lo, v13, v14, v13
	s_delay_alu instid0(VALU_DEP_2) | instskip(SKIP_2) | instid1(VALU_DEP_1)
	v_rcp_f32_e32 v18, v17
	s_waitcnt_depctr 0xfff
	v_fma_f32 v21, -v17, v18, 1.0
	v_fmac_f32_e32 v18, v21, v18
	s_delay_alu instid0(VALU_DEP_1) | instskip(NEXT) | instid1(VALU_DEP_1)
	v_mul_f32_e32 v21, v22, v18
	v_fma_f32 v25, -v17, v21, v22
	s_delay_alu instid0(VALU_DEP_1) | instskip(NEXT) | instid1(VALU_DEP_1)
	v_fmac_f32_e32 v21, v25, v18
	v_fma_f32 v17, -v17, v21, v22
	s_delay_alu instid0(VALU_DEP_1) | instskip(NEXT) | instid1(VALU_DEP_1)
	v_div_fmas_f32 v17, v17, v18, v21
	v_div_fixup_f32 v17, v17, v14, v13
	s_delay_alu instid0(VALU_DEP_1) | instskip(NEXT) | instid1(VALU_DEP_1)
	v_fma_f32 v18, v13, v17, v14
	v_div_scale_f32 v21, null, v18, v18, 1.0
	v_div_scale_f32 v26, vcc_lo, 1.0, v18, 1.0
	s_delay_alu instid0(VALU_DEP_2) | instskip(SKIP_2) | instid1(VALU_DEP_1)
	v_rcp_f32_e32 v22, v21
	s_waitcnt_depctr 0xfff
	v_fma_f32 v25, -v21, v22, 1.0
	v_fmac_f32_e32 v22, v25, v22
	s_delay_alu instid0(VALU_DEP_1) | instskip(NEXT) | instid1(VALU_DEP_1)
	v_mul_f32_e32 v25, v26, v22
	v_fma_f32 v61, -v21, v25, v26
	s_delay_alu instid0(VALU_DEP_1) | instskip(NEXT) | instid1(VALU_DEP_1)
	v_fmac_f32_e32 v25, v61, v22
	v_fma_f32 v21, -v21, v25, v26
	s_delay_alu instid0(VALU_DEP_1) | instskip(SKIP_2) | instid1(VALU_DEP_3)
	v_div_fmas_f32 v21, v21, v22, v25
	v_fma_f32 v22, v11, v17, v12
	v_fma_f32 v17, v12, v17, -v11
	v_div_fixup_f32 v18, v21, v18, 1.0
	s_delay_alu instid0(VALU_DEP_1) | instskip(NEXT) | instid1(VALU_DEP_3)
	v_mul_f32_e32 v21, v22, v18
	v_mul_f32_e32 v17, v17, v18
.LBB118_89:                             ;   in Loop: Header=BB118_4 Depth=1
	s_or_b32 exec_lo, exec_lo, s7
	s_delay_alu instid0(VALU_DEP_1) | instskip(SKIP_1) | instid1(VALU_DEP_2)
	v_mul_f32_e32 v18, s9, v17
	v_mul_f32_e32 v17, s8, v17
	v_fma_f32 v18, v21, s8, -v18
	s_delay_alu instid0(VALU_DEP_2)
	v_fmac_f32_e32 v17, s9, v21
	s_branch .LBB118_100
.LBB118_90:                             ;   in Loop: Header=BB118_4 Depth=1
                                        ; implicit-def: $vgpr17
                                        ; implicit-def: $vgpr18
	s_cbranch_execz .LBB118_100
; %bb.91:                               ;   in Loop: Header=BB118_4 Depth=1
                                        ; implicit-def: $vgpr17
                                        ; implicit-def: $vgpr18
	s_delay_alu instid0(VALU_DEP_1) | instskip(NEXT) | instid1(SALU_CYCLE_1)
	s_and_saveexec_b32 s7, s6
	s_xor_b32 s7, exec_lo, s7
	s_cbranch_execz .LBB118_97
; %bb.92:                               ;   in Loop: Header=BB118_4 Depth=1
	v_cmp_neq_f32_e32 vcc_lo, 0, v13
	v_cmp_neq_f32_e64 s6, 0, v14
                                        ; implicit-def: $vgpr17
                                        ; implicit-def: $vgpr18
	s_delay_alu instid0(VALU_DEP_1) | instskip(NEXT) | instid1(SALU_CYCLE_1)
	s_or_b32 s6, s6, vcc_lo
	s_and_saveexec_b32 s15, s6
	s_delay_alu instid0(SALU_CYCLE_1)
	s_xor_b32 s6, exec_lo, s15
	s_cbranch_execz .LBB118_94
; %bb.93:                               ;   in Loop: Header=BB118_4 Depth=1
	v_div_scale_f32 v15, null, v13, v13, v14
	v_div_scale_f32 v18, vcc_lo, v14, v13, v14
	s_delay_alu instid0(VALU_DEP_2) | instskip(SKIP_2) | instid1(VALU_DEP_1)
	v_rcp_f32_e32 v16, v15
	s_waitcnt_depctr 0xfff
	v_fma_f32 v17, -v15, v16, 1.0
	v_fmac_f32_e32 v16, v17, v16
	s_delay_alu instid0(VALU_DEP_1) | instskip(NEXT) | instid1(VALU_DEP_1)
	v_mul_f32_e32 v17, v18, v16
	v_fma_f32 v21, -v15, v17, v18
	s_delay_alu instid0(VALU_DEP_1) | instskip(NEXT) | instid1(VALU_DEP_1)
	v_fmac_f32_e32 v17, v21, v16
	v_fma_f32 v15, -v15, v17, v18
	s_delay_alu instid0(VALU_DEP_1) | instskip(NEXT) | instid1(VALU_DEP_1)
	v_div_fmas_f32 v15, v15, v16, v17
	v_div_fixup_f32 v15, v15, v13, v14
	s_delay_alu instid0(VALU_DEP_1) | instskip(NEXT) | instid1(VALU_DEP_1)
	v_fmac_f32_e32 v13, v14, v15
	v_div_scale_f32 v14, null, v13, v13, 1.0
	v_div_scale_f32 v18, vcc_lo, 1.0, v13, 1.0
	s_delay_alu instid0(VALU_DEP_2) | instskip(SKIP_2) | instid1(VALU_DEP_1)
	v_rcp_f32_e32 v16, v14
	s_waitcnt_depctr 0xfff
	v_fma_f32 v17, -v14, v16, 1.0
	v_fmac_f32_e32 v16, v17, v16
	s_delay_alu instid0(VALU_DEP_1) | instskip(NEXT) | instid1(VALU_DEP_1)
	v_mul_f32_e32 v17, v18, v16
	v_fma_f32 v21, -v14, v17, v18
	s_delay_alu instid0(VALU_DEP_1) | instskip(NEXT) | instid1(VALU_DEP_1)
	v_fmac_f32_e32 v17, v21, v16
	v_fma_f32 v14, -v14, v17, v18
	s_delay_alu instid0(VALU_DEP_1) | instskip(SKIP_2) | instid1(VALU_DEP_3)
	v_div_fmas_f32 v14, v14, v16, v17
	v_fma_f32 v16, v12, v15, v11
	v_fma_f32 v11, -v11, v15, v12
                                        ; implicit-def: $vgpr15
	v_div_fixup_f32 v13, v14, v13, 1.0
	s_delay_alu instid0(VALU_DEP_1) | instskip(NEXT) | instid1(VALU_DEP_4)
	v_mul_f32_e32 v17, v11, v13
	v_mul_f32_e32 v18, v16, v13
                                        ; implicit-def: $vgpr11
                                        ; implicit-def: $vgpr16
.LBB118_94:                             ;   in Loop: Header=BB118_4 Depth=1
	s_and_not1_saveexec_b32 s15, s6
	s_cbranch_execz .LBB118_96
; %bb.95:                               ;   in Loop: Header=BB118_4 Depth=1
	v_div_scale_f32 v13, null, v15, v15, v11
	v_div_scale_f32 v14, null, v16, v16, v12
	v_div_scale_f32 v25, vcc_lo, v11, v15, v11
	s_delay_alu instid0(VALU_DEP_3) | instskip(NEXT) | instid1(VALU_DEP_2)
	v_rcp_f32_e32 v17, v13
	v_rcp_f32_e32 v18, v14
	s_waitcnt_depctr 0xfff
	v_fma_f32 v21, -v13, v17, 1.0
	v_fma_f32 v22, -v14, v18, 1.0
	s_delay_alu instid0(VALU_DEP_1) | instskip(SKIP_1) | instid1(VALU_DEP_2)
	v_dual_fmac_f32 v17, v21, v17 :: v_dual_fmac_f32 v18, v22, v18
	v_div_scale_f32 v21, s6, v12, v16, v12
	v_mul_f32_e32 v22, v25, v17
	s_delay_alu instid0(VALU_DEP_2) | instskip(NEXT) | instid1(VALU_DEP_2)
	v_mul_f32_e32 v26, v21, v18
	v_fma_f32 v61, -v13, v22, v25
	s_delay_alu instid0(VALU_DEP_2) | instskip(NEXT) | instid1(VALU_DEP_2)
	v_fma_f32 v62, -v14, v26, v21
	v_fmac_f32_e32 v22, v61, v17
	s_delay_alu instid0(VALU_DEP_2) | instskip(NEXT) | instid1(VALU_DEP_2)
	v_fmac_f32_e32 v26, v62, v18
	v_fma_f32 v13, -v13, v22, v25
	s_delay_alu instid0(VALU_DEP_2) | instskip(NEXT) | instid1(VALU_DEP_2)
	v_fma_f32 v14, -v14, v26, v21
	v_div_fmas_f32 v13, v13, v17, v22
	s_mov_b32 vcc_lo, s6
	s_delay_alu instid0(VALU_DEP_2) | instskip(NEXT) | instid1(VALU_DEP_2)
	v_div_fmas_f32 v14, v14, v18, v26
	v_div_fixup_f32 v18, v13, v15, v11
	s_delay_alu instid0(VALU_DEP_2)
	v_div_fixup_f32 v17, v14, v16, v12
.LBB118_96:                             ;   in Loop: Header=BB118_4 Depth=1
	s_or_b32 exec_lo, exec_lo, s15
                                        ; implicit-def: $vgpr14
                                        ; implicit-def: $vgpr11
.LBB118_97:                             ;   in Loop: Header=BB118_4 Depth=1
	s_and_not1_saveexec_b32 s6, s7
	s_cbranch_execz .LBB118_99
; %bb.98:                               ;   in Loop: Header=BB118_4 Depth=1
	v_div_scale_f32 v15, null, v14, v14, v13
	v_div_scale_f32 v18, vcc_lo, v13, v14, v13
	s_delay_alu instid0(VALU_DEP_2) | instskip(SKIP_2) | instid1(VALU_DEP_1)
	v_rcp_f32_e32 v16, v15
	s_waitcnt_depctr 0xfff
	v_fma_f32 v17, -v15, v16, 1.0
	v_fmac_f32_e32 v16, v17, v16
	s_delay_alu instid0(VALU_DEP_1) | instskip(NEXT) | instid1(VALU_DEP_1)
	v_mul_f32_e32 v17, v18, v16
	v_fma_f32 v21, -v15, v17, v18
	s_delay_alu instid0(VALU_DEP_1) | instskip(NEXT) | instid1(VALU_DEP_1)
	v_fmac_f32_e32 v17, v21, v16
	v_fma_f32 v15, -v15, v17, v18
	s_delay_alu instid0(VALU_DEP_1) | instskip(NEXT) | instid1(VALU_DEP_1)
	v_div_fmas_f32 v15, v15, v16, v17
	v_div_fixup_f32 v15, v15, v14, v13
	s_delay_alu instid0(VALU_DEP_1) | instskip(NEXT) | instid1(VALU_DEP_1)
	v_fmac_f32_e32 v14, v13, v15
	v_div_scale_f32 v13, null, v14, v14, 1.0
	v_div_scale_f32 v18, vcc_lo, 1.0, v14, 1.0
	s_delay_alu instid0(VALU_DEP_2) | instskip(SKIP_2) | instid1(VALU_DEP_1)
	v_rcp_f32_e32 v16, v13
	s_waitcnt_depctr 0xfff
	v_fma_f32 v17, -v13, v16, 1.0
	v_fmac_f32_e32 v16, v17, v16
	s_delay_alu instid0(VALU_DEP_1) | instskip(NEXT) | instid1(VALU_DEP_1)
	v_mul_f32_e32 v17, v18, v16
	v_fma_f32 v21, -v13, v17, v18
	s_delay_alu instid0(VALU_DEP_1) | instskip(NEXT) | instid1(VALU_DEP_1)
	v_fmac_f32_e32 v17, v21, v16
	v_fma_f32 v13, -v13, v17, v18
	s_delay_alu instid0(VALU_DEP_1) | instskip(SKIP_2) | instid1(VALU_DEP_3)
	v_div_fmas_f32 v13, v13, v16, v17
	v_fma_f32 v16, v11, v15, v12
	v_fma_f32 v11, v12, v15, -v11
	v_div_fixup_f32 v13, v13, v14, 1.0
	s_delay_alu instid0(VALU_DEP_1) | instskip(NEXT) | instid1(VALU_DEP_3)
	v_mul_f32_e32 v18, v16, v13
	v_mul_f32_e32 v17, v11, v13
.LBB118_99:                             ;   in Loop: Header=BB118_4 Depth=1
	s_or_b32 exec_lo, exec_lo, s6
.LBB118_100:                            ;   in Loop: Header=BB118_4 Depth=1
	s_and_saveexec_b32 s6, s2
	s_delay_alu instid0(SALU_CYCLE_1)
	s_xor_b32 s2, exec_lo, s6
	s_cbranch_execnz .LBB118_104
; %bb.101:                              ;   in Loop: Header=BB118_4 Depth=1
	s_or_b32 exec_lo, exec_lo, s2
	s_and_saveexec_b32 s2, s3
	s_cbranch_execnz .LBB118_105
.LBB118_102:                            ;   in Loop: Header=BB118_4 Depth=1
	s_or_b32 exec_lo, exec_lo, s2
	s_and_saveexec_b32 s2, s4
	s_cbranch_execnz .LBB118_106
.LBB118_103:                            ;   in Loop: Header=BB118_4 Depth=1
	s_or_b32 exec_lo, exec_lo, s2
	s_and_saveexec_b32 s2, s5
	s_cbranch_execz .LBB118_3
	s_branch .LBB118_107
.LBB118_104:                            ;   in Loop: Header=BB118_4 Depth=1
	v_add_co_u32 v11, vcc_lo, v33, s12
	v_dual_add_f32 v3, v3, v60 :: v_dual_add_f32 v4, v4, v59
	v_add_co_ci_u32_e32 v12, vcc_lo, s13, v34, vcc_lo
	global_store_b64 v[11:12], v[3:4], off offset:-4
	s_or_b32 exec_lo, exec_lo, s2
	s_and_saveexec_b32 s2, s3
	s_cbranch_execz .LBB118_102
.LBB118_105:                            ;   in Loop: Header=BB118_4 Depth=1
	v_dual_add_f32 v3, v5, v24 :: v_dual_add_f32 v4, v6, v23
	v_add_co_u32 v5, vcc_lo, v49, s12
	v_add_co_ci_u32_e32 v6, vcc_lo, s13, v50, vcc_lo
	global_store_b64 v[5:6], v[3:4], off
	s_or_b32 exec_lo, exec_lo, s2
	s_and_saveexec_b32 s2, s4
	s_cbranch_execz .LBB118_103
.LBB118_106:                            ;   in Loop: Header=BB118_4 Depth=1
	v_add_co_u32 v5, vcc_lo, v51, s12
	v_dual_add_f32 v3, v7, v20 :: v_dual_add_f32 v4, v8, v19
	v_add_co_ci_u32_e32 v6, vcc_lo, s13, v52, vcc_lo
	global_store_b64 v[5:6], v[3:4], off offset:-4
	s_or_b32 exec_lo, exec_lo, s2
	s_and_saveexec_b32 s2, s5
	s_cbranch_execz .LBB118_3
.LBB118_107:                            ;   in Loop: Header=BB118_4 Depth=1
	v_add_co_u32 v5, vcc_lo, v41, s12
	v_dual_add_f32 v3, v9, v18 :: v_dual_add_f32 v4, v10, v17
	v_add_co_ci_u32_e32 v6, vcc_lo, s13, v42, vcc_lo
	global_store_b64 v[5:6], v[3:4], off offset:-4
	s_branch .LBB118_3
.LBB118_108:
	s_mov_b32 s14, 0
.LBB118_109:
	s_delay_alu instid0(SALU_CYCLE_1)
	s_and_not1_b32 vcc_lo, exec_lo, s14
	s_cbranch_vccnz .LBB118_193
; %bb.110:
	v_dual_mov_b32 v25, 0 :: v_dual_lshlrev_b32 v24, 2, v0
	s_mov_b32 s2, 0
	s_mov_b32 s3, exec_lo
	s_delay_alu instid0(VALU_DEP_1)
	v_cmpx_gt_i64_e64 s[10:11], v[24:25]
	s_cbranch_execz .LBB118_193
; %bb.111:
	s_load_b32 s0, s[0:1], 0xd14
	s_and_b32 s1, s9, 0x7fffffff
	v_lshlrev_b32_e32 v26, 5, v0
	s_cmp_lg_u32 s1, 0
	v_cmp_neq_f32_e64 s1, s8, 1.0
	s_cselect_b32 s3, -1, 0
	s_delay_alu instid0(VALU_DEP_1) | instid1(SALU_CYCLE_1)
	s_or_b32 s3, s1, s3
	s_waitcnt lgkmcnt(0)
	s_and_b32 s0, s0, 0xffff
	s_delay_alu instid0(SALU_CYCLE_1)
	v_add_lshl_u32 v24, v0, s0, 2
	s_lshl_b32 s4, s0, 2
	s_lshl_b32 s5, s0, 5
	s_branch .LBB118_114
.LBB118_112:                            ;   in Loop: Header=BB118_114 Depth=1
	s_or_b32 exec_lo, exec_lo, s0
.LBB118_113:                            ;   in Loop: Header=BB118_114 Depth=1
	v_cmp_le_i64_e32 vcc_lo, s[10:11], v[24:25]
	v_cmp_lt_u64_e64 s0, 0xffff, v[24:25]
	v_add_co_u32 v8, s1, s26, v26
	s_delay_alu instid0(VALU_DEP_1) | instskip(SKIP_1) | instid1(VALU_DEP_4)
	v_add_co_ci_u32_e64 v9, null, s27, 0, s1
	v_dual_add_f32 v6, v6, v30 :: v_dual_add_f32 v7, v7, v29
	s_or_b32 s0, vcc_lo, s0
	s_add_u32 s20, s20, s5
	s_addc_u32 s21, s21, 0
	s_add_u32 s26, s26, s5
	s_addc_u32 s27, s27, 0
	s_add_u32 s22, s22, s5
	v_add_co_u32 v24, vcc_lo, v24, s4
	s_addc_u32 s23, s23, 0
	s_add_u32 s24, s24, s5
	v_dual_add_f32 v4, v4, v28 :: v_dual_add_f32 v5, v5, v27
	v_add_co_ci_u32_e32 v25, vcc_lo, 0, v25, vcc_lo
	s_addc_u32 s25, s25, 0
	v_dual_add_f32 v0, v0, v17 :: v_dual_add_f32 v1, v1, v16
	v_dual_add_f32 v2, v2, v19 :: v_dual_add_f32 v3, v3, v18
	s_and_b32 s0, exec_lo, s0
	s_clause 0x1
	global_store_b128 v[8:9], v[4:7], off
	global_store_b128 v[8:9], v[0:3], off offset:16
	s_or_b32 s2, s0, s2
	s_delay_alu instid0(SALU_CYCLE_1)
	s_and_not1_b32 exec_lo, exec_lo, s2
	s_cbranch_execz .LBB118_193
.LBB118_114:                            ; =>This Inner Loop Header: Depth=1
	v_add_co_u32 v0, s0, s24, v26
	s_delay_alu instid0(VALU_DEP_1) | instskip(SKIP_1) | instid1(VALU_DEP_1)
	v_add_co_ci_u32_e64 v1, null, s25, 0, s0
	v_add_co_u32 v4, s0, s20, v26
	v_add_co_ci_u32_e64 v5, null, s21, 0, s0
	global_load_b128 v[20:23], v[0:1], off
	v_add_co_u32 v16, s0, s22, v26
	s_delay_alu instid0(VALU_DEP_1)
	v_add_co_ci_u32_e64 v17, null, s23, 0, s0
	global_load_b128 v[12:15], v[0:1], off offset:16
	s_clause 0x1
	global_load_b128 v[0:3], v[4:5], off offset:16
	global_load_b128 v[4:7], v[4:5], off
	s_clause 0x1
	global_load_b128 v[8:11], v[16:17], off offset:16
	global_load_b128 v[16:19], v[16:17], off
	s_waitcnt vmcnt(5)
	v_cmp_gt_f32_e32 vcc_lo, 0, v20
	v_cndmask_b32_e64 v29, v20, -v20, vcc_lo
	v_cmp_gt_f32_e32 vcc_lo, 0, v21
	v_cndmask_b32_e64 v30, v21, -v21, vcc_lo
	s_and_b32 vcc_lo, exec_lo, s3
	s_delay_alu instid0(VALU_DEP_1)
	v_cmp_ge_f32_e64 s0, v29, v30
	s_cbranch_vccz .LBB118_124
; %bb.115:                              ;   in Loop: Header=BB118_114 Depth=1
                                        ; implicit-def: $vgpr27
                                        ; implicit-def: $vgpr31
	s_delay_alu instid0(VALU_DEP_1) | instskip(NEXT) | instid1(SALU_CYCLE_1)
	s_and_saveexec_b32 s1, s0
	s_xor_b32 s6, exec_lo, s1
	s_cbranch_execz .LBB118_121
; %bb.116:                              ;   in Loop: Header=BB118_114 Depth=1
	v_cmp_neq_f32_e32 vcc_lo, 0, v20
	v_cmp_neq_f32_e64 s1, 0, v21
                                        ; implicit-def: $vgpr27
                                        ; implicit-def: $vgpr31
	s_delay_alu instid0(VALU_DEP_1) | instskip(NEXT) | instid1(SALU_CYCLE_1)
	s_or_b32 s1, vcc_lo, s1
	s_and_saveexec_b32 s7, s1
	s_delay_alu instid0(SALU_CYCLE_1)
	s_xor_b32 s1, exec_lo, s7
	s_cbranch_execz .LBB118_118
; %bb.117:                              ;   in Loop: Header=BB118_114 Depth=1
	v_div_scale_f32 v27, null, v20, v20, v21
	v_div_scale_f32 v32, vcc_lo, v21, v20, v21
	s_delay_alu instid0(VALU_DEP_2) | instskip(SKIP_2) | instid1(VALU_DEP_1)
	v_rcp_f32_e32 v28, v27
	s_waitcnt_depctr 0xfff
	v_fma_f32 v31, -v27, v28, 1.0
	v_fmac_f32_e32 v28, v31, v28
	s_delay_alu instid0(VALU_DEP_1) | instskip(NEXT) | instid1(VALU_DEP_1)
	v_mul_f32_e32 v31, v32, v28
	v_fma_f32 v33, -v27, v31, v32
	s_delay_alu instid0(VALU_DEP_1) | instskip(NEXT) | instid1(VALU_DEP_1)
	v_fmac_f32_e32 v31, v33, v28
	v_fma_f32 v27, -v27, v31, v32
	s_delay_alu instid0(VALU_DEP_1) | instskip(NEXT) | instid1(VALU_DEP_1)
	v_div_fmas_f32 v27, v27, v28, v31
	v_div_fixup_f32 v27, v27, v20, v21
	s_delay_alu instid0(VALU_DEP_1) | instskip(NEXT) | instid1(VALU_DEP_1)
	v_fma_f32 v28, v21, v27, v20
	v_div_scale_f32 v31, null, v28, v28, 1.0
	v_div_scale_f32 v34, vcc_lo, 1.0, v28, 1.0
	s_delay_alu instid0(VALU_DEP_2) | instskip(SKIP_2) | instid1(VALU_DEP_1)
	v_rcp_f32_e32 v32, v31
	s_waitcnt_depctr 0xfff
	v_fma_f32 v33, -v31, v32, 1.0
	v_fmac_f32_e32 v32, v33, v32
	s_delay_alu instid0(VALU_DEP_1) | instskip(NEXT) | instid1(VALU_DEP_1)
	v_mul_f32_e32 v33, v34, v32
	v_fma_f32 v35, -v31, v33, v34
	s_delay_alu instid0(VALU_DEP_1) | instskip(NEXT) | instid1(VALU_DEP_1)
	v_fmac_f32_e32 v33, v35, v32
	v_fma_f32 v31, -v31, v33, v34
	s_delay_alu instid0(VALU_DEP_1) | instskip(SKIP_3) | instid1(VALU_DEP_3)
	v_div_fmas_f32 v31, v31, v32, v33
	s_waitcnt vmcnt(0)
	v_fma_f32 v32, v17, v27, v16
	v_fma_f32 v27, -v16, v27, v17
	v_div_fixup_f32 v28, v31, v28, 1.0
	s_delay_alu instid0(VALU_DEP_1) | instskip(NEXT) | instid1(VALU_DEP_3)
	v_mul_f32_e32 v31, v32, v28
	v_mul_f32_e32 v27, v27, v28
.LBB118_118:                            ;   in Loop: Header=BB118_114 Depth=1
	s_and_not1_saveexec_b32 s7, s1
	s_cbranch_execz .LBB118_120
; %bb.119:                              ;   in Loop: Header=BB118_114 Depth=1
	s_waitcnt vmcnt(0)
	v_div_scale_f32 v27, null, v29, v29, v16
	v_div_scale_f32 v28, null, v30, v30, v17
	v_div_scale_f32 v35, vcc_lo, v16, v29, v16
	s_delay_alu instid0(VALU_DEP_3) | instskip(NEXT) | instid1(VALU_DEP_2)
	v_rcp_f32_e32 v31, v27
	v_rcp_f32_e32 v32, v28
	s_waitcnt_depctr 0xfff
	v_fma_f32 v33, -v27, v31, 1.0
	v_fma_f32 v34, -v28, v32, 1.0
	s_delay_alu instid0(VALU_DEP_1) | instskip(SKIP_1) | instid1(VALU_DEP_2)
	v_dual_fmac_f32 v31, v33, v31 :: v_dual_fmac_f32 v32, v34, v32
	v_div_scale_f32 v33, s1, v17, v30, v17
	v_mul_f32_e32 v34, v35, v31
	s_delay_alu instid0(VALU_DEP_2) | instskip(NEXT) | instid1(VALU_DEP_2)
	v_mul_f32_e32 v36, v33, v32
	v_fma_f32 v37, -v27, v34, v35
	s_delay_alu instid0(VALU_DEP_2) | instskip(NEXT) | instid1(VALU_DEP_2)
	v_fma_f32 v38, -v28, v36, v33
	v_fmac_f32_e32 v34, v37, v31
	s_delay_alu instid0(VALU_DEP_2) | instskip(NEXT) | instid1(VALU_DEP_2)
	v_fmac_f32_e32 v36, v38, v32
	v_fma_f32 v27, -v27, v34, v35
	s_delay_alu instid0(VALU_DEP_2) | instskip(NEXT) | instid1(VALU_DEP_2)
	v_fma_f32 v28, -v28, v36, v33
	v_div_fmas_f32 v27, v27, v31, v34
	s_mov_b32 vcc_lo, s1
	s_delay_alu instid0(VALU_DEP_2) | instskip(NEXT) | instid1(VALU_DEP_2)
	v_div_fmas_f32 v28, v28, v32, v36
	v_div_fixup_f32 v31, v27, v29, v16
	s_delay_alu instid0(VALU_DEP_2)
	v_div_fixup_f32 v27, v28, v30, v17
.LBB118_120:                            ;   in Loop: Header=BB118_114 Depth=1
	s_or_b32 exec_lo, exec_lo, s7
.LBB118_121:                            ;   in Loop: Header=BB118_114 Depth=1
	s_and_not1_saveexec_b32 s1, s6
	s_cbranch_execz .LBB118_123
; %bb.122:                              ;   in Loop: Header=BB118_114 Depth=1
	v_div_scale_f32 v27, null, v21, v21, v20
	v_div_scale_f32 v32, vcc_lo, v20, v21, v20
	s_delay_alu instid0(VALU_DEP_2) | instskip(SKIP_2) | instid1(VALU_DEP_1)
	v_rcp_f32_e32 v28, v27
	s_waitcnt_depctr 0xfff
	v_fma_f32 v31, -v27, v28, 1.0
	v_fmac_f32_e32 v28, v31, v28
	s_delay_alu instid0(VALU_DEP_1) | instskip(NEXT) | instid1(VALU_DEP_1)
	v_mul_f32_e32 v31, v32, v28
	v_fma_f32 v33, -v27, v31, v32
	s_delay_alu instid0(VALU_DEP_1) | instskip(NEXT) | instid1(VALU_DEP_1)
	v_fmac_f32_e32 v31, v33, v28
	v_fma_f32 v27, -v27, v31, v32
	s_delay_alu instid0(VALU_DEP_1) | instskip(NEXT) | instid1(VALU_DEP_1)
	v_div_fmas_f32 v27, v27, v28, v31
	v_div_fixup_f32 v27, v27, v21, v20
	s_delay_alu instid0(VALU_DEP_1) | instskip(NEXT) | instid1(VALU_DEP_1)
	v_fma_f32 v28, v20, v27, v21
	v_div_scale_f32 v31, null, v28, v28, 1.0
	v_div_scale_f32 v34, vcc_lo, 1.0, v28, 1.0
	s_delay_alu instid0(VALU_DEP_2) | instskip(SKIP_2) | instid1(VALU_DEP_1)
	v_rcp_f32_e32 v32, v31
	s_waitcnt_depctr 0xfff
	v_fma_f32 v33, -v31, v32, 1.0
	v_fmac_f32_e32 v32, v33, v32
	s_delay_alu instid0(VALU_DEP_1) | instskip(NEXT) | instid1(VALU_DEP_1)
	v_mul_f32_e32 v33, v34, v32
	v_fma_f32 v35, -v31, v33, v34
	s_delay_alu instid0(VALU_DEP_1) | instskip(NEXT) | instid1(VALU_DEP_1)
	v_fmac_f32_e32 v33, v35, v32
	v_fma_f32 v31, -v31, v33, v34
	s_delay_alu instid0(VALU_DEP_1) | instskip(SKIP_3) | instid1(VALU_DEP_3)
	v_div_fmas_f32 v31, v31, v32, v33
	s_waitcnt vmcnt(0)
	v_fma_f32 v32, v16, v27, v17
	v_fma_f32 v27, v17, v27, -v16
	v_div_fixup_f32 v28, v31, v28, 1.0
	s_delay_alu instid0(VALU_DEP_1) | instskip(NEXT) | instid1(VALU_DEP_3)
	v_mul_f32_e32 v31, v32, v28
	v_mul_f32_e32 v27, v27, v28
.LBB118_123:                            ;   in Loop: Header=BB118_114 Depth=1
	s_or_b32 exec_lo, exec_lo, s1
	s_delay_alu instid0(VALU_DEP_1) | instskip(SKIP_1) | instid1(VALU_DEP_2)
	v_mul_f32_e32 v28, s9, v27
	v_mul_f32_e32 v27, s8, v27
	v_fma_f32 v28, v31, s8, -v28
	s_delay_alu instid0(VALU_DEP_2)
	v_fmac_f32_e32 v27, s9, v31
	s_branch .LBB118_134
.LBB118_124:                            ;   in Loop: Header=BB118_114 Depth=1
                                        ; implicit-def: $vgpr27
                                        ; implicit-def: $vgpr28
	s_cbranch_execz .LBB118_134
; %bb.125:                              ;   in Loop: Header=BB118_114 Depth=1
                                        ; implicit-def: $vgpr27
                                        ; implicit-def: $vgpr28
	s_delay_alu instid0(VALU_DEP_1) | instskip(NEXT) | instid1(SALU_CYCLE_1)
	s_and_saveexec_b32 s1, s0
	s_xor_b32 s1, exec_lo, s1
	s_cbranch_execz .LBB118_131
; %bb.126:                              ;   in Loop: Header=BB118_114 Depth=1
	v_cmp_neq_f32_e32 vcc_lo, 0, v20
	v_cmp_neq_f32_e64 s0, 0, v21
                                        ; implicit-def: $vgpr27
                                        ; implicit-def: $vgpr28
	s_delay_alu instid0(VALU_DEP_1) | instskip(NEXT) | instid1(SALU_CYCLE_1)
	s_or_b32 s0, vcc_lo, s0
	s_and_saveexec_b32 s6, s0
	s_delay_alu instid0(SALU_CYCLE_1)
	s_xor_b32 s0, exec_lo, s6
	s_cbranch_execz .LBB118_128
; %bb.127:                              ;   in Loop: Header=BB118_114 Depth=1
	v_div_scale_f32 v27, null, v20, v20, v21
	v_div_scale_f32 v30, vcc_lo, v21, v20, v21
	s_delay_alu instid0(VALU_DEP_2) | instskip(SKIP_2) | instid1(VALU_DEP_1)
	v_rcp_f32_e32 v28, v27
	s_waitcnt_depctr 0xfff
	v_fma_f32 v29, -v27, v28, 1.0
	v_fmac_f32_e32 v28, v29, v28
	s_delay_alu instid0(VALU_DEP_1) | instskip(NEXT) | instid1(VALU_DEP_1)
	v_mul_f32_e32 v29, v30, v28
	v_fma_f32 v31, -v27, v29, v30
	s_delay_alu instid0(VALU_DEP_1) | instskip(NEXT) | instid1(VALU_DEP_1)
	v_fmac_f32_e32 v29, v31, v28
	v_fma_f32 v27, -v27, v29, v30
	s_delay_alu instid0(VALU_DEP_1) | instskip(NEXT) | instid1(VALU_DEP_1)
	v_div_fmas_f32 v27, v27, v28, v29
	v_div_fixup_f32 v27, v27, v20, v21
	s_delay_alu instid0(VALU_DEP_1) | instskip(NEXT) | instid1(VALU_DEP_1)
	v_fma_f32 v28, v21, v27, v20
	v_div_scale_f32 v29, null, v28, v28, 1.0
	v_div_scale_f32 v32, vcc_lo, 1.0, v28, 1.0
	s_delay_alu instid0(VALU_DEP_2) | instskip(SKIP_2) | instid1(VALU_DEP_1)
	v_rcp_f32_e32 v30, v29
	s_waitcnt_depctr 0xfff
	v_fma_f32 v31, -v29, v30, 1.0
	v_fmac_f32_e32 v30, v31, v30
	s_delay_alu instid0(VALU_DEP_1) | instskip(NEXT) | instid1(VALU_DEP_1)
	v_mul_f32_e32 v31, v32, v30
	v_fma_f32 v33, -v29, v31, v32
	s_delay_alu instid0(VALU_DEP_1) | instskip(NEXT) | instid1(VALU_DEP_1)
	v_fmac_f32_e32 v31, v33, v30
	v_fma_f32 v29, -v29, v31, v32
	s_delay_alu instid0(VALU_DEP_1) | instskip(SKIP_3) | instid1(VALU_DEP_3)
	v_div_fmas_f32 v29, v29, v30, v31
	s_waitcnt vmcnt(0)
	v_fma_f32 v30, v17, v27, v16
	v_fma_f32 v27, -v16, v27, v17
	v_div_fixup_f32 v29, v29, v28, 1.0
	s_delay_alu instid0(VALU_DEP_1) | instskip(NEXT) | instid1(VALU_DEP_3)
	v_mul_f32_e32 v28, v30, v29
	v_mul_f32_e32 v27, v27, v29
                                        ; implicit-def: $vgpr29
                                        ; implicit-def: $vgpr30
.LBB118_128:                            ;   in Loop: Header=BB118_114 Depth=1
	s_and_not1_saveexec_b32 s6, s0
	s_cbranch_execz .LBB118_130
; %bb.129:                              ;   in Loop: Header=BB118_114 Depth=1
	s_waitcnt vmcnt(0)
	v_div_scale_f32 v27, null, v29, v29, v16
	v_div_scale_f32 v28, null, v30, v30, v17
	v_div_scale_f32 v35, vcc_lo, v16, v29, v16
	s_delay_alu instid0(VALU_DEP_3) | instskip(NEXT) | instid1(VALU_DEP_2)
	v_rcp_f32_e32 v31, v27
	v_rcp_f32_e32 v32, v28
	s_waitcnt_depctr 0xfff
	v_fma_f32 v33, -v27, v31, 1.0
	v_fma_f32 v34, -v28, v32, 1.0
	s_delay_alu instid0(VALU_DEP_1) | instskip(SKIP_1) | instid1(VALU_DEP_2)
	v_dual_fmac_f32 v31, v33, v31 :: v_dual_fmac_f32 v32, v34, v32
	v_div_scale_f32 v33, s0, v17, v30, v17
	v_mul_f32_e32 v34, v35, v31
	s_delay_alu instid0(VALU_DEP_2) | instskip(NEXT) | instid1(VALU_DEP_2)
	v_mul_f32_e32 v36, v33, v32
	v_fma_f32 v37, -v27, v34, v35
	s_delay_alu instid0(VALU_DEP_2) | instskip(NEXT) | instid1(VALU_DEP_2)
	v_fma_f32 v38, -v28, v36, v33
	v_fmac_f32_e32 v34, v37, v31
	s_delay_alu instid0(VALU_DEP_2) | instskip(NEXT) | instid1(VALU_DEP_2)
	v_fmac_f32_e32 v36, v38, v32
	v_fma_f32 v27, -v27, v34, v35
	s_delay_alu instid0(VALU_DEP_2) | instskip(NEXT) | instid1(VALU_DEP_2)
	v_fma_f32 v28, -v28, v36, v33
	v_div_fmas_f32 v27, v27, v31, v34
	s_mov_b32 vcc_lo, s0
	s_delay_alu instid0(VALU_DEP_2) | instskip(NEXT) | instid1(VALU_DEP_2)
	v_div_fmas_f32 v31, v28, v32, v36
	v_div_fixup_f32 v28, v27, v29, v16
	s_delay_alu instid0(VALU_DEP_2)
	v_div_fixup_f32 v27, v31, v30, v17
.LBB118_130:                            ;   in Loop: Header=BB118_114 Depth=1
	s_or_b32 exec_lo, exec_lo, s6
.LBB118_131:                            ;   in Loop: Header=BB118_114 Depth=1
	s_and_not1_saveexec_b32 s0, s1
	s_cbranch_execz .LBB118_133
; %bb.132:                              ;   in Loop: Header=BB118_114 Depth=1
	v_div_scale_f32 v27, null, v21, v21, v20
	v_div_scale_f32 v30, vcc_lo, v20, v21, v20
	s_delay_alu instid0(VALU_DEP_2) | instskip(SKIP_2) | instid1(VALU_DEP_1)
	v_rcp_f32_e32 v28, v27
	s_waitcnt_depctr 0xfff
	v_fma_f32 v29, -v27, v28, 1.0
	v_fmac_f32_e32 v28, v29, v28
	s_delay_alu instid0(VALU_DEP_1) | instskip(NEXT) | instid1(VALU_DEP_1)
	v_mul_f32_e32 v29, v30, v28
	v_fma_f32 v31, -v27, v29, v30
	s_delay_alu instid0(VALU_DEP_1) | instskip(NEXT) | instid1(VALU_DEP_1)
	v_fmac_f32_e32 v29, v31, v28
	v_fma_f32 v27, -v27, v29, v30
	s_delay_alu instid0(VALU_DEP_1) | instskip(NEXT) | instid1(VALU_DEP_1)
	v_div_fmas_f32 v27, v27, v28, v29
	v_div_fixup_f32 v27, v27, v21, v20
	s_delay_alu instid0(VALU_DEP_1) | instskip(NEXT) | instid1(VALU_DEP_1)
	v_fma_f32 v20, v20, v27, v21
	v_div_scale_f32 v21, null, v20, v20, 1.0
	v_div_scale_f32 v30, vcc_lo, 1.0, v20, 1.0
	s_delay_alu instid0(VALU_DEP_2) | instskip(SKIP_2) | instid1(VALU_DEP_1)
	v_rcp_f32_e32 v28, v21
	s_waitcnt_depctr 0xfff
	v_fma_f32 v29, -v21, v28, 1.0
	v_fmac_f32_e32 v28, v29, v28
	s_delay_alu instid0(VALU_DEP_1) | instskip(NEXT) | instid1(VALU_DEP_1)
	v_mul_f32_e32 v29, v30, v28
	v_fma_f32 v31, -v21, v29, v30
	s_delay_alu instid0(VALU_DEP_1) | instskip(NEXT) | instid1(VALU_DEP_1)
	v_fmac_f32_e32 v29, v31, v28
	v_fma_f32 v21, -v21, v29, v30
	s_delay_alu instid0(VALU_DEP_1) | instskip(SKIP_3) | instid1(VALU_DEP_3)
	v_div_fmas_f32 v21, v21, v28, v29
	s_waitcnt vmcnt(0)
	v_fma_f32 v28, v16, v27, v17
	v_fma_f32 v16, v17, v27, -v16
	v_div_fixup_f32 v20, v21, v20, 1.0
	s_delay_alu instid0(VALU_DEP_1) | instskip(NEXT) | instid1(VALU_DEP_3)
	v_mul_f32_e32 v28, v28, v20
	v_mul_f32_e32 v27, v16, v20
.LBB118_133:                            ;   in Loop: Header=BB118_114 Depth=1
	s_or_b32 exec_lo, exec_lo, s0
.LBB118_134:                            ;   in Loop: Header=BB118_114 Depth=1
	v_cmp_gt_f32_e32 vcc_lo, 0, v22
	v_cndmask_b32_e64 v20, v22, -v22, vcc_lo
	v_cmp_gt_f32_e32 vcc_lo, 0, v23
	s_waitcnt vmcnt(0)
	v_cndmask_b32_e64 v16, v23, -v23, vcc_lo
	s_and_not1_b32 vcc_lo, exec_lo, s3
	s_delay_alu instid0(VALU_DEP_1)
	v_cmp_ge_f32_e64 s0, v20, v16
	s_cbranch_vccnz .LBB118_144
; %bb.135:                              ;   in Loop: Header=BB118_114 Depth=1
                                        ; implicit-def: $vgpr21
                                        ; implicit-def: $vgpr17
	s_delay_alu instid0(VALU_DEP_1) | instskip(NEXT) | instid1(SALU_CYCLE_1)
	s_and_saveexec_b32 s1, s0
	s_xor_b32 s6, exec_lo, s1
	s_cbranch_execz .LBB118_141
; %bb.136:                              ;   in Loop: Header=BB118_114 Depth=1
	v_cmp_neq_f32_e32 vcc_lo, 0, v22
	v_cmp_neq_f32_e64 s1, 0, v23
                                        ; implicit-def: $vgpr21
                                        ; implicit-def: $vgpr17
	s_delay_alu instid0(VALU_DEP_1) | instskip(NEXT) | instid1(SALU_CYCLE_1)
	s_or_b32 s1, vcc_lo, s1
	s_and_saveexec_b32 s7, s1
	s_delay_alu instid0(SALU_CYCLE_1)
	s_xor_b32 s1, exec_lo, s7
	s_cbranch_execz .LBB118_138
; %bb.137:                              ;   in Loop: Header=BB118_114 Depth=1
	v_div_scale_f32 v17, null, v22, v22, v23
	v_div_scale_f32 v30, vcc_lo, v23, v22, v23
	s_delay_alu instid0(VALU_DEP_2) | instskip(SKIP_2) | instid1(VALU_DEP_1)
	v_rcp_f32_e32 v21, v17
	s_waitcnt_depctr 0xfff
	v_fma_f32 v29, -v17, v21, 1.0
	v_fmac_f32_e32 v21, v29, v21
	s_delay_alu instid0(VALU_DEP_1) | instskip(NEXT) | instid1(VALU_DEP_1)
	v_mul_f32_e32 v29, v30, v21
	v_fma_f32 v31, -v17, v29, v30
	s_delay_alu instid0(VALU_DEP_1) | instskip(NEXT) | instid1(VALU_DEP_1)
	v_fmac_f32_e32 v29, v31, v21
	v_fma_f32 v17, -v17, v29, v30
	s_delay_alu instid0(VALU_DEP_1) | instskip(NEXT) | instid1(VALU_DEP_1)
	v_div_fmas_f32 v17, v17, v21, v29
	v_div_fixup_f32 v17, v17, v22, v23
	s_delay_alu instid0(VALU_DEP_1) | instskip(NEXT) | instid1(VALU_DEP_1)
	v_fma_f32 v21, v23, v17, v22
	v_div_scale_f32 v29, null, v21, v21, 1.0
	v_div_scale_f32 v32, vcc_lo, 1.0, v21, 1.0
	s_delay_alu instid0(VALU_DEP_2) | instskip(SKIP_2) | instid1(VALU_DEP_1)
	v_rcp_f32_e32 v30, v29
	s_waitcnt_depctr 0xfff
	v_fma_f32 v31, -v29, v30, 1.0
	v_fmac_f32_e32 v30, v31, v30
	s_delay_alu instid0(VALU_DEP_1) | instskip(NEXT) | instid1(VALU_DEP_1)
	v_mul_f32_e32 v31, v32, v30
	v_fma_f32 v33, -v29, v31, v32
	s_delay_alu instid0(VALU_DEP_1) | instskip(NEXT) | instid1(VALU_DEP_1)
	v_fmac_f32_e32 v31, v33, v30
	v_fma_f32 v29, -v29, v31, v32
	s_delay_alu instid0(VALU_DEP_1) | instskip(SKIP_1) | instid1(VALU_DEP_2)
	v_div_fmas_f32 v29, v29, v30, v31
	v_fma_f32 v30, v19, v17, v18
	v_div_fixup_f32 v21, v29, v21, 1.0
	v_fma_f32 v29, -v18, v17, v19
	s_delay_alu instid0(VALU_DEP_2) | instskip(NEXT) | instid1(VALU_DEP_2)
	v_mul_f32_e32 v17, v30, v21
	v_mul_f32_e32 v21, v29, v21
.LBB118_138:                            ;   in Loop: Header=BB118_114 Depth=1
	s_and_not1_saveexec_b32 s7, s1
	s_cbranch_execz .LBB118_140
; %bb.139:                              ;   in Loop: Header=BB118_114 Depth=1
	v_div_scale_f32 v17, null, v20, v20, v18
	v_div_scale_f32 v21, null, v16, v16, v19
	v_div_scale_f32 v33, vcc_lo, v18, v20, v18
	s_delay_alu instid0(VALU_DEP_3) | instskip(NEXT) | instid1(VALU_DEP_2)
	v_rcp_f32_e32 v29, v17
	v_rcp_f32_e32 v30, v21
	s_waitcnt_depctr 0xfff
	v_fma_f32 v31, -v17, v29, 1.0
	v_fma_f32 v32, -v21, v30, 1.0
	s_delay_alu instid0(VALU_DEP_1) | instskip(SKIP_1) | instid1(VALU_DEP_2)
	v_dual_fmac_f32 v29, v31, v29 :: v_dual_fmac_f32 v30, v32, v30
	v_div_scale_f32 v31, s1, v19, v16, v19
	v_mul_f32_e32 v32, v33, v29
	s_delay_alu instid0(VALU_DEP_2) | instskip(NEXT) | instid1(VALU_DEP_2)
	v_mul_f32_e32 v34, v31, v30
	v_fma_f32 v35, -v17, v32, v33
	s_delay_alu instid0(VALU_DEP_2) | instskip(NEXT) | instid1(VALU_DEP_2)
	v_fma_f32 v36, -v21, v34, v31
	v_fmac_f32_e32 v32, v35, v29
	s_delay_alu instid0(VALU_DEP_2) | instskip(NEXT) | instid1(VALU_DEP_2)
	v_fmac_f32_e32 v34, v36, v30
	v_fma_f32 v17, -v17, v32, v33
	s_delay_alu instid0(VALU_DEP_2) | instskip(NEXT) | instid1(VALU_DEP_2)
	v_fma_f32 v21, -v21, v34, v31
	v_div_fmas_f32 v17, v17, v29, v32
	s_mov_b32 vcc_lo, s1
	s_delay_alu instid0(VALU_DEP_2) | instskip(NEXT) | instid1(VALU_DEP_2)
	v_div_fmas_f32 v21, v21, v30, v34
	v_div_fixup_f32 v17, v17, v20, v18
	s_delay_alu instid0(VALU_DEP_2)
	v_div_fixup_f32 v21, v21, v16, v19
.LBB118_140:                            ;   in Loop: Header=BB118_114 Depth=1
	s_or_b32 exec_lo, exec_lo, s7
.LBB118_141:                            ;   in Loop: Header=BB118_114 Depth=1
	s_and_not1_saveexec_b32 s1, s6
	s_cbranch_execz .LBB118_143
; %bb.142:                              ;   in Loop: Header=BB118_114 Depth=1
	v_div_scale_f32 v17, null, v23, v23, v22
	v_div_scale_f32 v30, vcc_lo, v22, v23, v22
	s_delay_alu instid0(VALU_DEP_2) | instskip(SKIP_2) | instid1(VALU_DEP_1)
	v_rcp_f32_e32 v21, v17
	s_waitcnt_depctr 0xfff
	v_fma_f32 v29, -v17, v21, 1.0
	v_fmac_f32_e32 v21, v29, v21
	s_delay_alu instid0(VALU_DEP_1) | instskip(NEXT) | instid1(VALU_DEP_1)
	v_mul_f32_e32 v29, v30, v21
	v_fma_f32 v31, -v17, v29, v30
	s_delay_alu instid0(VALU_DEP_1) | instskip(NEXT) | instid1(VALU_DEP_1)
	v_fmac_f32_e32 v29, v31, v21
	v_fma_f32 v17, -v17, v29, v30
	s_delay_alu instid0(VALU_DEP_1) | instskip(NEXT) | instid1(VALU_DEP_1)
	v_div_fmas_f32 v17, v17, v21, v29
	v_div_fixup_f32 v17, v17, v23, v22
	s_delay_alu instid0(VALU_DEP_1) | instskip(NEXT) | instid1(VALU_DEP_1)
	v_fma_f32 v21, v22, v17, v23
	v_div_scale_f32 v29, null, v21, v21, 1.0
	v_div_scale_f32 v32, vcc_lo, 1.0, v21, 1.0
	s_delay_alu instid0(VALU_DEP_2) | instskip(SKIP_2) | instid1(VALU_DEP_1)
	v_rcp_f32_e32 v30, v29
	s_waitcnt_depctr 0xfff
	v_fma_f32 v31, -v29, v30, 1.0
	v_fmac_f32_e32 v30, v31, v30
	s_delay_alu instid0(VALU_DEP_1) | instskip(NEXT) | instid1(VALU_DEP_1)
	v_mul_f32_e32 v31, v32, v30
	v_fma_f32 v33, -v29, v31, v32
	s_delay_alu instid0(VALU_DEP_1) | instskip(NEXT) | instid1(VALU_DEP_1)
	v_fmac_f32_e32 v31, v33, v30
	v_fma_f32 v29, -v29, v31, v32
	s_delay_alu instid0(VALU_DEP_1) | instskip(SKIP_1) | instid1(VALU_DEP_2)
	v_div_fmas_f32 v29, v29, v30, v31
	v_fma_f32 v30, v18, v17, v19
	v_div_fixup_f32 v21, v29, v21, 1.0
	v_fma_f32 v29, v19, v17, -v18
	s_delay_alu instid0(VALU_DEP_2) | instskip(NEXT) | instid1(VALU_DEP_2)
	v_mul_f32_e32 v17, v30, v21
	v_mul_f32_e32 v21, v29, v21
.LBB118_143:                            ;   in Loop: Header=BB118_114 Depth=1
	s_or_b32 exec_lo, exec_lo, s1
	s_delay_alu instid0(VALU_DEP_1) | instskip(SKIP_1) | instid1(VALU_DEP_2)
	v_mul_f32_e32 v30, s9, v21
	v_mul_f32_e32 v29, s8, v21
	v_fma_f32 v30, v17, s8, -v30
	s_delay_alu instid0(VALU_DEP_2)
	v_fmac_f32_e32 v29, s9, v17
	s_branch .LBB118_154
.LBB118_144:                            ;   in Loop: Header=BB118_114 Depth=1
                                        ; implicit-def: $vgpr29
                                        ; implicit-def: $vgpr30
	s_cbranch_execz .LBB118_154
; %bb.145:                              ;   in Loop: Header=BB118_114 Depth=1
                                        ; implicit-def: $vgpr29
                                        ; implicit-def: $vgpr30
	s_delay_alu instid0(VALU_DEP_1) | instskip(NEXT) | instid1(SALU_CYCLE_1)
	s_and_saveexec_b32 s1, s0
	s_xor_b32 s1, exec_lo, s1
	s_cbranch_execz .LBB118_151
; %bb.146:                              ;   in Loop: Header=BB118_114 Depth=1
	v_cmp_neq_f32_e32 vcc_lo, 0, v22
	v_cmp_neq_f32_e64 s0, 0, v23
                                        ; implicit-def: $vgpr29
                                        ; implicit-def: $vgpr30
	s_delay_alu instid0(VALU_DEP_1) | instskip(NEXT) | instid1(SALU_CYCLE_1)
	s_or_b32 s0, vcc_lo, s0
	s_and_saveexec_b32 s6, s0
	s_delay_alu instid0(SALU_CYCLE_1)
	s_xor_b32 s0, exec_lo, s6
	s_cbranch_execz .LBB118_148
; %bb.147:                              ;   in Loop: Header=BB118_114 Depth=1
	v_div_scale_f32 v16, null, v22, v22, v23
	v_div_scale_f32 v21, vcc_lo, v23, v22, v23
	s_delay_alu instid0(VALU_DEP_2) | instskip(SKIP_2) | instid1(VALU_DEP_1)
	v_rcp_f32_e32 v17, v16
	s_waitcnt_depctr 0xfff
	v_fma_f32 v20, -v16, v17, 1.0
	v_fmac_f32_e32 v17, v20, v17
	s_delay_alu instid0(VALU_DEP_1) | instskip(NEXT) | instid1(VALU_DEP_1)
	v_mul_f32_e32 v20, v21, v17
	v_fma_f32 v29, -v16, v20, v21
	s_delay_alu instid0(VALU_DEP_1) | instskip(NEXT) | instid1(VALU_DEP_1)
	v_fmac_f32_e32 v20, v29, v17
	v_fma_f32 v16, -v16, v20, v21
	s_delay_alu instid0(VALU_DEP_1) | instskip(NEXT) | instid1(VALU_DEP_1)
	v_div_fmas_f32 v16, v16, v17, v20
	v_div_fixup_f32 v16, v16, v22, v23
	s_delay_alu instid0(VALU_DEP_1) | instskip(NEXT) | instid1(VALU_DEP_1)
	v_fmac_f32_e32 v22, v23, v16
	v_div_scale_f32 v17, null, v22, v22, 1.0
	v_div_scale_f32 v23, vcc_lo, 1.0, v22, 1.0
	s_delay_alu instid0(VALU_DEP_2) | instskip(SKIP_2) | instid1(VALU_DEP_1)
	v_rcp_f32_e32 v20, v17
	s_waitcnt_depctr 0xfff
	v_fma_f32 v21, -v17, v20, 1.0
	v_fmac_f32_e32 v20, v21, v20
	s_delay_alu instid0(VALU_DEP_1) | instskip(NEXT) | instid1(VALU_DEP_1)
	v_mul_f32_e32 v21, v23, v20
	v_fma_f32 v29, -v17, v21, v23
	s_delay_alu instid0(VALU_DEP_1) | instskip(NEXT) | instid1(VALU_DEP_1)
	v_fmac_f32_e32 v21, v29, v20
	v_fma_f32 v17, -v17, v21, v23
	s_delay_alu instid0(VALU_DEP_1) | instskip(SKIP_2) | instid1(VALU_DEP_3)
	v_div_fmas_f32 v17, v17, v20, v21
	v_fma_f32 v20, v19, v16, v18
	v_fma_f32 v16, -v18, v16, v19
	v_div_fixup_f32 v17, v17, v22, 1.0
	s_delay_alu instid0(VALU_DEP_1) | instskip(NEXT) | instid1(VALU_DEP_3)
	v_mul_f32_e32 v30, v20, v17
	v_mul_f32_e32 v29, v16, v17
                                        ; implicit-def: $vgpr16_vgpr17_vgpr18_vgpr19
                                        ; implicit-def: $vgpr20
                                        ; implicit-def: $vgpr16
.LBB118_148:                            ;   in Loop: Header=BB118_114 Depth=1
	s_and_not1_saveexec_b32 s6, s0
	s_cbranch_execz .LBB118_150
; %bb.149:                              ;   in Loop: Header=BB118_114 Depth=1
	v_div_scale_f32 v17, null, v20, v20, v18
	v_div_scale_f32 v21, null, v16, v16, v19
	v_div_scale_f32 v31, vcc_lo, v18, v20, v18
	s_delay_alu instid0(VALU_DEP_3) | instskip(NEXT) | instid1(VALU_DEP_2)
	v_rcp_f32_e32 v22, v17
	v_rcp_f32_e32 v23, v21
	s_waitcnt_depctr 0xfff
	v_fma_f32 v29, -v17, v22, 1.0
	v_fma_f32 v30, -v21, v23, 1.0
	s_delay_alu instid0(VALU_DEP_1) | instskip(SKIP_1) | instid1(VALU_DEP_2)
	v_dual_fmac_f32 v22, v29, v22 :: v_dual_fmac_f32 v23, v30, v23
	v_div_scale_f32 v29, s0, v19, v16, v19
	v_mul_f32_e32 v30, v31, v22
	s_delay_alu instid0(VALU_DEP_2) | instskip(NEXT) | instid1(VALU_DEP_2)
	v_mul_f32_e32 v32, v29, v23
	v_fma_f32 v33, -v17, v30, v31
	s_delay_alu instid0(VALU_DEP_2) | instskip(NEXT) | instid1(VALU_DEP_2)
	v_fma_f32 v34, -v21, v32, v29
	v_fmac_f32_e32 v30, v33, v22
	s_delay_alu instid0(VALU_DEP_2) | instskip(NEXT) | instid1(VALU_DEP_2)
	v_fmac_f32_e32 v32, v34, v23
	v_fma_f32 v17, -v17, v30, v31
	s_delay_alu instid0(VALU_DEP_2) | instskip(NEXT) | instid1(VALU_DEP_2)
	v_fma_f32 v21, -v21, v32, v29
	v_div_fmas_f32 v17, v17, v22, v30
	s_mov_b32 vcc_lo, s0
	s_delay_alu instid0(VALU_DEP_2) | instskip(NEXT) | instid1(VALU_DEP_2)
	v_div_fmas_f32 v21, v21, v23, v32
	v_div_fixup_f32 v30, v17, v20, v18
	s_delay_alu instid0(VALU_DEP_2)
	v_div_fixup_f32 v29, v21, v16, v19
.LBB118_150:                            ;   in Loop: Header=BB118_114 Depth=1
	s_or_b32 exec_lo, exec_lo, s6
                                        ; implicit-def: $vgpr20_vgpr21_vgpr22_vgpr23
                                        ; implicit-def: $vgpr16_vgpr17_vgpr18_vgpr19
.LBB118_151:                            ;   in Loop: Header=BB118_114 Depth=1
	s_and_not1_saveexec_b32 s0, s1
	s_cbranch_execz .LBB118_153
; %bb.152:                              ;   in Loop: Header=BB118_114 Depth=1
	v_div_scale_f32 v16, null, v23, v23, v22
	v_div_scale_f32 v21, vcc_lo, v22, v23, v22
	s_delay_alu instid0(VALU_DEP_2) | instskip(SKIP_2) | instid1(VALU_DEP_1)
	v_rcp_f32_e32 v17, v16
	s_waitcnt_depctr 0xfff
	v_fma_f32 v20, -v16, v17, 1.0
	v_fmac_f32_e32 v17, v20, v17
	s_delay_alu instid0(VALU_DEP_1) | instskip(NEXT) | instid1(VALU_DEP_1)
	v_mul_f32_e32 v20, v21, v17
	v_fma_f32 v29, -v16, v20, v21
	s_delay_alu instid0(VALU_DEP_1) | instskip(NEXT) | instid1(VALU_DEP_1)
	v_fmac_f32_e32 v20, v29, v17
	v_fma_f32 v16, -v16, v20, v21
	s_delay_alu instid0(VALU_DEP_1) | instskip(NEXT) | instid1(VALU_DEP_1)
	v_div_fmas_f32 v16, v16, v17, v20
	v_div_fixup_f32 v16, v16, v23, v22
	s_delay_alu instid0(VALU_DEP_1) | instskip(NEXT) | instid1(VALU_DEP_1)
	v_fmac_f32_e32 v23, v22, v16
	v_div_scale_f32 v17, null, v23, v23, 1.0
	v_div_scale_f32 v22, vcc_lo, 1.0, v23, 1.0
	s_delay_alu instid0(VALU_DEP_2) | instskip(SKIP_2) | instid1(VALU_DEP_1)
	v_rcp_f32_e32 v20, v17
	s_waitcnt_depctr 0xfff
	v_fma_f32 v21, -v17, v20, 1.0
	v_fmac_f32_e32 v20, v21, v20
	s_delay_alu instid0(VALU_DEP_1) | instskip(NEXT) | instid1(VALU_DEP_1)
	v_mul_f32_e32 v21, v22, v20
	v_fma_f32 v29, -v17, v21, v22
	s_delay_alu instid0(VALU_DEP_1) | instskip(NEXT) | instid1(VALU_DEP_1)
	v_fmac_f32_e32 v21, v29, v20
	v_fma_f32 v17, -v17, v21, v22
	s_delay_alu instid0(VALU_DEP_1) | instskip(SKIP_2) | instid1(VALU_DEP_3)
	v_div_fmas_f32 v17, v17, v20, v21
	v_fma_f32 v20, v18, v16, v19
	v_fma_f32 v16, v19, v16, -v18
	v_div_fixup_f32 v17, v17, v23, 1.0
	s_delay_alu instid0(VALU_DEP_1) | instskip(NEXT) | instid1(VALU_DEP_3)
	v_mul_f32_e32 v30, v20, v17
	v_mul_f32_e32 v29, v16, v17
.LBB118_153:                            ;   in Loop: Header=BB118_114 Depth=1
	s_or_b32 exec_lo, exec_lo, s0
.LBB118_154:                            ;   in Loop: Header=BB118_114 Depth=1
	v_cmp_gt_f32_e32 vcc_lo, 0, v12
	v_cndmask_b32_e64 v18, v12, -v12, vcc_lo
	v_cmp_gt_f32_e32 vcc_lo, 0, v13
	v_cndmask_b32_e64 v19, v13, -v13, vcc_lo
	s_and_not1_b32 vcc_lo, exec_lo, s3
	s_delay_alu instid0(VALU_DEP_1)
	v_cmp_ge_f32_e64 s0, v18, v19
	s_cbranch_vccnz .LBB118_164
; %bb.155:                              ;   in Loop: Header=BB118_114 Depth=1
                                        ; implicit-def: $vgpr16
                                        ; implicit-def: $vgpr20
	s_delay_alu instid0(VALU_DEP_1) | instskip(NEXT) | instid1(SALU_CYCLE_1)
	s_and_saveexec_b32 s1, s0
	s_xor_b32 s6, exec_lo, s1
	s_cbranch_execz .LBB118_161
; %bb.156:                              ;   in Loop: Header=BB118_114 Depth=1
	v_cmp_neq_f32_e32 vcc_lo, 0, v12
	v_cmp_neq_f32_e64 s1, 0, v13
                                        ; implicit-def: $vgpr16
                                        ; implicit-def: $vgpr20
	s_delay_alu instid0(VALU_DEP_1) | instskip(NEXT) | instid1(SALU_CYCLE_1)
	s_or_b32 s1, vcc_lo, s1
	s_and_saveexec_b32 s7, s1
	s_delay_alu instid0(SALU_CYCLE_1)
	s_xor_b32 s1, exec_lo, s7
	s_cbranch_execz .LBB118_158
; %bb.157:                              ;   in Loop: Header=BB118_114 Depth=1
	v_div_scale_f32 v16, null, v12, v12, v13
	v_div_scale_f32 v21, vcc_lo, v13, v12, v13
	s_delay_alu instid0(VALU_DEP_2) | instskip(SKIP_2) | instid1(VALU_DEP_1)
	v_rcp_f32_e32 v17, v16
	s_waitcnt_depctr 0xfff
	v_fma_f32 v20, -v16, v17, 1.0
	v_fmac_f32_e32 v17, v20, v17
	s_delay_alu instid0(VALU_DEP_1) | instskip(NEXT) | instid1(VALU_DEP_1)
	v_mul_f32_e32 v20, v21, v17
	v_fma_f32 v22, -v16, v20, v21
	s_delay_alu instid0(VALU_DEP_1) | instskip(NEXT) | instid1(VALU_DEP_1)
	v_fmac_f32_e32 v20, v22, v17
	v_fma_f32 v16, -v16, v20, v21
	s_delay_alu instid0(VALU_DEP_1) | instskip(NEXT) | instid1(VALU_DEP_1)
	v_div_fmas_f32 v16, v16, v17, v20
	v_div_fixup_f32 v16, v16, v12, v13
	s_delay_alu instid0(VALU_DEP_1) | instskip(NEXT) | instid1(VALU_DEP_1)
	v_fma_f32 v17, v13, v16, v12
	v_div_scale_f32 v20, null, v17, v17, 1.0
	v_div_scale_f32 v23, vcc_lo, 1.0, v17, 1.0
	s_delay_alu instid0(VALU_DEP_2) | instskip(SKIP_2) | instid1(VALU_DEP_1)
	v_rcp_f32_e32 v21, v20
	s_waitcnt_depctr 0xfff
	v_fma_f32 v22, -v20, v21, 1.0
	v_fmac_f32_e32 v21, v22, v21
	s_delay_alu instid0(VALU_DEP_1) | instskip(NEXT) | instid1(VALU_DEP_1)
	v_mul_f32_e32 v22, v23, v21
	v_fma_f32 v31, -v20, v22, v23
	s_delay_alu instid0(VALU_DEP_1) | instskip(NEXT) | instid1(VALU_DEP_1)
	v_fmac_f32_e32 v22, v31, v21
	v_fma_f32 v20, -v20, v22, v23
	s_delay_alu instid0(VALU_DEP_1) | instskip(SKIP_2) | instid1(VALU_DEP_3)
	v_div_fmas_f32 v20, v20, v21, v22
	v_fma_f32 v21, v9, v16, v8
	v_fma_f32 v16, -v8, v16, v9
	v_div_fixup_f32 v17, v20, v17, 1.0
	s_delay_alu instid0(VALU_DEP_1) | instskip(NEXT) | instid1(VALU_DEP_3)
	v_mul_f32_e32 v20, v21, v17
	v_mul_f32_e32 v16, v16, v17
.LBB118_158:                            ;   in Loop: Header=BB118_114 Depth=1
	s_and_not1_saveexec_b32 s7, s1
	s_cbranch_execz .LBB118_160
; %bb.159:                              ;   in Loop: Header=BB118_114 Depth=1
	v_div_scale_f32 v16, null, v18, v18, v8
	v_div_scale_f32 v17, null, v19, v19, v9
	v_div_scale_f32 v31, vcc_lo, v8, v18, v8
	s_delay_alu instid0(VALU_DEP_3) | instskip(NEXT) | instid1(VALU_DEP_2)
	v_rcp_f32_e32 v20, v16
	v_rcp_f32_e32 v21, v17
	s_waitcnt_depctr 0xfff
	v_fma_f32 v22, -v16, v20, 1.0
	v_fma_f32 v23, -v17, v21, 1.0
	s_delay_alu instid0(VALU_DEP_1) | instskip(SKIP_1) | instid1(VALU_DEP_1)
	v_dual_fmac_f32 v20, v22, v20 :: v_dual_fmac_f32 v21, v23, v21
	v_div_scale_f32 v22, s1, v9, v19, v9
	v_dual_mul_f32 v23, v31, v20 :: v_dual_mul_f32 v32, v22, v21
	s_delay_alu instid0(VALU_DEP_1) | instskip(NEXT) | instid1(VALU_DEP_2)
	v_fma_f32 v33, -v16, v23, v31
	v_fma_f32 v34, -v17, v32, v22
	s_delay_alu instid0(VALU_DEP_1) | instskip(NEXT) | instid1(VALU_DEP_1)
	v_dual_fmac_f32 v23, v33, v20 :: v_dual_fmac_f32 v32, v34, v21
	v_fma_f32 v16, -v16, v23, v31
	s_delay_alu instid0(VALU_DEP_2) | instskip(NEXT) | instid1(VALU_DEP_2)
	v_fma_f32 v17, -v17, v32, v22
	v_div_fmas_f32 v16, v16, v20, v23
	s_mov_b32 vcc_lo, s1
	s_delay_alu instid0(VALU_DEP_2) | instskip(NEXT) | instid1(VALU_DEP_2)
	v_div_fmas_f32 v17, v17, v21, v32
	v_div_fixup_f32 v20, v16, v18, v8
	s_delay_alu instid0(VALU_DEP_2)
	v_div_fixup_f32 v16, v17, v19, v9
.LBB118_160:                            ;   in Loop: Header=BB118_114 Depth=1
	s_or_b32 exec_lo, exec_lo, s7
.LBB118_161:                            ;   in Loop: Header=BB118_114 Depth=1
	s_and_not1_saveexec_b32 s1, s6
	s_cbranch_execz .LBB118_163
; %bb.162:                              ;   in Loop: Header=BB118_114 Depth=1
	v_div_scale_f32 v16, null, v13, v13, v12
	v_div_scale_f32 v21, vcc_lo, v12, v13, v12
	s_delay_alu instid0(VALU_DEP_2) | instskip(SKIP_2) | instid1(VALU_DEP_1)
	v_rcp_f32_e32 v17, v16
	s_waitcnt_depctr 0xfff
	v_fma_f32 v20, -v16, v17, 1.0
	v_fmac_f32_e32 v17, v20, v17
	s_delay_alu instid0(VALU_DEP_1) | instskip(NEXT) | instid1(VALU_DEP_1)
	v_mul_f32_e32 v20, v21, v17
	v_fma_f32 v22, -v16, v20, v21
	s_delay_alu instid0(VALU_DEP_1) | instskip(NEXT) | instid1(VALU_DEP_1)
	v_fmac_f32_e32 v20, v22, v17
	v_fma_f32 v16, -v16, v20, v21
	s_delay_alu instid0(VALU_DEP_1) | instskip(NEXT) | instid1(VALU_DEP_1)
	v_div_fmas_f32 v16, v16, v17, v20
	v_div_fixup_f32 v16, v16, v13, v12
	s_delay_alu instid0(VALU_DEP_1) | instskip(NEXT) | instid1(VALU_DEP_1)
	v_fma_f32 v17, v12, v16, v13
	v_div_scale_f32 v20, null, v17, v17, 1.0
	v_div_scale_f32 v23, vcc_lo, 1.0, v17, 1.0
	s_delay_alu instid0(VALU_DEP_2) | instskip(SKIP_2) | instid1(VALU_DEP_1)
	v_rcp_f32_e32 v21, v20
	s_waitcnt_depctr 0xfff
	v_fma_f32 v22, -v20, v21, 1.0
	v_fmac_f32_e32 v21, v22, v21
	s_delay_alu instid0(VALU_DEP_1) | instskip(NEXT) | instid1(VALU_DEP_1)
	v_mul_f32_e32 v22, v23, v21
	v_fma_f32 v31, -v20, v22, v23
	s_delay_alu instid0(VALU_DEP_1) | instskip(NEXT) | instid1(VALU_DEP_1)
	v_fmac_f32_e32 v22, v31, v21
	v_fma_f32 v20, -v20, v22, v23
	s_delay_alu instid0(VALU_DEP_1) | instskip(SKIP_2) | instid1(VALU_DEP_3)
	v_div_fmas_f32 v20, v20, v21, v22
	v_fma_f32 v21, v8, v16, v9
	v_fma_f32 v16, v9, v16, -v8
	v_div_fixup_f32 v17, v20, v17, 1.0
	s_delay_alu instid0(VALU_DEP_1) | instskip(NEXT) | instid1(VALU_DEP_3)
	v_mul_f32_e32 v20, v21, v17
	v_mul_f32_e32 v16, v16, v17
.LBB118_163:                            ;   in Loop: Header=BB118_114 Depth=1
	s_or_b32 exec_lo, exec_lo, s1
	s_delay_alu instid0(VALU_DEP_1) | instskip(SKIP_1) | instid1(VALU_DEP_2)
	v_mul_f32_e32 v17, s9, v16
	v_mul_f32_e32 v16, s8, v16
	v_fma_f32 v17, v20, s8, -v17
	s_delay_alu instid0(VALU_DEP_2)
	v_fmac_f32_e32 v16, s9, v20
	s_branch .LBB118_174
.LBB118_164:                            ;   in Loop: Header=BB118_114 Depth=1
                                        ; implicit-def: $vgpr16
                                        ; implicit-def: $vgpr17
	s_cbranch_execz .LBB118_174
; %bb.165:                              ;   in Loop: Header=BB118_114 Depth=1
                                        ; implicit-def: $vgpr16
                                        ; implicit-def: $vgpr17
	s_delay_alu instid0(VALU_DEP_1) | instskip(NEXT) | instid1(SALU_CYCLE_1)
	s_and_saveexec_b32 s1, s0
	s_xor_b32 s1, exec_lo, s1
	s_cbranch_execz .LBB118_171
; %bb.166:                              ;   in Loop: Header=BB118_114 Depth=1
	v_cmp_neq_f32_e32 vcc_lo, 0, v12
	v_cmp_neq_f32_e64 s0, 0, v13
                                        ; implicit-def: $vgpr16
                                        ; implicit-def: $vgpr17
	s_delay_alu instid0(VALU_DEP_1) | instskip(NEXT) | instid1(SALU_CYCLE_1)
	s_or_b32 s0, vcc_lo, s0
	s_and_saveexec_b32 s6, s0
	s_delay_alu instid0(SALU_CYCLE_1)
	s_xor_b32 s0, exec_lo, s6
	s_cbranch_execz .LBB118_168
; %bb.167:                              ;   in Loop: Header=BB118_114 Depth=1
	v_div_scale_f32 v16, null, v12, v12, v13
	v_div_scale_f32 v19, vcc_lo, v13, v12, v13
	s_delay_alu instid0(VALU_DEP_2) | instskip(SKIP_2) | instid1(VALU_DEP_1)
	v_rcp_f32_e32 v17, v16
	s_waitcnt_depctr 0xfff
	v_fma_f32 v18, -v16, v17, 1.0
	v_fmac_f32_e32 v17, v18, v17
	s_delay_alu instid0(VALU_DEP_1) | instskip(NEXT) | instid1(VALU_DEP_1)
	v_mul_f32_e32 v18, v19, v17
	v_fma_f32 v20, -v16, v18, v19
	s_delay_alu instid0(VALU_DEP_1) | instskip(NEXT) | instid1(VALU_DEP_1)
	v_fmac_f32_e32 v18, v20, v17
	v_fma_f32 v16, -v16, v18, v19
	s_delay_alu instid0(VALU_DEP_1) | instskip(NEXT) | instid1(VALU_DEP_1)
	v_div_fmas_f32 v16, v16, v17, v18
	v_div_fixup_f32 v16, v16, v12, v13
	s_delay_alu instid0(VALU_DEP_1) | instskip(NEXT) | instid1(VALU_DEP_1)
	v_fma_f32 v17, v13, v16, v12
	v_div_scale_f32 v18, null, v17, v17, 1.0
	v_div_scale_f32 v21, vcc_lo, 1.0, v17, 1.0
	s_delay_alu instid0(VALU_DEP_2) | instskip(SKIP_2) | instid1(VALU_DEP_1)
	v_rcp_f32_e32 v19, v18
	s_waitcnt_depctr 0xfff
	v_fma_f32 v20, -v18, v19, 1.0
	v_fmac_f32_e32 v19, v20, v19
	s_delay_alu instid0(VALU_DEP_1) | instskip(NEXT) | instid1(VALU_DEP_1)
	v_mul_f32_e32 v20, v21, v19
	v_fma_f32 v22, -v18, v20, v21
	s_delay_alu instid0(VALU_DEP_1) | instskip(NEXT) | instid1(VALU_DEP_1)
	v_fmac_f32_e32 v20, v22, v19
	v_fma_f32 v18, -v18, v20, v21
	s_delay_alu instid0(VALU_DEP_1) | instskip(SKIP_2) | instid1(VALU_DEP_3)
	v_div_fmas_f32 v18, v18, v19, v20
	v_fma_f32 v19, v9, v16, v8
	v_fma_f32 v16, -v8, v16, v9
	v_div_fixup_f32 v18, v18, v17, 1.0
	s_delay_alu instid0(VALU_DEP_1) | instskip(NEXT) | instid1(VALU_DEP_3)
	v_mul_f32_e32 v17, v19, v18
	v_mul_f32_e32 v16, v16, v18
                                        ; implicit-def: $vgpr18
                                        ; implicit-def: $vgpr19
.LBB118_168:                            ;   in Loop: Header=BB118_114 Depth=1
	s_and_not1_saveexec_b32 s6, s0
	s_cbranch_execz .LBB118_170
; %bb.169:                              ;   in Loop: Header=BB118_114 Depth=1
	v_div_scale_f32 v16, null, v18, v18, v8
	v_div_scale_f32 v17, null, v19, v19, v9
	v_div_scale_f32 v31, vcc_lo, v8, v18, v8
	s_delay_alu instid0(VALU_DEP_3) | instskip(NEXT) | instid1(VALU_DEP_2)
	v_rcp_f32_e32 v20, v16
	v_rcp_f32_e32 v21, v17
	s_waitcnt_depctr 0xfff
	v_fma_f32 v22, -v16, v20, 1.0
	v_fma_f32 v23, -v17, v21, 1.0
	s_delay_alu instid0(VALU_DEP_1) | instskip(SKIP_1) | instid1(VALU_DEP_1)
	v_dual_fmac_f32 v20, v22, v20 :: v_dual_fmac_f32 v21, v23, v21
	v_div_scale_f32 v22, s0, v9, v19, v9
	v_dual_mul_f32 v23, v31, v20 :: v_dual_mul_f32 v32, v22, v21
	s_delay_alu instid0(VALU_DEP_1) | instskip(NEXT) | instid1(VALU_DEP_2)
	v_fma_f32 v33, -v16, v23, v31
	v_fma_f32 v34, -v17, v32, v22
	s_delay_alu instid0(VALU_DEP_1) | instskip(NEXT) | instid1(VALU_DEP_1)
	v_dual_fmac_f32 v23, v33, v20 :: v_dual_fmac_f32 v32, v34, v21
	v_fma_f32 v16, -v16, v23, v31
	s_delay_alu instid0(VALU_DEP_2) | instskip(NEXT) | instid1(VALU_DEP_2)
	v_fma_f32 v17, -v17, v32, v22
	v_div_fmas_f32 v16, v16, v20, v23
	s_mov_b32 vcc_lo, s0
	s_delay_alu instid0(VALU_DEP_2) | instskip(NEXT) | instid1(VALU_DEP_2)
	v_div_fmas_f32 v20, v17, v21, v32
	v_div_fixup_f32 v17, v16, v18, v8
	s_delay_alu instid0(VALU_DEP_2)
	v_div_fixup_f32 v16, v20, v19, v9
.LBB118_170:                            ;   in Loop: Header=BB118_114 Depth=1
	s_or_b32 exec_lo, exec_lo, s6
.LBB118_171:                            ;   in Loop: Header=BB118_114 Depth=1
	s_and_not1_saveexec_b32 s0, s1
	s_cbranch_execz .LBB118_173
; %bb.172:                              ;   in Loop: Header=BB118_114 Depth=1
	v_div_scale_f32 v16, null, v13, v13, v12
	v_div_scale_f32 v19, vcc_lo, v12, v13, v12
	s_delay_alu instid0(VALU_DEP_2) | instskip(SKIP_2) | instid1(VALU_DEP_1)
	v_rcp_f32_e32 v17, v16
	s_waitcnt_depctr 0xfff
	v_fma_f32 v18, -v16, v17, 1.0
	v_fmac_f32_e32 v17, v18, v17
	s_delay_alu instid0(VALU_DEP_1) | instskip(NEXT) | instid1(VALU_DEP_1)
	v_mul_f32_e32 v18, v19, v17
	v_fma_f32 v20, -v16, v18, v19
	s_delay_alu instid0(VALU_DEP_1) | instskip(NEXT) | instid1(VALU_DEP_1)
	v_fmac_f32_e32 v18, v20, v17
	v_fma_f32 v16, -v16, v18, v19
	s_delay_alu instid0(VALU_DEP_1) | instskip(NEXT) | instid1(VALU_DEP_1)
	v_div_fmas_f32 v16, v16, v17, v18
	v_div_fixup_f32 v16, v16, v13, v12
	s_delay_alu instid0(VALU_DEP_1) | instskip(NEXT) | instid1(VALU_DEP_1)
	v_fma_f32 v12, v12, v16, v13
	v_div_scale_f32 v13, null, v12, v12, 1.0
	v_div_scale_f32 v19, vcc_lo, 1.0, v12, 1.0
	s_delay_alu instid0(VALU_DEP_2) | instskip(SKIP_2) | instid1(VALU_DEP_1)
	v_rcp_f32_e32 v17, v13
	s_waitcnt_depctr 0xfff
	v_fma_f32 v18, -v13, v17, 1.0
	v_fmac_f32_e32 v17, v18, v17
	s_delay_alu instid0(VALU_DEP_1) | instskip(NEXT) | instid1(VALU_DEP_1)
	v_mul_f32_e32 v18, v19, v17
	v_fma_f32 v20, -v13, v18, v19
	s_delay_alu instid0(VALU_DEP_1) | instskip(NEXT) | instid1(VALU_DEP_1)
	v_fmac_f32_e32 v18, v20, v17
	v_fma_f32 v13, -v13, v18, v19
	s_delay_alu instid0(VALU_DEP_1) | instskip(SKIP_2) | instid1(VALU_DEP_3)
	v_div_fmas_f32 v13, v13, v17, v18
	v_fma_f32 v17, v8, v16, v9
	v_fma_f32 v8, v9, v16, -v8
	v_div_fixup_f32 v12, v13, v12, 1.0
	s_delay_alu instid0(VALU_DEP_1) | instskip(NEXT) | instid1(VALU_DEP_3)
	v_mul_f32_e32 v17, v17, v12
	v_mul_f32_e32 v16, v8, v12
.LBB118_173:                            ;   in Loop: Header=BB118_114 Depth=1
	s_or_b32 exec_lo, exec_lo, s0
.LBB118_174:                            ;   in Loop: Header=BB118_114 Depth=1
	v_cmp_gt_f32_e32 vcc_lo, 0, v14
	v_cndmask_b32_e64 v12, v14, -v14, vcc_lo
	v_cmp_gt_f32_e32 vcc_lo, 0, v15
	v_cndmask_b32_e64 v8, v15, -v15, vcc_lo
	s_and_not1_b32 vcc_lo, exec_lo, s3
	s_delay_alu instid0(VALU_DEP_1)
	v_cmp_ge_f32_e64 s0, v12, v8
	s_cbranch_vccnz .LBB118_184
; %bb.175:                              ;   in Loop: Header=BB118_114 Depth=1
                                        ; implicit-def: $vgpr13
                                        ; implicit-def: $vgpr9
	s_delay_alu instid0(VALU_DEP_1) | instskip(NEXT) | instid1(SALU_CYCLE_1)
	s_and_saveexec_b32 s1, s0
	s_xor_b32 s6, exec_lo, s1
	s_cbranch_execz .LBB118_181
; %bb.176:                              ;   in Loop: Header=BB118_114 Depth=1
	v_cmp_neq_f32_e32 vcc_lo, 0, v14
	v_cmp_neq_f32_e64 s1, 0, v15
                                        ; implicit-def: $vgpr13
                                        ; implicit-def: $vgpr9
	s_delay_alu instid0(VALU_DEP_1) | instskip(NEXT) | instid1(SALU_CYCLE_1)
	s_or_b32 s1, vcc_lo, s1
	s_and_saveexec_b32 s7, s1
	s_delay_alu instid0(SALU_CYCLE_1)
	s_xor_b32 s1, exec_lo, s7
	s_cbranch_execz .LBB118_178
; %bb.177:                              ;   in Loop: Header=BB118_114 Depth=1
	v_div_scale_f32 v9, null, v14, v14, v15
	v_div_scale_f32 v19, vcc_lo, v15, v14, v15
	s_delay_alu instid0(VALU_DEP_2) | instskip(SKIP_2) | instid1(VALU_DEP_1)
	v_rcp_f32_e32 v13, v9
	s_waitcnt_depctr 0xfff
	v_fma_f32 v18, -v9, v13, 1.0
	v_fmac_f32_e32 v13, v18, v13
	s_delay_alu instid0(VALU_DEP_1) | instskip(NEXT) | instid1(VALU_DEP_1)
	v_mul_f32_e32 v18, v19, v13
	v_fma_f32 v20, -v9, v18, v19
	s_delay_alu instid0(VALU_DEP_1) | instskip(NEXT) | instid1(VALU_DEP_1)
	v_fmac_f32_e32 v18, v20, v13
	v_fma_f32 v9, -v9, v18, v19
	s_delay_alu instid0(VALU_DEP_1) | instskip(NEXT) | instid1(VALU_DEP_1)
	v_div_fmas_f32 v9, v9, v13, v18
	v_div_fixup_f32 v9, v9, v14, v15
	s_delay_alu instid0(VALU_DEP_1) | instskip(NEXT) | instid1(VALU_DEP_1)
	v_fma_f32 v13, v15, v9, v14
	v_div_scale_f32 v18, null, v13, v13, 1.0
	v_div_scale_f32 v21, vcc_lo, 1.0, v13, 1.0
	s_delay_alu instid0(VALU_DEP_2) | instskip(SKIP_2) | instid1(VALU_DEP_1)
	v_rcp_f32_e32 v19, v18
	s_waitcnt_depctr 0xfff
	v_fma_f32 v20, -v18, v19, 1.0
	v_fmac_f32_e32 v19, v20, v19
	s_delay_alu instid0(VALU_DEP_1) | instskip(NEXT) | instid1(VALU_DEP_1)
	v_mul_f32_e32 v20, v21, v19
	v_fma_f32 v22, -v18, v20, v21
	s_delay_alu instid0(VALU_DEP_1) | instskip(NEXT) | instid1(VALU_DEP_1)
	v_fmac_f32_e32 v20, v22, v19
	v_fma_f32 v18, -v18, v20, v21
	s_delay_alu instid0(VALU_DEP_1) | instskip(SKIP_1) | instid1(VALU_DEP_2)
	v_div_fmas_f32 v18, v18, v19, v20
	v_fma_f32 v19, v11, v9, v10
	v_div_fixup_f32 v13, v18, v13, 1.0
	v_fma_f32 v18, -v10, v9, v11
	s_delay_alu instid0(VALU_DEP_2) | instskip(NEXT) | instid1(VALU_DEP_2)
	v_mul_f32_e32 v9, v19, v13
	v_mul_f32_e32 v13, v18, v13
.LBB118_178:                            ;   in Loop: Header=BB118_114 Depth=1
	s_and_not1_saveexec_b32 s7, s1
	s_cbranch_execz .LBB118_180
; %bb.179:                              ;   in Loop: Header=BB118_114 Depth=1
	v_div_scale_f32 v9, null, v12, v12, v10
	v_div_scale_f32 v13, null, v8, v8, v11
	v_div_scale_f32 v22, vcc_lo, v10, v12, v10
	s_delay_alu instid0(VALU_DEP_3) | instskip(NEXT) | instid1(VALU_DEP_2)
	v_rcp_f32_e32 v18, v9
	v_rcp_f32_e32 v19, v13
	s_waitcnt_depctr 0xfff
	v_fma_f32 v20, -v9, v18, 1.0
	v_fma_f32 v21, -v13, v19, 1.0
	s_delay_alu instid0(VALU_DEP_1) | instskip(SKIP_1) | instid1(VALU_DEP_2)
	v_dual_fmac_f32 v18, v20, v18 :: v_dual_fmac_f32 v19, v21, v19
	v_div_scale_f32 v20, s1, v11, v8, v11
	v_mul_f32_e32 v21, v22, v18
	s_delay_alu instid0(VALU_DEP_2) | instskip(NEXT) | instid1(VALU_DEP_2)
	v_mul_f32_e32 v23, v20, v19
	v_fma_f32 v31, -v9, v21, v22
	s_delay_alu instid0(VALU_DEP_2) | instskip(NEXT) | instid1(VALU_DEP_2)
	v_fma_f32 v32, -v13, v23, v20
	v_fmac_f32_e32 v21, v31, v18
	s_delay_alu instid0(VALU_DEP_2) | instskip(NEXT) | instid1(VALU_DEP_2)
	v_fmac_f32_e32 v23, v32, v19
	v_fma_f32 v9, -v9, v21, v22
	s_delay_alu instid0(VALU_DEP_2) | instskip(NEXT) | instid1(VALU_DEP_2)
	v_fma_f32 v13, -v13, v23, v20
	v_div_fmas_f32 v9, v9, v18, v21
	s_mov_b32 vcc_lo, s1
	s_delay_alu instid0(VALU_DEP_2) | instskip(NEXT) | instid1(VALU_DEP_2)
	v_div_fmas_f32 v13, v13, v19, v23
	v_div_fixup_f32 v9, v9, v12, v10
	s_delay_alu instid0(VALU_DEP_2)
	v_div_fixup_f32 v13, v13, v8, v11
.LBB118_180:                            ;   in Loop: Header=BB118_114 Depth=1
	s_or_b32 exec_lo, exec_lo, s7
.LBB118_181:                            ;   in Loop: Header=BB118_114 Depth=1
	s_and_not1_saveexec_b32 s1, s6
	s_cbranch_execz .LBB118_183
; %bb.182:                              ;   in Loop: Header=BB118_114 Depth=1
	v_div_scale_f32 v9, null, v15, v15, v14
	v_div_scale_f32 v19, vcc_lo, v14, v15, v14
	s_delay_alu instid0(VALU_DEP_2) | instskip(SKIP_2) | instid1(VALU_DEP_1)
	v_rcp_f32_e32 v13, v9
	s_waitcnt_depctr 0xfff
	v_fma_f32 v18, -v9, v13, 1.0
	v_fmac_f32_e32 v13, v18, v13
	s_delay_alu instid0(VALU_DEP_1) | instskip(NEXT) | instid1(VALU_DEP_1)
	v_mul_f32_e32 v18, v19, v13
	v_fma_f32 v20, -v9, v18, v19
	s_delay_alu instid0(VALU_DEP_1) | instskip(NEXT) | instid1(VALU_DEP_1)
	v_fmac_f32_e32 v18, v20, v13
	v_fma_f32 v9, -v9, v18, v19
	s_delay_alu instid0(VALU_DEP_1) | instskip(NEXT) | instid1(VALU_DEP_1)
	v_div_fmas_f32 v9, v9, v13, v18
	v_div_fixup_f32 v9, v9, v15, v14
	s_delay_alu instid0(VALU_DEP_1) | instskip(NEXT) | instid1(VALU_DEP_1)
	v_fma_f32 v13, v14, v9, v15
	v_div_scale_f32 v18, null, v13, v13, 1.0
	v_div_scale_f32 v21, vcc_lo, 1.0, v13, 1.0
	s_delay_alu instid0(VALU_DEP_2) | instskip(SKIP_2) | instid1(VALU_DEP_1)
	v_rcp_f32_e32 v19, v18
	s_waitcnt_depctr 0xfff
	v_fma_f32 v20, -v18, v19, 1.0
	v_fmac_f32_e32 v19, v20, v19
	s_delay_alu instid0(VALU_DEP_1) | instskip(NEXT) | instid1(VALU_DEP_1)
	v_mul_f32_e32 v20, v21, v19
	v_fma_f32 v22, -v18, v20, v21
	s_delay_alu instid0(VALU_DEP_1) | instskip(NEXT) | instid1(VALU_DEP_1)
	v_fmac_f32_e32 v20, v22, v19
	v_fma_f32 v18, -v18, v20, v21
	s_delay_alu instid0(VALU_DEP_1) | instskip(SKIP_1) | instid1(VALU_DEP_2)
	v_div_fmas_f32 v18, v18, v19, v20
	v_fma_f32 v19, v10, v9, v11
	v_div_fixup_f32 v13, v18, v13, 1.0
	v_fma_f32 v18, v11, v9, -v10
	s_delay_alu instid0(VALU_DEP_2) | instskip(NEXT) | instid1(VALU_DEP_2)
	v_mul_f32_e32 v9, v19, v13
	v_mul_f32_e32 v13, v18, v13
.LBB118_183:                            ;   in Loop: Header=BB118_114 Depth=1
	s_or_b32 exec_lo, exec_lo, s1
	s_delay_alu instid0(VALU_DEP_1) | instskip(SKIP_1) | instid1(VALU_DEP_2)
	v_mul_f32_e32 v19, s9, v13
	v_mul_f32_e32 v18, s8, v13
	v_fma_f32 v19, v9, s8, -v19
	s_delay_alu instid0(VALU_DEP_2)
	v_fmac_f32_e32 v18, s9, v9
	s_branch .LBB118_113
.LBB118_184:                            ;   in Loop: Header=BB118_114 Depth=1
                                        ; implicit-def: $vgpr18
                                        ; implicit-def: $vgpr19
	s_cbranch_execz .LBB118_113
; %bb.185:                              ;   in Loop: Header=BB118_114 Depth=1
                                        ; implicit-def: $vgpr18
                                        ; implicit-def: $vgpr19
	s_delay_alu instid0(VALU_DEP_1) | instskip(NEXT) | instid1(SALU_CYCLE_1)
	s_and_saveexec_b32 s1, s0
	s_xor_b32 s1, exec_lo, s1
	s_cbranch_execz .LBB118_191
; %bb.186:                              ;   in Loop: Header=BB118_114 Depth=1
	v_cmp_neq_f32_e32 vcc_lo, 0, v14
	v_cmp_neq_f32_e64 s0, 0, v15
                                        ; implicit-def: $vgpr18
                                        ; implicit-def: $vgpr19
	s_delay_alu instid0(VALU_DEP_1) | instskip(NEXT) | instid1(SALU_CYCLE_1)
	s_or_b32 s0, vcc_lo, s0
	s_and_saveexec_b32 s6, s0
	s_delay_alu instid0(SALU_CYCLE_1)
	s_xor_b32 s0, exec_lo, s6
	s_cbranch_execz .LBB118_188
; %bb.187:                              ;   in Loop: Header=BB118_114 Depth=1
	v_div_scale_f32 v8, null, v14, v14, v15
	v_div_scale_f32 v13, vcc_lo, v15, v14, v15
	s_delay_alu instid0(VALU_DEP_2) | instskip(SKIP_2) | instid1(VALU_DEP_1)
	v_rcp_f32_e32 v9, v8
	s_waitcnt_depctr 0xfff
	v_fma_f32 v12, -v8, v9, 1.0
	v_fmac_f32_e32 v9, v12, v9
	s_delay_alu instid0(VALU_DEP_1) | instskip(NEXT) | instid1(VALU_DEP_1)
	v_mul_f32_e32 v12, v13, v9
	v_fma_f32 v18, -v8, v12, v13
	s_delay_alu instid0(VALU_DEP_1) | instskip(NEXT) | instid1(VALU_DEP_1)
	v_fmac_f32_e32 v12, v18, v9
	v_fma_f32 v8, -v8, v12, v13
	s_delay_alu instid0(VALU_DEP_1) | instskip(NEXT) | instid1(VALU_DEP_1)
	v_div_fmas_f32 v8, v8, v9, v12
	v_div_fixup_f32 v8, v8, v14, v15
	s_delay_alu instid0(VALU_DEP_1) | instskip(NEXT) | instid1(VALU_DEP_1)
	v_fmac_f32_e32 v14, v15, v8
	v_div_scale_f32 v9, null, v14, v14, 1.0
	v_div_scale_f32 v15, vcc_lo, 1.0, v14, 1.0
	s_delay_alu instid0(VALU_DEP_2) | instskip(SKIP_2) | instid1(VALU_DEP_1)
	v_rcp_f32_e32 v12, v9
	s_waitcnt_depctr 0xfff
	v_fma_f32 v13, -v9, v12, 1.0
	v_fmac_f32_e32 v12, v13, v12
	s_delay_alu instid0(VALU_DEP_1) | instskip(NEXT) | instid1(VALU_DEP_1)
	v_mul_f32_e32 v13, v15, v12
	v_fma_f32 v18, -v9, v13, v15
	s_delay_alu instid0(VALU_DEP_1) | instskip(NEXT) | instid1(VALU_DEP_1)
	v_fmac_f32_e32 v13, v18, v12
	v_fma_f32 v9, -v9, v13, v15
	s_delay_alu instid0(VALU_DEP_1) | instskip(SKIP_2) | instid1(VALU_DEP_3)
	v_div_fmas_f32 v9, v9, v12, v13
	v_fma_f32 v12, v11, v8, v10
	v_fma_f32 v8, -v10, v8, v11
	v_div_fixup_f32 v9, v9, v14, 1.0
	s_delay_alu instid0(VALU_DEP_1) | instskip(NEXT) | instid1(VALU_DEP_4)
	v_mul_f32_e32 v18, v8, v9
	v_mul_f32_e32 v19, v12, v9
                                        ; implicit-def: $vgpr8_vgpr9_vgpr10_vgpr11
                                        ; implicit-def: $vgpr12
                                        ; implicit-def: $vgpr8
.LBB118_188:                            ;   in Loop: Header=BB118_114 Depth=1
	s_and_not1_saveexec_b32 s6, s0
	s_cbranch_execz .LBB118_190
; %bb.189:                              ;   in Loop: Header=BB118_114 Depth=1
	v_div_scale_f32 v9, null, v12, v12, v10
	v_div_scale_f32 v13, null, v8, v8, v11
	v_div_scale_f32 v20, vcc_lo, v10, v12, v10
	s_delay_alu instid0(VALU_DEP_3) | instskip(NEXT) | instid1(VALU_DEP_2)
	v_rcp_f32_e32 v14, v9
	v_rcp_f32_e32 v15, v13
	s_waitcnt_depctr 0xfff
	v_fma_f32 v18, -v9, v14, 1.0
	v_fma_f32 v19, -v13, v15, 1.0
	s_delay_alu instid0(VALU_DEP_1) | instskip(SKIP_1) | instid1(VALU_DEP_2)
	v_dual_fmac_f32 v14, v18, v14 :: v_dual_fmac_f32 v15, v19, v15
	v_div_scale_f32 v18, s0, v11, v8, v11
	v_mul_f32_e32 v19, v20, v14
	s_delay_alu instid0(VALU_DEP_2) | instskip(NEXT) | instid1(VALU_DEP_2)
	v_mul_f32_e32 v21, v18, v15
	v_fma_f32 v22, -v9, v19, v20
	s_delay_alu instid0(VALU_DEP_2) | instskip(NEXT) | instid1(VALU_DEP_2)
	v_fma_f32 v23, -v13, v21, v18
	v_fmac_f32_e32 v19, v22, v14
	s_delay_alu instid0(VALU_DEP_2) | instskip(NEXT) | instid1(VALU_DEP_2)
	v_fmac_f32_e32 v21, v23, v15
	v_fma_f32 v9, -v9, v19, v20
	s_delay_alu instid0(VALU_DEP_2) | instskip(NEXT) | instid1(VALU_DEP_2)
	v_fma_f32 v13, -v13, v21, v18
	v_div_fmas_f32 v9, v9, v14, v19
	s_mov_b32 vcc_lo, s0
	s_delay_alu instid0(VALU_DEP_2) | instskip(NEXT) | instid1(VALU_DEP_2)
	v_div_fmas_f32 v13, v13, v15, v21
	v_div_fixup_f32 v19, v9, v12, v10
	s_delay_alu instid0(VALU_DEP_2)
	v_div_fixup_f32 v18, v13, v8, v11
.LBB118_190:                            ;   in Loop: Header=BB118_114 Depth=1
	s_or_b32 exec_lo, exec_lo, s6
                                        ; implicit-def: $vgpr12_vgpr13_vgpr14_vgpr15
                                        ; implicit-def: $vgpr8_vgpr9_vgpr10_vgpr11
.LBB118_191:                            ;   in Loop: Header=BB118_114 Depth=1
	s_and_not1_saveexec_b32 s0, s1
	s_cbranch_execz .LBB118_112
; %bb.192:                              ;   in Loop: Header=BB118_114 Depth=1
	v_div_scale_f32 v8, null, v15, v15, v14
	v_div_scale_f32 v13, vcc_lo, v14, v15, v14
	s_delay_alu instid0(VALU_DEP_2) | instskip(SKIP_2) | instid1(VALU_DEP_1)
	v_rcp_f32_e32 v9, v8
	s_waitcnt_depctr 0xfff
	v_fma_f32 v12, -v8, v9, 1.0
	v_fmac_f32_e32 v9, v12, v9
	s_delay_alu instid0(VALU_DEP_1) | instskip(NEXT) | instid1(VALU_DEP_1)
	v_mul_f32_e32 v12, v13, v9
	v_fma_f32 v18, -v8, v12, v13
	s_delay_alu instid0(VALU_DEP_1) | instskip(NEXT) | instid1(VALU_DEP_1)
	v_fmac_f32_e32 v12, v18, v9
	v_fma_f32 v8, -v8, v12, v13
	s_delay_alu instid0(VALU_DEP_1) | instskip(NEXT) | instid1(VALU_DEP_1)
	v_div_fmas_f32 v8, v8, v9, v12
	v_div_fixup_f32 v8, v8, v15, v14
	s_delay_alu instid0(VALU_DEP_1) | instskip(NEXT) | instid1(VALU_DEP_1)
	v_fmac_f32_e32 v15, v14, v8
	v_div_scale_f32 v9, null, v15, v15, 1.0
	v_div_scale_f32 v14, vcc_lo, 1.0, v15, 1.0
	s_delay_alu instid0(VALU_DEP_2) | instskip(SKIP_2) | instid1(VALU_DEP_1)
	v_rcp_f32_e32 v12, v9
	s_waitcnt_depctr 0xfff
	v_fma_f32 v13, -v9, v12, 1.0
	v_fmac_f32_e32 v12, v13, v12
	s_delay_alu instid0(VALU_DEP_1) | instskip(NEXT) | instid1(VALU_DEP_1)
	v_mul_f32_e32 v13, v14, v12
	v_fma_f32 v18, -v9, v13, v14
	s_delay_alu instid0(VALU_DEP_1) | instskip(NEXT) | instid1(VALU_DEP_1)
	v_fmac_f32_e32 v13, v18, v12
	v_fma_f32 v9, -v9, v13, v14
	s_delay_alu instid0(VALU_DEP_1) | instskip(SKIP_2) | instid1(VALU_DEP_3)
	v_div_fmas_f32 v9, v9, v12, v13
	v_fma_f32 v12, v10, v8, v11
	v_fma_f32 v8, v11, v8, -v10
	v_div_fixup_f32 v9, v9, v15, 1.0
	s_delay_alu instid0(VALU_DEP_1) | instskip(NEXT) | instid1(VALU_DEP_4)
	v_mul_f32_e32 v18, v8, v9
	v_mul_f32_e32 v19, v12, v9
	s_branch .LBB118_112
.LBB118_193:
	s_nop 0
	s_sendmsg sendmsg(MSG_DEALLOC_VGPRS)
	s_endpgm
	.section	.rodata,"a",@progbits
	.p2align	6, 0x0
	.amdhsa_kernel _ZN2at6native12_GLOBAL__N_125multi_tensor_apply_kernelINS1_28TensorListScalarListMetadataIN3c107complexIfEELi4EEENS1_28PointwiseOpScalarListFunctorIS6_Li4ELi3ELi3EEEJSt7dividesIS6_EEEEvT_T0_DpT1_
		.amdhsa_group_segment_fixed_size 0
		.amdhsa_private_segment_fixed_size 0
		.amdhsa_kernarg_size 3592
		.amdhsa_user_sgpr_count 15
		.amdhsa_user_sgpr_dispatch_ptr 0
		.amdhsa_user_sgpr_queue_ptr 0
		.amdhsa_user_sgpr_kernarg_segment_ptr 1
		.amdhsa_user_sgpr_dispatch_id 0
		.amdhsa_user_sgpr_private_segment_size 0
		.amdhsa_wavefront_size32 1
		.amdhsa_uses_dynamic_stack 0
		.amdhsa_enable_private_segment 0
		.amdhsa_system_sgpr_workgroup_id_x 1
		.amdhsa_system_sgpr_workgroup_id_y 0
		.amdhsa_system_sgpr_workgroup_id_z 0
		.amdhsa_system_sgpr_workgroup_info 0
		.amdhsa_system_vgpr_workitem_id 0
		.amdhsa_next_free_vgpr 71
		.amdhsa_next_free_sgpr 35
		.amdhsa_reserve_vcc 1
		.amdhsa_float_round_mode_32 0
		.amdhsa_float_round_mode_16_64 0
		.amdhsa_float_denorm_mode_32 3
		.amdhsa_float_denorm_mode_16_64 3
		.amdhsa_dx10_clamp 1
		.amdhsa_ieee_mode 1
		.amdhsa_fp16_overflow 0
		.amdhsa_workgroup_processor_mode 1
		.amdhsa_memory_ordered 1
		.amdhsa_forward_progress 0
		.amdhsa_shared_vgpr_count 0
		.amdhsa_exception_fp_ieee_invalid_op 0
		.amdhsa_exception_fp_denorm_src 0
		.amdhsa_exception_fp_ieee_div_zero 0
		.amdhsa_exception_fp_ieee_overflow 0
		.amdhsa_exception_fp_ieee_underflow 0
		.amdhsa_exception_fp_ieee_inexact 0
		.amdhsa_exception_int_div_zero 0
	.end_amdhsa_kernel
	.section	.text._ZN2at6native12_GLOBAL__N_125multi_tensor_apply_kernelINS1_28TensorListScalarListMetadataIN3c107complexIfEELi4EEENS1_28PointwiseOpScalarListFunctorIS6_Li4ELi3ELi3EEEJSt7dividesIS6_EEEEvT_T0_DpT1_,"axG",@progbits,_ZN2at6native12_GLOBAL__N_125multi_tensor_apply_kernelINS1_28TensorListScalarListMetadataIN3c107complexIfEELi4EEENS1_28PointwiseOpScalarListFunctorIS6_Li4ELi3ELi3EEEJSt7dividesIS6_EEEEvT_T0_DpT1_,comdat
.Lfunc_end118:
	.size	_ZN2at6native12_GLOBAL__N_125multi_tensor_apply_kernelINS1_28TensorListScalarListMetadataIN3c107complexIfEELi4EEENS1_28PointwiseOpScalarListFunctorIS6_Li4ELi3ELi3EEEJSt7dividesIS6_EEEEvT_T0_DpT1_, .Lfunc_end118-_ZN2at6native12_GLOBAL__N_125multi_tensor_apply_kernelINS1_28TensorListScalarListMetadataIN3c107complexIfEELi4EEENS1_28PointwiseOpScalarListFunctorIS6_Li4ELi3ELi3EEEJSt7dividesIS6_EEEEvT_T0_DpT1_
                                        ; -- End function
	.section	.AMDGPU.csdata,"",@progbits
; Kernel info:
; codeLenInByte = 14060
; NumSgprs: 37
; NumVgprs: 71
; ScratchSize: 0
; MemoryBound: 1
; FloatMode: 240
; IeeeMode: 1
; LDSByteSize: 0 bytes/workgroup (compile time only)
; SGPRBlocks: 4
; VGPRBlocks: 8
; NumSGPRsForWavesPerEU: 37
; NumVGPRsForWavesPerEU: 71
; Occupancy: 16
; WaveLimiterHint : 1
; COMPUTE_PGM_RSRC2:SCRATCH_EN: 0
; COMPUTE_PGM_RSRC2:USER_SGPR: 15
; COMPUTE_PGM_RSRC2:TRAP_HANDLER: 0
; COMPUTE_PGM_RSRC2:TGID_X_EN: 1
; COMPUTE_PGM_RSRC2:TGID_Y_EN: 0
; COMPUTE_PGM_RSRC2:TGID_Z_EN: 0
; COMPUTE_PGM_RSRC2:TIDIG_COMP_CNT: 0
	.section	.text._ZN2at6native12_GLOBAL__N_125multi_tensor_apply_kernelINS1_28TensorListScalarListMetadataIfLi4EEENS1_28PointwiseOpScalarListFunctorIN3c104HalfELi4ELi3ELi3EEEJSt7dividesIfEEEEvT_T0_DpT1_,"axG",@progbits,_ZN2at6native12_GLOBAL__N_125multi_tensor_apply_kernelINS1_28TensorListScalarListMetadataIfLi4EEENS1_28PointwiseOpScalarListFunctorIN3c104HalfELi4ELi3ELi3EEEJSt7dividesIfEEEEvT_T0_DpT1_,comdat
	.globl	_ZN2at6native12_GLOBAL__N_125multi_tensor_apply_kernelINS1_28TensorListScalarListMetadataIfLi4EEENS1_28PointwiseOpScalarListFunctorIN3c104HalfELi4ELi3ELi3EEEJSt7dividesIfEEEEvT_T0_DpT1_ ; -- Begin function _ZN2at6native12_GLOBAL__N_125multi_tensor_apply_kernelINS1_28TensorListScalarListMetadataIfLi4EEENS1_28PointwiseOpScalarListFunctorIN3c104HalfELi4ELi3ELi3EEEJSt7dividesIfEEEEvT_T0_DpT1_
	.p2align	8
	.type	_ZN2at6native12_GLOBAL__N_125multi_tensor_apply_kernelINS1_28TensorListScalarListMetadataIfLi4EEENS1_28PointwiseOpScalarListFunctorIN3c104HalfELi4ELi3ELi3EEEJSt7dividesIfEEEEvT_T0_DpT1_,@function
_ZN2at6native12_GLOBAL__N_125multi_tensor_apply_kernelINS1_28TensorListScalarListMetadataIfLi4EEENS1_28PointwiseOpScalarListFunctorIN3c104HalfELi4ELi3ELi3EEEJSt7dividesIfEEEEvT_T0_DpT1_: ; @_ZN2at6native12_GLOBAL__N_125multi_tensor_apply_kernelINS1_28TensorListScalarListMetadataIfLi4EEENS1_28PointwiseOpScalarListFunctorIN3c104HalfELi4ELi3ELi3EEEJSt7dividesIfEEEEvT_T0_DpT1_
; %bb.0:
	v_mov_b32_e32 v1, s15
	s_add_u32 s2, s0, s15
	s_mul_i32 s3, s15, 3
	s_mul_hi_u32 s4, s15, 3
	s_addc_u32 s5, s1, 0
	global_load_u8 v1, v1, s[0:1] offset:1584
	s_add_u32 s2, s2, s3
	s_addc_u32 s3, s5, s4
	s_mov_b32 s21, 0
	s_load_b32 s2, s[2:3], 0x770
	s_waitcnt lgkmcnt(0)
	s_ashr_i32 s3, s2, 31
	s_waitcnt vmcnt(0)
	v_readfirstlane_b32 s4, v1
	v_lshlrev_b32_e32 v1, 2, v1
	s_delay_alu instid0(VALU_DEP_2)
	s_lshl_b32 s6, s4, 3
	s_clause 0x4
	s_load_b64 s[8:9], s[0:1], s6 offset:0x120
	s_load_b64 s[10:11], s[0:1], s6 offset:0x0
	;; [unrolled: 1-line block ×5, first 2 shown]
	s_add_u32 s6, s0, s6
	s_addc_u32 s7, s1, 0
	s_lshl_b64 s[18:19], s[2:3], 17
	v_sub_co_u32 v1, s6, s6, v1
	s_delay_alu instid0(VALU_DEP_1) | instskip(NEXT) | instid1(VALU_DEP_2)
	v_sub_co_ci_u32_e64 v2, null, s7, 0, s6
	v_readfirstlane_b32 s6, v1
	s_delay_alu instid0(VALU_DEP_2)
	v_readfirstlane_b32 s7, v2
	s_load_b32 s7, s[6:7], 0x5a0
	s_waitcnt lgkmcnt(0)
	s_add_u32 s14, s8, s18
	s_and_b32 s22, s10, 7
	s_and_b32 s20, s14, 7
	s_delay_alu instid0(SALU_CYCLE_1) | instskip(SKIP_2) | instid1(SALU_CYCLE_1)
	s_cmp_eq_u64 s[20:21], 0
	s_cselect_b32 s14, -1, 0
	s_add_u32 s15, s12, s18
	s_or_b32 s15, s16, s15
	s_delay_alu instid0(SALU_CYCLE_1) | instskip(NEXT) | instid1(SALU_CYCLE_1)
	s_and_b32 s15, s15, 7
	s_cmp_eq_u32 s15, 0
	s_cselect_b32 s6, -1, 0
	s_lshl_b64 s[2:3], s[2:3], 16
	s_and_b32 s6, s6, s14
	s_sub_u32 s14, s4, s2
	s_subb_u32 s15, s5, s3
	s_and_b32 s2, s4, 3
	s_delay_alu instid0(SALU_CYCLE_1) | instskip(NEXT) | instid1(SALU_CYCLE_1)
	s_or_b32 s20, s22, s2
	s_cmp_eq_u64 s[20:21], 0
	s_cselect_b32 s2, -1, 0
	s_delay_alu instid0(SALU_CYCLE_1) | instskip(NEXT) | instid1(SALU_CYCLE_1)
	s_and_b32 s2, s6, s2
	s_and_b32 vcc_lo, exec_lo, s2
	s_mov_b32 s2, -1
	s_cbranch_vccnz .LBB119_29
; %bb.1:
	v_cmp_lt_i64_e64 s2, s[14:15], 1
	s_delay_alu instid0(VALU_DEP_1)
	s_and_b32 vcc_lo, exec_lo, s2
	s_cbranch_vccnz .LBB119_28
; %bb.2:
	s_load_b32 s3, s[0:1], 0xc84
	v_dual_mov_b32 v18, 0 :: v_dual_lshlrev_b32 v17, 1, v0
	v_cmp_gt_u64_e64 s4, 0x10000, s[14:15]
	v_cmp_eq_f32_e64 s2, s7, 1.0
	s_mov_b64 s[22:23], 0
	s_delay_alu instid0(VALU_DEP_3) | instskip(NEXT) | instid1(VALU_DEP_1)
	v_add_co_u32 v1, s5, s10, v17
	v_add_co_ci_u32_e64 v2, null, s11, 0, s5
	v_add_co_u32 v3, s5, s8, v17
	v_add_co_u32 v5, s6, s12, v17
	v_add_co_ci_u32_e64 v4, null, s9, 0, s5
	v_add_co_ci_u32_e64 v6, null, s13, 0, s6
	v_add_co_u32 v7, s6, s16, v17
	s_waitcnt lgkmcnt(0)
	s_and_b32 s3, s3, 0xffff
	s_and_b32 s4, s4, exec_lo
	v_mad_u64_u32 v[15:16], null, s3, 6, v[17:18]
	s_cselect_b32 s21, s15, 0
	s_cselect_b32 s20, s14, 0x10000
	s_mul_i32 s5, s3, 3
	s_lshl_b32 s24, s3, 2
	v_add_co_ci_u32_e64 v8, null, s17, 0, s6
	s_delay_alu instid0(VALU_DEP_2) | instskip(NEXT) | instid1(VALU_DEP_3)
	v_add_co_u32 v9, vcc_lo, s10, v15
	v_add_co_ci_u32_e32 v10, vcc_lo, s11, v16, vcc_lo
	v_add_co_u32 v11, vcc_lo, s8, v15
	v_add_co_u32 v26, s6, s24, v17
	v_add_co_u32 v17, s5, s5, v0
	v_add_co_ci_u32_e32 v12, vcc_lo, s9, v16, vcc_lo
	v_add_co_ci_u32_e64 v18, null, 0, 0, s5
	v_add_co_u32 v25, s5, v0, s3
	v_add_co_u32 v13, vcc_lo, s12, v15
	v_add_co_ci_u32_e32 v14, vcc_lo, s13, v16, vcc_lo
	v_add_co_u32 v15, vcc_lo, s16, v15
	v_add_co_ci_u32_e64 v27, null, 0, 0, s6
	v_lshlrev_b32_e32 v37, 1, v25
	s_lshl_b32 s4, s3, 1
	v_add_co_ci_u32_e32 v16, vcc_lo, s17, v16, vcc_lo
	v_add_co_u32 v19, vcc_lo, s10, v26
	v_add_co_u32 v29, s4, s4, v0
	v_add_co_ci_u32_e32 v20, vcc_lo, s11, v27, vcc_lo
	v_add_co_u32 v21, vcc_lo, s8, v26
	v_add_co_ci_u32_e64 v30, null, 0, 0, s4
	v_add_co_u32 v31, s4, s10, v37
	v_add_co_ci_u32_e32 v22, vcc_lo, s9, v27, vcc_lo
	v_add_co_ci_u32_e64 v32, null, s11, 0, s4
	v_add_co_u32 v33, s4, s8, v37
	v_add_co_u32 v23, vcc_lo, s12, v26
	v_add_co_ci_u32_e64 v34, null, s9, 0, s4
	v_add_co_u32 v35, s4, s12, v37
	v_add_co_ci_u32_e32 v24, vcc_lo, s13, v27, vcc_lo
	v_add_co_u32 v26, vcc_lo, s16, v26
	v_add_co_ci_u32_e64 v36, null, s13, 0, s4
	v_add_co_u32 v37, s4, s16, v37
	v_add_co_ci_u32_e32 v27, vcc_lo, s17, v27, vcc_lo
	v_add_co_ci_u32_e64 v28, null, 0, 0, s5
	v_add_co_ci_u32_e64 v38, null, s17, 0, s4
	s_lshl_b32 s25, s3, 3
	s_branch .LBB119_4
.LBB119_3:                              ;   in Loop: Header=BB119_4 Depth=1
	s_or_b32 exec_lo, exec_lo, s3
	v_add_co_u32 v1, vcc_lo, v1, s25
	v_add_co_ci_u32_e32 v2, vcc_lo, 0, v2, vcc_lo
	v_add_co_u32 v3, vcc_lo, v3, s25
	v_add_co_ci_u32_e32 v4, vcc_lo, 0, v4, vcc_lo
	;; [unrolled: 2-line block ×13, first 2 shown]
	s_add_u32 s22, s22, s24
	v_add_co_u32 v33, vcc_lo, v33, s25
	s_addc_u32 s23, s23, 0
	v_add_co_ci_u32_e32 v34, vcc_lo, 0, v34, vcc_lo
	v_cmp_lt_i64_e64 s3, s[22:23], s[14:15]
	v_cmp_gt_u64_e64 s4, 0x10000, s[22:23]
	v_add_co_u32 v35, vcc_lo, v35, s25
	v_add_co_ci_u32_e32 v36, vcc_lo, 0, v36, vcc_lo
	v_add_co_u32 v37, vcc_lo, v37, s25
	v_add_co_ci_u32_e32 v38, vcc_lo, 0, v38, vcc_lo
	s_and_b32 s3, s3, s4
	s_delay_alu instid0(SALU_CYCLE_1)
	s_and_b32 vcc_lo, exec_lo, s3
	s_cbranch_vccz .LBB119_28
.LBB119_4:                              ; =>This Inner Loop Header: Depth=1
	s_waitcnt vmcnt(1)
	v_add_co_u32 v39, s3, v0, s22
	s_delay_alu instid0(VALU_DEP_1) | instskip(SKIP_2) | instid1(VALU_DEP_2)
	v_add_co_ci_u32_e64 v40, null, 0, s23, s3
	s_waitcnt vmcnt(0)
	v_mov_b32_e32 v43, 0
	v_cmp_gt_u64_e32 vcc_lo, s[20:21], v[39:40]
	v_mov_b32_e32 v40, 0
	s_and_saveexec_b32 s4, vcc_lo
	s_cbranch_execz .LBB119_6
; %bb.5:                                ;   in Loop: Header=BB119_4 Depth=1
	v_add_co_u32 v39, s3, v1, s18
	s_delay_alu instid0(VALU_DEP_1) | instskip(SKIP_1) | instid1(VALU_DEP_1)
	v_add_co_ci_u32_e64 v40, s3, s19, v2, s3
	v_add_co_u32 v41, s3, v3, s18
	v_add_co_ci_u32_e64 v42, s3, s19, v4, s3
	global_load_u16 v40, v[39:40], off
	global_load_u16 v43, v[41:42], off
.LBB119_6:                              ;   in Loop: Header=BB119_4 Depth=1
	s_or_b32 exec_lo, exec_lo, s4
	v_mov_b32_e32 v39, 0
	v_mov_b32_e32 v45, 0
	s_and_saveexec_b32 s4, vcc_lo
	s_cbranch_execz .LBB119_8
; %bb.7:                                ;   in Loop: Header=BB119_4 Depth=1
	v_add_co_u32 v41, s3, v5, s18
	s_delay_alu instid0(VALU_DEP_1)
	v_add_co_ci_u32_e64 v42, s3, s19, v6, s3
	global_load_u16 v45, v[41:42], off
.LBB119_8:                              ;   in Loop: Header=BB119_4 Depth=1
	s_or_b32 exec_lo, exec_lo, s4
	v_add_co_u32 v41, s3, v25, s22
	s_delay_alu instid0(VALU_DEP_1) | instskip(SKIP_1) | instid1(VALU_DEP_2)
	v_add_co_ci_u32_e64 v42, s3, s23, v28, s3
	v_mov_b32_e32 v44, 0
	v_cmp_gt_u64_e64 s3, s[20:21], v[41:42]
	s_delay_alu instid0(VALU_DEP_1)
	s_and_saveexec_b32 s5, s3
	s_cbranch_execz .LBB119_10
; %bb.9:                                ;   in Loop: Header=BB119_4 Depth=1
	v_add_co_u32 v41, s4, v31, s18
	s_delay_alu instid0(VALU_DEP_1) | instskip(SKIP_1) | instid1(VALU_DEP_1)
	v_add_co_ci_u32_e64 v42, s4, s19, v32, s4
	v_add_co_u32 v46, s4, v33, s18
	v_add_co_ci_u32_e64 v47, s4, s19, v34, s4
	global_load_u16 v39, v[41:42], off
	global_load_u16 v44, v[46:47], off
.LBB119_10:                             ;   in Loop: Header=BB119_4 Depth=1
	s_or_b32 exec_lo, exec_lo, s5
	v_mov_b32_e32 v41, 0
	v_mov_b32_e32 v47, 0
	s_and_saveexec_b32 s5, s3
	s_cbranch_execz .LBB119_12
; %bb.11:                               ;   in Loop: Header=BB119_4 Depth=1
	v_add_co_u32 v46, s4, v35, s18
	s_delay_alu instid0(VALU_DEP_1)
	v_add_co_ci_u32_e64 v47, s4, s19, v36, s4
	global_load_u16 v47, v[46:47], off
.LBB119_12:                             ;   in Loop: Header=BB119_4 Depth=1
	s_or_b32 exec_lo, exec_lo, s5
	v_add_co_u32 v48, s4, v29, s22
	s_delay_alu instid0(VALU_DEP_1) | instskip(SKIP_1) | instid1(VALU_DEP_2)
	v_add_co_ci_u32_e64 v49, s4, s23, v30, s4
	v_mov_b32_e32 v46, 0
	v_cmp_gt_u64_e64 s4, s[20:21], v[48:49]
	s_delay_alu instid0(VALU_DEP_1)
	s_and_saveexec_b32 s6, s4
	s_cbranch_execz .LBB119_14
; %bb.13:                               ;   in Loop: Header=BB119_4 Depth=1
	v_add_co_u32 v41, s5, v19, s18
	s_delay_alu instid0(VALU_DEP_1) | instskip(SKIP_1) | instid1(VALU_DEP_1)
	v_add_co_ci_u32_e64 v42, s5, s19, v20, s5
	v_add_co_u32 v48, s5, v21, s18
	v_add_co_ci_u32_e64 v49, s5, s19, v22, s5
	global_load_u16 v41, v[41:42], off
	global_load_u16 v46, v[48:49], off
.LBB119_14:                             ;   in Loop: Header=BB119_4 Depth=1
	s_or_b32 exec_lo, exec_lo, s6
	v_dual_mov_b32 v42, 0 :: v_dual_mov_b32 v49, 0
	s_and_saveexec_b32 s6, s4
	s_cbranch_execz .LBB119_16
; %bb.15:                               ;   in Loop: Header=BB119_4 Depth=1
	v_add_co_u32 v48, s5, v23, s18
	s_delay_alu instid0(VALU_DEP_1)
	v_add_co_ci_u32_e64 v49, s5, s19, v24, s5
	global_load_u16 v49, v[48:49], off
.LBB119_16:                             ;   in Loop: Header=BB119_4 Depth=1
	s_or_b32 exec_lo, exec_lo, s6
	v_add_co_u32 v50, s5, v17, s22
	s_delay_alu instid0(VALU_DEP_1) | instskip(SKIP_1) | instid1(VALU_DEP_2)
	v_add_co_ci_u32_e64 v51, s5, s23, v18, s5
	v_mov_b32_e32 v48, 0
	v_cmp_gt_u64_e64 s5, s[20:21], v[50:51]
	s_delay_alu instid0(VALU_DEP_1)
	s_and_saveexec_b32 s26, s5
	s_cbranch_execnz .LBB119_22
; %bb.17:                               ;   in Loop: Header=BB119_4 Depth=1
	s_or_b32 exec_lo, exec_lo, s26
	v_mov_b32_e32 v50, 0
	s_and_saveexec_b32 s26, s5
	s_cbranch_execnz .LBB119_23
.LBB119_18:                             ;   in Loop: Header=BB119_4 Depth=1
	s_or_b32 exec_lo, exec_lo, s26
	s_and_saveexec_b32 s6, vcc_lo
	s_cbranch_execnz .LBB119_24
.LBB119_19:                             ;   in Loop: Header=BB119_4 Depth=1
	s_or_b32 exec_lo, exec_lo, s6
	s_and_saveexec_b32 s6, s3
	s_cbranch_execnz .LBB119_25
.LBB119_20:                             ;   in Loop: Header=BB119_4 Depth=1
	s_or_b32 exec_lo, exec_lo, s6
	s_and_saveexec_b32 s3, s4
	s_cbranch_execnz .LBB119_26
.LBB119_21:                             ;   in Loop: Header=BB119_4 Depth=1
	s_or_b32 exec_lo, exec_lo, s3
	s_and_saveexec_b32 s3, s5
	s_cbranch_execz .LBB119_3
	s_branch .LBB119_27
.LBB119_22:                             ;   in Loop: Header=BB119_4 Depth=1
	v_add_co_u32 v50, s6, v9, s18
	s_delay_alu instid0(VALU_DEP_1) | instskip(SKIP_1) | instid1(VALU_DEP_1)
	v_add_co_ci_u32_e64 v51, s6, s19, v10, s6
	v_add_co_u32 v52, s6, v11, s18
	v_add_co_ci_u32_e64 v53, s6, s19, v12, s6
	global_load_u16 v42, v[50:51], off
	global_load_u16 v48, v[52:53], off
	s_or_b32 exec_lo, exec_lo, s26
	v_mov_b32_e32 v50, 0
	s_and_saveexec_b32 s26, s5
	s_cbranch_execz .LBB119_18
.LBB119_23:                             ;   in Loop: Header=BB119_4 Depth=1
	v_add_co_u32 v50, s6, v13, s18
	s_delay_alu instid0(VALU_DEP_1)
	v_add_co_ci_u32_e64 v51, s6, s19, v14, s6
	global_load_u16 v50, v[50:51], off
	s_or_b32 exec_lo, exec_lo, s26
	s_and_saveexec_b32 s6, vcc_lo
	s_cbranch_execz .LBB119_19
.LBB119_24:                             ;   in Loop: Header=BB119_4 Depth=1
	s_waitcnt vmcnt(0)
	v_cvt_f32_f16_e32 v43, v43
	v_cvt_f32_f16_e32 v45, v45
	s_delay_alu instid0(VALU_DEP_1) | instskip(SKIP_1) | instid1(VALU_DEP_2)
	v_div_scale_f32 v51, null, v45, v45, v43
	v_div_scale_f32 v54, vcc_lo, v43, v45, v43
	v_rcp_f32_e32 v52, v51
	s_waitcnt_depctr 0xfff
	v_fma_f32 v53, -v51, v52, 1.0
	s_delay_alu instid0(VALU_DEP_1) | instskip(NEXT) | instid1(VALU_DEP_1)
	v_fmac_f32_e32 v52, v53, v52
	v_mul_f32_e32 v53, v54, v52
	s_delay_alu instid0(VALU_DEP_1) | instskip(NEXT) | instid1(VALU_DEP_1)
	v_fma_f32 v55, -v51, v53, v54
	v_fmac_f32_e32 v53, v55, v52
	s_delay_alu instid0(VALU_DEP_1) | instskip(NEXT) | instid1(VALU_DEP_1)
	v_fma_f32 v51, -v51, v53, v54
	v_div_fmas_f32 v51, v51, v52, v53
	v_cvt_f32_f16_e32 v52, v40
	s_delay_alu instid0(VALU_DEP_2) | instskip(SKIP_1) | instid1(VALU_DEP_2)
	v_div_fixup_f32 v43, v51, v45, v43
	v_add_co_u32 v51, vcc_lo, v7, s18
	v_add_f32_e32 v45, v43, v52
	v_fma_mix_f32 v40, s7, v43, v40 op_sel_hi:[0,0,1]
	v_add_co_ci_u32_e32 v52, vcc_lo, s19, v8, vcc_lo
	s_delay_alu instid0(VALU_DEP_2) | instskip(NEXT) | instid1(VALU_DEP_1)
	v_cndmask_b32_e64 v40, v40, v45, s2
	v_cvt_f16_f32_e32 v40, v40
	global_store_b16 v[51:52], v40, off
	s_or_b32 exec_lo, exec_lo, s6
	s_and_saveexec_b32 s6, s3
	s_cbranch_execz .LBB119_20
.LBB119_25:                             ;   in Loop: Header=BB119_4 Depth=1
	s_waitcnt vmcnt(0)
	v_cvt_f32_f16_e32 v40, v44
	v_cvt_f32_f16_e32 v43, v47
	s_delay_alu instid0(VALU_DEP_1) | instskip(SKIP_1) | instid1(VALU_DEP_2)
	v_div_scale_f32 v44, null, v43, v43, v40
	v_div_scale_f32 v51, vcc_lo, v40, v43, v40
	v_rcp_f32_e32 v45, v44
	s_waitcnt_depctr 0xfff
	v_fma_f32 v47, -v44, v45, 1.0
	s_delay_alu instid0(VALU_DEP_1) | instskip(NEXT) | instid1(VALU_DEP_1)
	v_fmac_f32_e32 v45, v47, v45
	v_mul_f32_e32 v47, v51, v45
	s_delay_alu instid0(VALU_DEP_1) | instskip(NEXT) | instid1(VALU_DEP_1)
	v_fma_f32 v52, -v44, v47, v51
	v_fmac_f32_e32 v47, v52, v45
	s_delay_alu instid0(VALU_DEP_1) | instskip(NEXT) | instid1(VALU_DEP_1)
	v_fma_f32 v44, -v44, v47, v51
	v_div_fmas_f32 v44, v44, v45, v47
	v_cvt_f32_f16_e32 v45, v39
	s_delay_alu instid0(VALU_DEP_2) | instskip(NEXT) | instid1(VALU_DEP_1)
	v_div_fixup_f32 v40, v44, v43, v40
	v_add_f32_e32 v43, v40, v45
	v_fma_mix_f32 v39, s7, v40, v39 op_sel_hi:[0,0,1]
	s_delay_alu instid0(VALU_DEP_1) | instskip(NEXT) | instid1(VALU_DEP_1)
	v_cndmask_b32_e64 v39, v39, v43, s2
	v_cvt_f16_f32_e32 v43, v39
	v_add_co_u32 v39, vcc_lo, v37, s18
	v_add_co_ci_u32_e32 v40, vcc_lo, s19, v38, vcc_lo
	global_store_b16 v[39:40], v43, off
	s_or_b32 exec_lo, exec_lo, s6
	s_and_saveexec_b32 s3, s4
	s_cbranch_execz .LBB119_21
.LBB119_26:                             ;   in Loop: Header=BB119_4 Depth=1
	s_waitcnt vmcnt(0)
	v_cvt_f32_f16_e32 v39, v46
	v_cvt_f32_f16_e32 v40, v49
	s_delay_alu instid0(VALU_DEP_1) | instskip(SKIP_1) | instid1(VALU_DEP_2)
	v_div_scale_f32 v43, null, v40, v40, v39
	v_div_scale_f32 v46, vcc_lo, v39, v40, v39
	v_rcp_f32_e32 v44, v43
	s_waitcnt_depctr 0xfff
	v_fma_f32 v45, -v43, v44, 1.0
	s_delay_alu instid0(VALU_DEP_1) | instskip(NEXT) | instid1(VALU_DEP_1)
	v_fmac_f32_e32 v44, v45, v44
	v_mul_f32_e32 v45, v46, v44
	s_delay_alu instid0(VALU_DEP_1) | instskip(NEXT) | instid1(VALU_DEP_1)
	v_fma_f32 v47, -v43, v45, v46
	v_fmac_f32_e32 v45, v47, v44
	s_delay_alu instid0(VALU_DEP_1) | instskip(NEXT) | instid1(VALU_DEP_1)
	v_fma_f32 v43, -v43, v45, v46
	v_div_fmas_f32 v43, v43, v44, v45
	v_cvt_f32_f16_e32 v44, v41
	s_delay_alu instid0(VALU_DEP_2) | instskip(NEXT) | instid1(VALU_DEP_1)
	v_div_fixup_f32 v39, v43, v40, v39
	v_add_f32_e32 v40, v39, v44
	v_fma_mix_f32 v39, s7, v39, v41 op_sel_hi:[0,0,1]
	s_delay_alu instid0(VALU_DEP_1) | instskip(NEXT) | instid1(VALU_DEP_1)
	v_cndmask_b32_e64 v39, v39, v40, s2
	v_cvt_f16_f32_e32 v41, v39
	v_add_co_u32 v39, vcc_lo, v26, s18
	v_add_co_ci_u32_e32 v40, vcc_lo, s19, v27, vcc_lo
	global_store_b16 v[39:40], v41, off
	s_or_b32 exec_lo, exec_lo, s3
	s_and_saveexec_b32 s3, s5
	s_cbranch_execz .LBB119_3
.LBB119_27:                             ;   in Loop: Header=BB119_4 Depth=1
	s_waitcnt vmcnt(0)
	v_cvt_f32_f16_e32 v39, v48
	v_cvt_f32_f16_e32 v40, v50
	s_delay_alu instid0(VALU_DEP_1) | instskip(SKIP_1) | instid1(VALU_DEP_2)
	v_div_scale_f32 v41, null, v40, v40, v39
	v_div_scale_f32 v45, vcc_lo, v39, v40, v39
	v_rcp_f32_e32 v43, v41
	s_waitcnt_depctr 0xfff
	v_fma_f32 v44, -v41, v43, 1.0
	s_delay_alu instid0(VALU_DEP_1) | instskip(NEXT) | instid1(VALU_DEP_1)
	v_fmac_f32_e32 v43, v44, v43
	v_mul_f32_e32 v44, v45, v43
	s_delay_alu instid0(VALU_DEP_1) | instskip(NEXT) | instid1(VALU_DEP_1)
	v_fma_f32 v46, -v41, v44, v45
	v_fmac_f32_e32 v44, v46, v43
	s_delay_alu instid0(VALU_DEP_1) | instskip(NEXT) | instid1(VALU_DEP_1)
	v_fma_f32 v41, -v41, v44, v45
	v_div_fmas_f32 v41, v41, v43, v44
	v_cvt_f32_f16_e32 v43, v42
	s_delay_alu instid0(VALU_DEP_2) | instskip(NEXT) | instid1(VALU_DEP_1)
	v_div_fixup_f32 v39, v41, v40, v39
	v_add_f32_e32 v40, v39, v43
	v_fma_mix_f32 v39, s7, v39, v42 op_sel_hi:[0,0,1]
	s_delay_alu instid0(VALU_DEP_1) | instskip(NEXT) | instid1(VALU_DEP_1)
	v_cndmask_b32_e64 v39, v39, v40, s2
	v_cvt_f16_f32_e32 v41, v39
	v_add_co_u32 v39, vcc_lo, v15, s18
	v_add_co_ci_u32_e32 v40, vcc_lo, s19, v16, vcc_lo
	global_store_b16 v[39:40], v41, off
	s_branch .LBB119_3
.LBB119_28:
	s_mov_b32 s2, 0
.LBB119_29:
	s_delay_alu instid0(SALU_CYCLE_1)
	s_and_not1_b32 vcc_lo, exec_lo, s2
	s_cbranch_vccnz .LBB119_33
; %bb.30:
	v_dual_mov_b32 v2, 0 :: v_dual_lshlrev_b32 v1, 2, v0
	s_mov_b32 s6, 0
	s_mov_b32 s2, exec_lo
	s_delay_alu instid0(VALU_DEP_1)
	v_cmpx_gt_i64_e64 s[14:15], v[1:2]
	s_cbranch_execz .LBB119_33
; %bb.31:
	s_load_b32 s1, s[0:1], 0xc84
	v_lshlrev_b32_e32 v1, 3, v0
	v_cmp_eq_f32_e64 s0, s7, 1.0
	s_mov_b32 s20, s7
	s_delay_alu instid0(VALU_DEP_2) | instskip(NEXT) | instid1(VALU_DEP_1)
	v_add_co_u32 v3, s2, s18, v1
	v_add_co_ci_u32_e64 v4, null, s19, 0, s2
	s_waitcnt lgkmcnt(0)
	s_and_b32 s1, s1, 0xffff
	s_delay_alu instid0(SALU_CYCLE_1)
	v_add_lshl_u32 v1, v0, s1, 2
	s_lshl_b32 s18, s1, 3
	s_lshl_b32 s19, s1, 2
	s_add_u32 s16, s16, 4
	s_addc_u32 s17, s17, 0
.LBB119_32:                             ; =>This Inner Loop Header: Depth=1
	v_add_co_u32 v5, vcc_lo, s8, v3
	v_add_co_ci_u32_e32 v6, vcc_lo, s9, v4, vcc_lo
	v_add_co_u32 v7, vcc_lo, s12, v3
	v_add_co_ci_u32_e32 v8, vcc_lo, s13, v4, vcc_lo
	;; [unrolled: 2-line block ×3, first 2 shown]
	global_load_b64 v[5:6], v[5:6], off
	global_load_b64 v[7:8], v[7:8], off
	;; [unrolled: 1-line block ×3, first 2 shown]
	v_add_co_u32 v11, vcc_lo, s16, v3
	v_add_co_ci_u32_e32 v12, vcc_lo, s17, v4, vcc_lo
	v_add_co_u32 v3, vcc_lo, v3, s18
	v_add_co_ci_u32_e32 v4, vcc_lo, 0, v4, vcc_lo
	v_cmp_le_i64_e64 s1, s[14:15], v[1:2]
	v_cmp_lt_u64_e64 s2, 0xffff, v[1:2]
	s_delay_alu instid0(VALU_DEP_1) | instskip(NEXT) | instid1(SALU_CYCLE_1)
	s_or_b32 s1, s1, s2
	s_and_b32 s1, exec_lo, s1
	s_delay_alu instid0(SALU_CYCLE_1)
	s_or_b32 s6, s1, s6
	s_waitcnt vmcnt(2)
	v_lshrrev_b32_e32 v13, 16, v5
	s_waitcnt vmcnt(1)
	v_lshrrev_b32_e32 v14, 16, v7
	v_lshrrev_b32_e32 v18, 16, v6
	;; [unrolled: 1-line block ×3, first 2 shown]
	v_cvt_f32_f16_e32 v5, v5
	v_cvt_f32_f16_e32 v7, v7
	v_cvt_f32_f16_e32 v6, v6
	v_cvt_f32_f16_e32 v8, v8
	v_cvt_f32_f16_e32 v13, v13
	v_cvt_f32_f16_e32 v14, v14
	v_cvt_f32_f16_e32 v18, v18
	v_cvt_f32_f16_e32 v19, v19
	v_div_scale_f32 v20, null, v7, v7, v5
	v_div_scale_f32 v22, null, v8, v8, v6
	;; [unrolled: 1-line block ×3, first 2 shown]
	s_delay_alu instid0(VALU_DEP_4) | instskip(NEXT) | instid1(VALU_DEP_4)
	v_div_scale_f32 v27, null, v19, v19, v18
	v_rcp_f32_e32 v26, v20
	s_delay_alu instid0(VALU_DEP_3) | instskip(NEXT) | instid1(VALU_DEP_2)
	v_rcp_f32_e32 v29, v22
	v_rcp_f32_e32 v30, v24
	s_delay_alu instid0(VALU_DEP_1) | instskip(SKIP_4) | instid1(TRANS32_DEP_3)
	v_rcp_f32_e32 v31, v27
	v_div_scale_f32 v21, s3, v5, v7, v5
	v_div_scale_f32 v23, s4, v6, v8, v6
	v_div_scale_f32 v25, vcc_lo, v13, v14, v13
	v_fma_f32 v32, -v20, v26, 1.0
	v_fma_f32 v33, -v22, v29, 1.0
	s_delay_alu instid0(TRANS32_DEP_2) | instskip(NEXT) | instid1(TRANS32_DEP_1)
	v_fma_f32 v34, -v24, v30, 1.0
	v_fma_f32 v35, -v27, v31, 1.0
	v_div_scale_f32 v28, s5, v18, v19, v18
	s_delay_alu instid0(VALU_DEP_4) | instskip(NEXT) | instid1(VALU_DEP_3)
	v_dual_fmac_f32 v26, v32, v26 :: v_dual_fmac_f32 v29, v33, v29
	v_dual_fmac_f32 v30, v34, v30 :: v_dual_fmac_f32 v31, v35, v31
	s_waitcnt vmcnt(0)
	v_lshrrev_b32_e32 v0, 16, v9
	s_delay_alu instid0(VALU_DEP_3) | instskip(NEXT) | instid1(VALU_DEP_3)
	v_dual_mul_f32 v32, v21, v26 :: v_dual_mul_f32 v33, v23, v29
	v_dual_mul_f32 v34, v25, v30 :: v_dual_mul_f32 v35, v28, v31
	v_lshrrev_b32_e32 v16, 16, v10
	s_delay_alu instid0(VALU_DEP_3) | instskip(NEXT) | instid1(VALU_DEP_4)
	v_fma_f32 v36, -v20, v32, v21
	v_fma_f32 v37, -v22, v33, v23
	s_delay_alu instid0(VALU_DEP_4) | instskip(SKIP_2) | instid1(VALU_DEP_4)
	v_fma_f32 v38, -v24, v34, v25
	v_fma_f32 v39, -v27, v35, v28
	v_cvt_f32_f16_e32 v15, v9
	v_dual_fmac_f32 v32, v36, v26 :: v_dual_fmac_f32 v33, v37, v29
	s_delay_alu instid0(VALU_DEP_3) | instskip(SKIP_1) | instid1(VALU_DEP_3)
	v_dual_fmac_f32 v34, v38, v30 :: v_dual_fmac_f32 v35, v39, v31
	v_cvt_f32_f16_e32 v17, v10
	v_fma_f32 v20, -v20, v32, v21
	s_delay_alu instid0(VALU_DEP_4) | instskip(NEXT) | instid1(VALU_DEP_4)
	v_fma_f32 v21, -v22, v33, v23
	v_fma_f32 v22, -v24, v34, v25
	;; [unrolled: 1-line block ×3, first 2 shown]
	v_cvt_f32_f16_e32 v0, v0
	v_cvt_f32_f16_e32 v16, v16
	s_delay_alu instid0(VALU_DEP_4) | instskip(SKIP_3) | instid1(VALU_DEP_2)
	v_div_fmas_f32 v22, v22, v30, v34
	s_mov_b32 vcc_lo, s3
	v_div_fmas_f32 v20, v20, v26, v32
	s_mov_b32 vcc_lo, s5
	v_div_fixup_f32 v13, v22, v14, v13
	v_div_fmas_f32 v23, v23, v31, v35
	s_mov_b32 vcc_lo, s4
	v_div_fixup_f32 v5, v20, v7, v5
	v_div_fmas_f32 v14, v21, v29, v33
	v_add_f32_e32 v0, v13, v0
	v_div_fixup_f32 v7, v23, v19, v18
	v_fma_mix_f32 v13, s20, v13, v9 op_sel:[0,0,1] op_sel_hi:[0,0,1]
	v_add_co_u32 v1, vcc_lo, v1, s19
	v_div_fixup_f32 v6, v14, v8, v6
	v_add_f32_e32 v8, v5, v15
	v_fma_mix_f32 v5, s7, v5, v9 op_sel_hi:[0,0,1]
	v_add_f32_e32 v9, v7, v16
	v_fma_mix_f32 v7, s20, v7, v10 op_sel:[0,0,1] op_sel_hi:[0,0,1]
	v_add_f32_e32 v14, v6, v17
	v_fma_mix_f32 v6, s7, v6, v10 op_sel_hi:[0,0,1]
	v_cndmask_b32_e64 v0, v13, v0, s0
	v_cndmask_b32_e64 v5, v5, v8, s0
	;; [unrolled: 1-line block ×3, first 2 shown]
	v_add_co_ci_u32_e32 v2, vcc_lo, 0, v2, vcc_lo
	v_cndmask_b32_e64 v6, v6, v14, s0
	v_cvt_f16_f32_e32 v0, v0
	v_cvt_f16_f32_e32 v5, v5
	;; [unrolled: 1-line block ×3, first 2 shown]
	s_delay_alu instid0(VALU_DEP_4) | instskip(NEXT) | instid1(VALU_DEP_3)
	v_cvt_f16_f32_e32 v6, v6
	v_pack_b32_f16 v5, v5, v0
	s_delay_alu instid0(VALU_DEP_2)
	v_pack_b32_f16 v6, v6, v7
	global_store_b64 v[11:12], v[5:6], off offset:-4
	s_and_not1_b32 exec_lo, exec_lo, s6
	s_cbranch_execnz .LBB119_32
.LBB119_33:
	s_nop 0
	s_sendmsg sendmsg(MSG_DEALLOC_VGPRS)
	s_endpgm
	.section	.rodata,"a",@progbits
	.p2align	6, 0x0
	.amdhsa_kernel _ZN2at6native12_GLOBAL__N_125multi_tensor_apply_kernelINS1_28TensorListScalarListMetadataIfLi4EEENS1_28PointwiseOpScalarListFunctorIN3c104HalfELi4ELi3ELi3EEEJSt7dividesIfEEEEvT_T0_DpT1_
		.amdhsa_group_segment_fixed_size 0
		.amdhsa_private_segment_fixed_size 0
		.amdhsa_kernarg_size 3448
		.amdhsa_user_sgpr_count 15
		.amdhsa_user_sgpr_dispatch_ptr 0
		.amdhsa_user_sgpr_queue_ptr 0
		.amdhsa_user_sgpr_kernarg_segment_ptr 1
		.amdhsa_user_sgpr_dispatch_id 0
		.amdhsa_user_sgpr_private_segment_size 0
		.amdhsa_wavefront_size32 1
		.amdhsa_uses_dynamic_stack 0
		.amdhsa_enable_private_segment 0
		.amdhsa_system_sgpr_workgroup_id_x 1
		.amdhsa_system_sgpr_workgroup_id_y 0
		.amdhsa_system_sgpr_workgroup_id_z 0
		.amdhsa_system_sgpr_workgroup_info 0
		.amdhsa_system_vgpr_workitem_id 0
		.amdhsa_next_free_vgpr 56
		.amdhsa_next_free_sgpr 27
		.amdhsa_reserve_vcc 1
		.amdhsa_float_round_mode_32 0
		.amdhsa_float_round_mode_16_64 0
		.amdhsa_float_denorm_mode_32 3
		.amdhsa_float_denorm_mode_16_64 3
		.amdhsa_dx10_clamp 1
		.amdhsa_ieee_mode 1
		.amdhsa_fp16_overflow 0
		.amdhsa_workgroup_processor_mode 1
		.amdhsa_memory_ordered 1
		.amdhsa_forward_progress 0
		.amdhsa_shared_vgpr_count 0
		.amdhsa_exception_fp_ieee_invalid_op 0
		.amdhsa_exception_fp_denorm_src 0
		.amdhsa_exception_fp_ieee_div_zero 0
		.amdhsa_exception_fp_ieee_overflow 0
		.amdhsa_exception_fp_ieee_underflow 0
		.amdhsa_exception_fp_ieee_inexact 0
		.amdhsa_exception_int_div_zero 0
	.end_amdhsa_kernel
	.section	.text._ZN2at6native12_GLOBAL__N_125multi_tensor_apply_kernelINS1_28TensorListScalarListMetadataIfLi4EEENS1_28PointwiseOpScalarListFunctorIN3c104HalfELi4ELi3ELi3EEEJSt7dividesIfEEEEvT_T0_DpT1_,"axG",@progbits,_ZN2at6native12_GLOBAL__N_125multi_tensor_apply_kernelINS1_28TensorListScalarListMetadataIfLi4EEENS1_28PointwiseOpScalarListFunctorIN3c104HalfELi4ELi3ELi3EEEJSt7dividesIfEEEEvT_T0_DpT1_,comdat
.Lfunc_end119:
	.size	_ZN2at6native12_GLOBAL__N_125multi_tensor_apply_kernelINS1_28TensorListScalarListMetadataIfLi4EEENS1_28PointwiseOpScalarListFunctorIN3c104HalfELi4ELi3ELi3EEEJSt7dividesIfEEEEvT_T0_DpT1_, .Lfunc_end119-_ZN2at6native12_GLOBAL__N_125multi_tensor_apply_kernelINS1_28TensorListScalarListMetadataIfLi4EEENS1_28PointwiseOpScalarListFunctorIN3c104HalfELi4ELi3ELi3EEEJSt7dividesIfEEEEvT_T0_DpT1_
                                        ; -- End function
	.section	.AMDGPU.csdata,"",@progbits
; Kernel info:
; codeLenInByte = 3128
; NumSgprs: 29
; NumVgprs: 56
; ScratchSize: 0
; MemoryBound: 0
; FloatMode: 240
; IeeeMode: 1
; LDSByteSize: 0 bytes/workgroup (compile time only)
; SGPRBlocks: 3
; VGPRBlocks: 6
; NumSGPRsForWavesPerEU: 29
; NumVGPRsForWavesPerEU: 56
; Occupancy: 16
; WaveLimiterHint : 0
; COMPUTE_PGM_RSRC2:SCRATCH_EN: 0
; COMPUTE_PGM_RSRC2:USER_SGPR: 15
; COMPUTE_PGM_RSRC2:TRAP_HANDLER: 0
; COMPUTE_PGM_RSRC2:TGID_X_EN: 1
; COMPUTE_PGM_RSRC2:TGID_Y_EN: 0
; COMPUTE_PGM_RSRC2:TGID_Z_EN: 0
; COMPUTE_PGM_RSRC2:TIDIG_COMP_CNT: 0
	.section	.text._ZN2at6native12_GLOBAL__N_125multi_tensor_apply_kernelINS1_28TensorListScalarListMetadataIfLi4EEENS1_28PointwiseOpScalarListFunctorIN3c108BFloat16ELi4ELi3ELi3EEEJSt7dividesIfEEEEvT_T0_DpT1_,"axG",@progbits,_ZN2at6native12_GLOBAL__N_125multi_tensor_apply_kernelINS1_28TensorListScalarListMetadataIfLi4EEENS1_28PointwiseOpScalarListFunctorIN3c108BFloat16ELi4ELi3ELi3EEEJSt7dividesIfEEEEvT_T0_DpT1_,comdat
	.globl	_ZN2at6native12_GLOBAL__N_125multi_tensor_apply_kernelINS1_28TensorListScalarListMetadataIfLi4EEENS1_28PointwiseOpScalarListFunctorIN3c108BFloat16ELi4ELi3ELi3EEEJSt7dividesIfEEEEvT_T0_DpT1_ ; -- Begin function _ZN2at6native12_GLOBAL__N_125multi_tensor_apply_kernelINS1_28TensorListScalarListMetadataIfLi4EEENS1_28PointwiseOpScalarListFunctorIN3c108BFloat16ELi4ELi3ELi3EEEJSt7dividesIfEEEEvT_T0_DpT1_
	.p2align	8
	.type	_ZN2at6native12_GLOBAL__N_125multi_tensor_apply_kernelINS1_28TensorListScalarListMetadataIfLi4EEENS1_28PointwiseOpScalarListFunctorIN3c108BFloat16ELi4ELi3ELi3EEEJSt7dividesIfEEEEvT_T0_DpT1_,@function
_ZN2at6native12_GLOBAL__N_125multi_tensor_apply_kernelINS1_28TensorListScalarListMetadataIfLi4EEENS1_28PointwiseOpScalarListFunctorIN3c108BFloat16ELi4ELi3ELi3EEEJSt7dividesIfEEEEvT_T0_DpT1_: ; @_ZN2at6native12_GLOBAL__N_125multi_tensor_apply_kernelINS1_28TensorListScalarListMetadataIfLi4EEENS1_28PointwiseOpScalarListFunctorIN3c108BFloat16ELi4ELi3ELi3EEEJSt7dividesIfEEEEvT_T0_DpT1_
; %bb.0:
	v_mov_b32_e32 v1, s15
	s_add_u32 s2, s0, s15
	s_mul_i32 s3, s15, 3
	s_mul_hi_u32 s4, s15, 3
	s_addc_u32 s5, s1, 0
	global_load_u8 v1, v1, s[0:1] offset:1584
	s_add_u32 s2, s2, s3
	s_addc_u32 s3, s5, s4
	s_mov_b32 s21, 0
	s_load_b32 s2, s[2:3], 0x770
	s_waitcnt lgkmcnt(0)
	s_ashr_i32 s3, s2, 31
	s_waitcnt vmcnt(0)
	v_readfirstlane_b32 s4, v1
	v_lshlrev_b32_e32 v1, 2, v1
	s_delay_alu instid0(VALU_DEP_2)
	s_lshl_b32 s6, s4, 3
	s_clause 0x4
	s_load_b64 s[8:9], s[0:1], s6 offset:0x120
	s_load_b64 s[10:11], s[0:1], s6 offset:0x0
	;; [unrolled: 1-line block ×5, first 2 shown]
	s_add_u32 s6, s0, s6
	s_addc_u32 s7, s1, 0
	s_lshl_b64 s[18:19], s[2:3], 17
	v_sub_co_u32 v1, s6, s6, v1
	s_delay_alu instid0(VALU_DEP_1) | instskip(NEXT) | instid1(VALU_DEP_2)
	v_sub_co_ci_u32_e64 v2, null, s7, 0, s6
	v_readfirstlane_b32 s6, v1
	s_delay_alu instid0(VALU_DEP_2)
	v_readfirstlane_b32 s7, v2
	s_load_b32 s7, s[6:7], 0x5a0
	s_waitcnt lgkmcnt(0)
	s_add_u32 s16, s8, s18
	s_and_b32 s22, s10, 7
	s_and_b32 s20, s16, 7
	s_delay_alu instid0(SALU_CYCLE_1) | instskip(SKIP_2) | instid1(SALU_CYCLE_1)
	s_cmp_eq_u64 s[20:21], 0
	s_cselect_b32 s16, -1, 0
	s_add_u32 s17, s12, s18
	s_or_b32 s17, s14, s17
	s_delay_alu instid0(SALU_CYCLE_1) | instskip(NEXT) | instid1(SALU_CYCLE_1)
	s_and_b32 s17, s17, 7
	s_cmp_eq_u32 s17, 0
	s_cselect_b32 s6, -1, 0
	s_lshl_b64 s[2:3], s[2:3], 16
	s_and_b32 s6, s6, s16
	s_sub_u32 s16, s4, s2
	s_subb_u32 s17, s5, s3
	s_and_b32 s2, s4, 3
	s_delay_alu instid0(SALU_CYCLE_1) | instskip(NEXT) | instid1(SALU_CYCLE_1)
	s_or_b32 s20, s22, s2
	s_cmp_eq_u64 s[20:21], 0
	s_cselect_b32 s2, -1, 0
	s_delay_alu instid0(SALU_CYCLE_1) | instskip(NEXT) | instid1(SALU_CYCLE_1)
	s_and_b32 s2, s6, s2
	s_and_b32 vcc_lo, exec_lo, s2
	s_mov_b32 s2, -1
	s_cbranch_vccnz .LBB120_29
; %bb.1:
	v_cmp_lt_i64_e64 s2, s[16:17], 1
	s_delay_alu instid0(VALU_DEP_1)
	s_and_b32 vcc_lo, exec_lo, s2
	s_cbranch_vccnz .LBB120_28
; %bb.2:
	s_load_b32 s3, s[0:1], 0xc84
	v_dual_mov_b32 v18, 0 :: v_dual_lshlrev_b32 v17, 1, v0
	v_cmp_gt_u64_e64 s4, 0x10000, s[16:17]
	v_cmp_eq_f32_e64 s2, s7, 1.0
	s_mov_b64 s[22:23], 0
	s_delay_alu instid0(VALU_DEP_3) | instskip(NEXT) | instid1(VALU_DEP_1)
	v_add_co_u32 v1, s5, s10, v17
	v_add_co_ci_u32_e64 v2, null, s11, 0, s5
	v_add_co_u32 v3, s5, s8, v17
	v_add_co_u32 v5, s6, s12, v17
	v_add_co_ci_u32_e64 v4, null, s9, 0, s5
	v_add_co_ci_u32_e64 v6, null, s13, 0, s6
	v_add_co_u32 v7, s6, s14, v17
	s_waitcnt lgkmcnt(0)
	s_and_b32 s3, s3, 0xffff
	s_and_b32 s4, s4, exec_lo
	v_mad_u64_u32 v[15:16], null, s3, 6, v[17:18]
	s_cselect_b32 s21, s17, 0
	s_cselect_b32 s20, s16, 0x10000
	s_mul_i32 s5, s3, 3
	s_lshl_b32 s24, s3, 2
	v_add_co_ci_u32_e64 v8, null, s15, 0, s6
	s_delay_alu instid0(VALU_DEP_2) | instskip(NEXT) | instid1(VALU_DEP_3)
	v_add_co_u32 v9, vcc_lo, s10, v15
	v_add_co_ci_u32_e32 v10, vcc_lo, s11, v16, vcc_lo
	v_add_co_u32 v11, vcc_lo, s8, v15
	v_add_co_u32 v26, s6, s24, v17
	v_add_co_u32 v17, s5, s5, v0
	v_add_co_ci_u32_e32 v12, vcc_lo, s9, v16, vcc_lo
	v_add_co_ci_u32_e64 v18, null, 0, 0, s5
	v_add_co_u32 v25, s5, v0, s3
	v_add_co_u32 v13, vcc_lo, s12, v15
	v_add_co_ci_u32_e32 v14, vcc_lo, s13, v16, vcc_lo
	v_add_co_u32 v15, vcc_lo, s14, v15
	v_add_co_ci_u32_e64 v27, null, 0, 0, s6
	v_lshlrev_b32_e32 v37, 1, v25
	s_lshl_b32 s4, s3, 1
	v_add_co_ci_u32_e32 v16, vcc_lo, s15, v16, vcc_lo
	v_add_co_u32 v19, vcc_lo, s10, v26
	v_add_co_u32 v29, s4, s4, v0
	v_add_co_ci_u32_e32 v20, vcc_lo, s11, v27, vcc_lo
	v_add_co_u32 v21, vcc_lo, s8, v26
	v_add_co_ci_u32_e64 v30, null, 0, 0, s4
	v_add_co_u32 v31, s4, s10, v37
	v_add_co_ci_u32_e32 v22, vcc_lo, s9, v27, vcc_lo
	v_add_co_ci_u32_e64 v32, null, s11, 0, s4
	v_add_co_u32 v33, s4, s8, v37
	v_add_co_u32 v23, vcc_lo, s12, v26
	v_add_co_ci_u32_e64 v34, null, s9, 0, s4
	v_add_co_u32 v35, s4, s12, v37
	v_add_co_ci_u32_e32 v24, vcc_lo, s13, v27, vcc_lo
	v_add_co_u32 v26, vcc_lo, s14, v26
	v_add_co_ci_u32_e64 v36, null, s13, 0, s4
	v_add_co_u32 v37, s4, s14, v37
	v_add_co_ci_u32_e32 v27, vcc_lo, s15, v27, vcc_lo
	v_add_co_ci_u32_e64 v28, null, 0, 0, s5
	v_add_co_ci_u32_e64 v38, null, s15, 0, s4
	s_lshl_b32 s25, s3, 3
	s_branch .LBB120_4
.LBB120_3:                              ;   in Loop: Header=BB120_4 Depth=1
	s_or_b32 exec_lo, exec_lo, s3
	v_add_co_u32 v1, vcc_lo, v1, s25
	v_add_co_ci_u32_e32 v2, vcc_lo, 0, v2, vcc_lo
	v_add_co_u32 v3, vcc_lo, v3, s25
	v_add_co_ci_u32_e32 v4, vcc_lo, 0, v4, vcc_lo
	;; [unrolled: 2-line block ×13, first 2 shown]
	s_add_u32 s22, s22, s24
	v_add_co_u32 v33, vcc_lo, v33, s25
	s_addc_u32 s23, s23, 0
	v_add_co_ci_u32_e32 v34, vcc_lo, 0, v34, vcc_lo
	v_cmp_lt_i64_e64 s3, s[22:23], s[16:17]
	v_cmp_gt_u64_e64 s4, 0x10000, s[22:23]
	v_add_co_u32 v35, vcc_lo, v35, s25
	v_add_co_ci_u32_e32 v36, vcc_lo, 0, v36, vcc_lo
	v_add_co_u32 v37, vcc_lo, v37, s25
	v_add_co_ci_u32_e32 v38, vcc_lo, 0, v38, vcc_lo
	s_and_b32 s3, s3, s4
	s_delay_alu instid0(SALU_CYCLE_1)
	s_and_b32 vcc_lo, exec_lo, s3
	s_cbranch_vccz .LBB120_28
.LBB120_4:                              ; =>This Inner Loop Header: Depth=1
	s_waitcnt vmcnt(1)
	v_add_co_u32 v39, s3, v0, s22
	s_delay_alu instid0(VALU_DEP_1) | instskip(SKIP_2) | instid1(VALU_DEP_2)
	v_add_co_ci_u32_e64 v40, null, 0, s23, s3
	s_waitcnt vmcnt(0)
	v_dual_mov_b32 v42, 0 :: v_dual_mov_b32 v43, 0
	v_cmp_gt_u64_e32 vcc_lo, s[20:21], v[39:40]
	s_and_saveexec_b32 s4, vcc_lo
	s_cbranch_execz .LBB120_6
; %bb.5:                                ;   in Loop: Header=BB120_4 Depth=1
	v_add_co_u32 v39, s3, v1, s18
	s_delay_alu instid0(VALU_DEP_1) | instskip(SKIP_1) | instid1(VALU_DEP_1)
	v_add_co_ci_u32_e64 v40, s3, s19, v2, s3
	v_add_co_u32 v43, s3, v3, s18
	v_add_co_ci_u32_e64 v44, s3, s19, v4, s3
	global_load_u16 v42, v[39:40], off
	global_load_u16 v43, v[43:44], off
.LBB120_6:                              ;   in Loop: Header=BB120_4 Depth=1
	s_or_b32 exec_lo, exec_lo, s4
	v_dual_mov_b32 v39, 0 :: v_dual_mov_b32 v46, 0
	s_and_saveexec_b32 s4, vcc_lo
	s_cbranch_execz .LBB120_8
; %bb.7:                                ;   in Loop: Header=BB120_4 Depth=1
	v_add_co_u32 v40, s3, v5, s18
	s_delay_alu instid0(VALU_DEP_1)
	v_add_co_ci_u32_e64 v41, s3, s19, v6, s3
	global_load_u16 v46, v[40:41], off
.LBB120_8:                              ;   in Loop: Header=BB120_4 Depth=1
	s_or_b32 exec_lo, exec_lo, s4
	v_add_co_u32 v40, s3, v25, s22
	s_delay_alu instid0(VALU_DEP_1) | instskip(SKIP_1) | instid1(VALU_DEP_2)
	v_add_co_ci_u32_e64 v41, s3, s23, v28, s3
	v_mov_b32_e32 v44, 0
	v_cmp_gt_u64_e64 s3, s[20:21], v[40:41]
	s_delay_alu instid0(VALU_DEP_1)
	s_and_saveexec_b32 s5, s3
	s_cbranch_execz .LBB120_10
; %bb.9:                                ;   in Loop: Header=BB120_4 Depth=1
	v_add_co_u32 v39, s4, v31, s18
	s_delay_alu instid0(VALU_DEP_1) | instskip(SKIP_1) | instid1(VALU_DEP_1)
	v_add_co_ci_u32_e64 v40, s4, s19, v32, s4
	v_add_co_u32 v44, s4, v33, s18
	v_add_co_ci_u32_e64 v45, s4, s19, v34, s4
	global_load_u16 v39, v[39:40], off
	global_load_u16 v44, v[44:45], off
.LBB120_10:                             ;   in Loop: Header=BB120_4 Depth=1
	s_or_b32 exec_lo, exec_lo, s5
	v_mov_b32_e32 v40, 0
	v_mov_b32_e32 v48, 0
	s_and_saveexec_b32 s5, s3
	s_cbranch_execz .LBB120_12
; %bb.11:                               ;   in Loop: Header=BB120_4 Depth=1
	v_add_co_u32 v47, s4, v35, s18
	s_delay_alu instid0(VALU_DEP_1)
	v_add_co_ci_u32_e64 v48, s4, s19, v36, s4
	global_load_u16 v48, v[47:48], off
.LBB120_12:                             ;   in Loop: Header=BB120_4 Depth=1
	s_or_b32 exec_lo, exec_lo, s5
	v_add_co_u32 v49, s4, v29, s22
	s_delay_alu instid0(VALU_DEP_1) | instskip(SKIP_1) | instid1(VALU_DEP_2)
	v_add_co_ci_u32_e64 v50, s4, s23, v30, s4
	v_mov_b32_e32 v45, 0
	v_cmp_gt_u64_e64 s4, s[20:21], v[49:50]
	s_delay_alu instid0(VALU_DEP_1)
	s_and_saveexec_b32 s6, s4
	s_cbranch_execz .LBB120_14
; %bb.13:                               ;   in Loop: Header=BB120_4 Depth=1
	v_add_co_u32 v40, s5, v19, s18
	s_delay_alu instid0(VALU_DEP_1) | instskip(SKIP_1) | instid1(VALU_DEP_1)
	v_add_co_ci_u32_e64 v41, s5, s19, v20, s5
	v_add_co_u32 v49, s5, v21, s18
	v_add_co_ci_u32_e64 v50, s5, s19, v22, s5
	global_load_u16 v40, v[40:41], off
	global_load_u16 v45, v[49:50], off
.LBB120_14:                             ;   in Loop: Header=BB120_4 Depth=1
	s_or_b32 exec_lo, exec_lo, s6
	v_mov_b32_e32 v41, 0
	v_mov_b32_e32 v49, 0
	s_and_saveexec_b32 s6, s4
	s_cbranch_execz .LBB120_16
; %bb.15:                               ;   in Loop: Header=BB120_4 Depth=1
	v_add_co_u32 v49, s5, v23, s18
	s_delay_alu instid0(VALU_DEP_1)
	v_add_co_ci_u32_e64 v50, s5, s19, v24, s5
	global_load_u16 v49, v[49:50], off
.LBB120_16:                             ;   in Loop: Header=BB120_4 Depth=1
	s_or_b32 exec_lo, exec_lo, s6
	v_add_co_u32 v50, s5, v17, s22
	s_delay_alu instid0(VALU_DEP_1) | instskip(SKIP_1) | instid1(VALU_DEP_2)
	v_add_co_ci_u32_e64 v51, s5, s23, v18, s5
	v_mov_b32_e32 v47, 0
	v_cmp_gt_u64_e64 s5, s[20:21], v[50:51]
	s_delay_alu instid0(VALU_DEP_1)
	s_and_saveexec_b32 s26, s5
	s_cbranch_execnz .LBB120_22
; %bb.17:                               ;   in Loop: Header=BB120_4 Depth=1
	s_or_b32 exec_lo, exec_lo, s26
	v_mov_b32_e32 v50, 0
	s_and_saveexec_b32 s26, s5
	s_cbranch_execnz .LBB120_23
.LBB120_18:                             ;   in Loop: Header=BB120_4 Depth=1
	s_or_b32 exec_lo, exec_lo, s26
	s_and_saveexec_b32 s6, vcc_lo
	s_cbranch_execnz .LBB120_24
.LBB120_19:                             ;   in Loop: Header=BB120_4 Depth=1
	s_or_b32 exec_lo, exec_lo, s6
	s_and_saveexec_b32 s6, s3
	s_cbranch_execnz .LBB120_25
.LBB120_20:                             ;   in Loop: Header=BB120_4 Depth=1
	s_or_b32 exec_lo, exec_lo, s6
	s_and_saveexec_b32 s3, s4
	s_cbranch_execnz .LBB120_26
.LBB120_21:                             ;   in Loop: Header=BB120_4 Depth=1
	s_or_b32 exec_lo, exec_lo, s3
	s_and_saveexec_b32 s3, s5
	s_cbranch_execz .LBB120_3
	s_branch .LBB120_27
.LBB120_22:                             ;   in Loop: Header=BB120_4 Depth=1
	v_add_co_u32 v50, s6, v9, s18
	s_delay_alu instid0(VALU_DEP_1) | instskip(SKIP_1) | instid1(VALU_DEP_1)
	v_add_co_ci_u32_e64 v51, s6, s19, v10, s6
	v_add_co_u32 v52, s6, v11, s18
	v_add_co_ci_u32_e64 v53, s6, s19, v12, s6
	global_load_u16 v41, v[50:51], off
	global_load_u16 v47, v[52:53], off
	s_or_b32 exec_lo, exec_lo, s26
	v_mov_b32_e32 v50, 0
	s_and_saveexec_b32 s26, s5
	s_cbranch_execz .LBB120_18
.LBB120_23:                             ;   in Loop: Header=BB120_4 Depth=1
	v_add_co_u32 v50, s6, v13, s18
	s_delay_alu instid0(VALU_DEP_1)
	v_add_co_ci_u32_e64 v51, s6, s19, v14, s6
	global_load_u16 v50, v[50:51], off
	s_or_b32 exec_lo, exec_lo, s26
	s_and_saveexec_b32 s6, vcc_lo
	s_cbranch_execz .LBB120_19
.LBB120_24:                             ;   in Loop: Header=BB120_4 Depth=1
	s_waitcnt vmcnt(0)
	v_lshlrev_b32_e32 v43, 16, v43
	v_lshlrev_b32_e32 v46, 16, v46
	;; [unrolled: 1-line block ×3, first 2 shown]
	s_delay_alu instid0(VALU_DEP_2) | instskip(NEXT) | instid1(VALU_DEP_1)
	v_div_scale_f32 v51, null, v46, v46, v43
	v_rcp_f32_e32 v52, v51
	s_waitcnt_depctr 0xfff
	v_fma_f32 v53, -v51, v52, 1.0
	s_delay_alu instid0(VALU_DEP_1) | instskip(SKIP_1) | instid1(VALU_DEP_1)
	v_fmac_f32_e32 v52, v53, v52
	v_div_scale_f32 v54, vcc_lo, v43, v46, v43
	v_mul_f32_e32 v53, v54, v52
	s_delay_alu instid0(VALU_DEP_1) | instskip(NEXT) | instid1(VALU_DEP_1)
	v_fma_f32 v55, -v51, v53, v54
	v_fmac_f32_e32 v53, v55, v52
	s_delay_alu instid0(VALU_DEP_1) | instskip(NEXT) | instid1(VALU_DEP_1)
	v_fma_f32 v51, -v51, v53, v54
	v_div_fmas_f32 v51, v51, v52, v53
	s_delay_alu instid0(VALU_DEP_1) | instskip(NEXT) | instid1(VALU_DEP_1)
	v_div_fixup_f32 v43, v51, v46, v43
	v_add_f32_e32 v46, v43, v42
	v_fmac_f32_e32 v42, s7, v43
	s_delay_alu instid0(VALU_DEP_1) | instskip(NEXT) | instid1(VALU_DEP_1)
	v_cndmask_b32_e64 v42, v42, v46, s2
	v_bfe_u32 v43, v42, 16, 1
	v_cmp_o_f32_e32 vcc_lo, v42, v42
	s_delay_alu instid0(VALU_DEP_2) | instskip(NEXT) | instid1(VALU_DEP_1)
	v_add3_u32 v43, v42, v43, 0x7fff
	v_lshrrev_b32_e32 v43, 16, v43
	s_delay_alu instid0(VALU_DEP_1)
	v_cndmask_b32_e32 v46, 0x7fc0, v43, vcc_lo
	v_add_co_u32 v42, vcc_lo, v7, s18
	v_add_co_ci_u32_e32 v43, vcc_lo, s19, v8, vcc_lo
	global_store_b16 v[42:43], v46, off
	s_or_b32 exec_lo, exec_lo, s6
	s_and_saveexec_b32 s6, s3
	s_cbranch_execz .LBB120_20
.LBB120_25:                             ;   in Loop: Header=BB120_4 Depth=1
	s_waitcnt vmcnt(0)
	v_lshlrev_b32_e32 v42, 16, v44
	v_lshlrev_b32_e32 v43, 16, v48
	;; [unrolled: 1-line block ×3, first 2 shown]
	s_delay_alu instid0(VALU_DEP_2) | instskip(NEXT) | instid1(VALU_DEP_1)
	v_div_scale_f32 v44, null, v43, v43, v42
	v_rcp_f32_e32 v46, v44
	s_waitcnt_depctr 0xfff
	v_fma_f32 v48, -v44, v46, 1.0
	s_delay_alu instid0(VALU_DEP_1) | instskip(SKIP_1) | instid1(VALU_DEP_1)
	v_fmac_f32_e32 v46, v48, v46
	v_div_scale_f32 v51, vcc_lo, v42, v43, v42
	v_mul_f32_e32 v48, v51, v46
	s_delay_alu instid0(VALU_DEP_1) | instskip(NEXT) | instid1(VALU_DEP_1)
	v_fma_f32 v52, -v44, v48, v51
	v_fmac_f32_e32 v48, v52, v46
	s_delay_alu instid0(VALU_DEP_1) | instskip(NEXT) | instid1(VALU_DEP_1)
	v_fma_f32 v44, -v44, v48, v51
	v_div_fmas_f32 v44, v44, v46, v48
	s_delay_alu instid0(VALU_DEP_1) | instskip(NEXT) | instid1(VALU_DEP_1)
	v_div_fixup_f32 v42, v44, v43, v42
	v_add_f32_e32 v43, v42, v39
	v_fmac_f32_e32 v39, s7, v42
	s_delay_alu instid0(VALU_DEP_1) | instskip(NEXT) | instid1(VALU_DEP_1)
	v_cndmask_b32_e64 v39, v39, v43, s2
	v_bfe_u32 v42, v39, 16, 1
	s_delay_alu instid0(VALU_DEP_1) | instskip(NEXT) | instid1(VALU_DEP_1)
	v_add3_u32 v42, v39, v42, 0x7fff
	v_lshrrev_b32_e32 v44, 16, v42
	v_add_co_u32 v42, vcc_lo, v37, s18
	v_add_co_ci_u32_e32 v43, vcc_lo, s19, v38, vcc_lo
	v_cmp_o_f32_e32 vcc_lo, v39, v39
	s_delay_alu instid0(VALU_DEP_4)
	v_cndmask_b32_e32 v39, 0x7fc0, v44, vcc_lo
	global_store_b16 v[42:43], v39, off
	s_or_b32 exec_lo, exec_lo, s6
	s_and_saveexec_b32 s3, s4
	s_cbranch_execz .LBB120_21
.LBB120_26:                             ;   in Loop: Header=BB120_4 Depth=1
	s_waitcnt vmcnt(0)
	v_lshlrev_b32_e32 v39, 16, v45
	v_lshlrev_b32_e32 v42, 16, v49
	;; [unrolled: 1-line block ×3, first 2 shown]
	s_delay_alu instid0(VALU_DEP_2) | instskip(NEXT) | instid1(VALU_DEP_1)
	v_div_scale_f32 v43, null, v42, v42, v39
	v_rcp_f32_e32 v44, v43
	s_waitcnt_depctr 0xfff
	v_fma_f32 v45, -v43, v44, 1.0
	s_delay_alu instid0(VALU_DEP_1) | instskip(SKIP_1) | instid1(VALU_DEP_1)
	v_fmac_f32_e32 v44, v45, v44
	v_div_scale_f32 v46, vcc_lo, v39, v42, v39
	v_mul_f32_e32 v45, v46, v44
	s_delay_alu instid0(VALU_DEP_1) | instskip(NEXT) | instid1(VALU_DEP_1)
	v_fma_f32 v48, -v43, v45, v46
	v_fmac_f32_e32 v45, v48, v44
	s_delay_alu instid0(VALU_DEP_1) | instskip(NEXT) | instid1(VALU_DEP_1)
	v_fma_f32 v43, -v43, v45, v46
	v_div_fmas_f32 v43, v43, v44, v45
	s_delay_alu instid0(VALU_DEP_1) | instskip(NEXT) | instid1(VALU_DEP_1)
	v_div_fixup_f32 v39, v43, v42, v39
	v_add_f32_e32 v42, v39, v40
	v_fmac_f32_e32 v40, s7, v39
	s_delay_alu instid0(VALU_DEP_1) | instskip(NEXT) | instid1(VALU_DEP_1)
	v_cndmask_b32_e64 v42, v40, v42, s2
	v_bfe_u32 v39, v42, 16, 1
	s_delay_alu instid0(VALU_DEP_1) | instskip(NEXT) | instid1(VALU_DEP_1)
	v_add3_u32 v39, v42, v39, 0x7fff
	v_lshrrev_b32_e32 v43, 16, v39
	v_add_co_u32 v39, vcc_lo, v26, s18
	v_add_co_ci_u32_e32 v40, vcc_lo, s19, v27, vcc_lo
	v_cmp_o_f32_e32 vcc_lo, v42, v42
	s_delay_alu instid0(VALU_DEP_4)
	v_cndmask_b32_e32 v42, 0x7fc0, v43, vcc_lo
	global_store_b16 v[39:40], v42, off
	s_or_b32 exec_lo, exec_lo, s3
	s_and_saveexec_b32 s3, s5
	s_cbranch_execz .LBB120_3
.LBB120_27:                             ;   in Loop: Header=BB120_4 Depth=1
	s_waitcnt vmcnt(0)
	v_lshlrev_b32_e32 v39, 16, v47
	v_lshlrev_b32_e32 v40, 16, v50
	;; [unrolled: 1-line block ×3, first 2 shown]
	s_delay_alu instid0(VALU_DEP_2) | instskip(NEXT) | instid1(VALU_DEP_1)
	v_div_scale_f32 v42, null, v40, v40, v39
	v_rcp_f32_e32 v43, v42
	s_waitcnt_depctr 0xfff
	v_fma_f32 v44, -v42, v43, 1.0
	s_delay_alu instid0(VALU_DEP_1) | instskip(SKIP_1) | instid1(VALU_DEP_1)
	v_fmac_f32_e32 v43, v44, v43
	v_div_scale_f32 v45, vcc_lo, v39, v40, v39
	v_mul_f32_e32 v44, v45, v43
	s_delay_alu instid0(VALU_DEP_1) | instskip(NEXT) | instid1(VALU_DEP_1)
	v_fma_f32 v46, -v42, v44, v45
	v_fmac_f32_e32 v44, v46, v43
	s_delay_alu instid0(VALU_DEP_1) | instskip(NEXT) | instid1(VALU_DEP_1)
	v_fma_f32 v42, -v42, v44, v45
	v_div_fmas_f32 v42, v42, v43, v44
	s_delay_alu instid0(VALU_DEP_1) | instskip(NEXT) | instid1(VALU_DEP_1)
	v_div_fixup_f32 v39, v42, v40, v39
	v_dual_add_f32 v40, v39, v41 :: v_dual_fmac_f32 v41, s7, v39
	s_delay_alu instid0(VALU_DEP_1) | instskip(NEXT) | instid1(VALU_DEP_1)
	v_cndmask_b32_e64 v41, v41, v40, s2
	v_bfe_u32 v39, v41, 16, 1
	s_delay_alu instid0(VALU_DEP_1) | instskip(NEXT) | instid1(VALU_DEP_1)
	v_add3_u32 v39, v41, v39, 0x7fff
	v_lshrrev_b32_e32 v42, 16, v39
	v_add_co_u32 v39, vcc_lo, v15, s18
	v_add_co_ci_u32_e32 v40, vcc_lo, s19, v16, vcc_lo
	v_cmp_o_f32_e32 vcc_lo, v41, v41
	s_delay_alu instid0(VALU_DEP_4)
	v_cndmask_b32_e32 v41, 0x7fc0, v42, vcc_lo
	global_store_b16 v[39:40], v41, off
	s_branch .LBB120_3
.LBB120_28:
	s_mov_b32 s2, 0
.LBB120_29:
	s_delay_alu instid0(SALU_CYCLE_1)
	s_and_not1_b32 vcc_lo, exec_lo, s2
	s_cbranch_vccnz .LBB120_33
; %bb.30:
	v_dual_mov_b32 v2, 0 :: v_dual_lshlrev_b32 v1, 2, v0
	s_mov_b32 s20, 0
	s_mov_b32 s2, exec_lo
	s_delay_alu instid0(VALU_DEP_1)
	v_cmpx_gt_i64_e64 s[16:17], v[1:2]
	s_cbranch_execz .LBB120_33
; %bb.31:
	s_load_b32 s1, s[0:1], 0xc84
	v_lshlrev_b32_e32 v1, 3, v0
	v_cmp_eq_f32_e64 s0, s7, 1.0
	s_delay_alu instid0(VALU_DEP_2) | instskip(NEXT) | instid1(VALU_DEP_1)
	v_add_co_u32 v3, s2, s18, v1
	v_add_co_ci_u32_e64 v4, null, s19, 0, s2
	s_waitcnt lgkmcnt(0)
	s_and_b32 s1, s1, 0xffff
	s_delay_alu instid0(SALU_CYCLE_1)
	v_add_lshl_u32 v1, v0, s1, 2
	s_lshl_b32 s18, s1, 3
	s_lshl_b32 s19, s1, 2
.LBB120_32:                             ; =>This Inner Loop Header: Depth=1
	v_add_co_u32 v5, vcc_lo, s8, v3
	v_add_co_ci_u32_e32 v6, vcc_lo, s9, v4, vcc_lo
	v_add_co_u32 v7, vcc_lo, s12, v3
	v_add_co_ci_u32_e32 v8, vcc_lo, s13, v4, vcc_lo
	;; [unrolled: 2-line block ×3, first 2 shown]
	global_load_b64 v[5:6], v[5:6], off
	global_load_b64 v[7:8], v[7:8], off
	;; [unrolled: 1-line block ×3, first 2 shown]
	v_add_co_u32 v11, vcc_lo, s14, v3
	v_add_co_ci_u32_e32 v12, vcc_lo, s15, v4, vcc_lo
	v_add_co_u32 v3, vcc_lo, v3, s18
	v_add_co_ci_u32_e32 v4, vcc_lo, 0, v4, vcc_lo
	v_cmp_le_i64_e64 s1, s[16:17], v[1:2]
	v_cmp_lt_u64_e64 s2, 0xffff, v[1:2]
	v_add_co_u32 v1, s3, v1, s19
	s_delay_alu instid0(VALU_DEP_2) | instskip(NEXT) | instid1(SALU_CYCLE_1)
	s_or_b32 s1, s1, s2
	s_and_b32 s1, exec_lo, s1
	s_delay_alu instid0(SALU_CYCLE_1)
	s_or_b32 s20, s1, s20
	s_waitcnt vmcnt(2)
	v_and_b32_e32 v16, 0xffff0000, v5
	s_waitcnt vmcnt(1)
	v_and_b32_e32 v17, 0xffff0000, v7
	v_lshlrev_b32_e32 v13, 16, v5
	v_alignbit_b32 v5, v6, v5, 16
	s_delay_alu instid0(VALU_DEP_3) | instskip(NEXT) | instid1(VALU_DEP_1)
	v_div_scale_f32 v20, null, v17, v17, v16
	v_rcp_f32_e32 v25, v20
	s_waitcnt_depctr 0xfff
	v_fma_f32 v31, -v20, v25, 1.0
	v_lshlrev_b32_e32 v14, 16, v7
	v_alignbit_b32 v7, v8, v7, 16
	s_delay_alu instid0(VALU_DEP_3) | instskip(NEXT) | instid1(VALU_DEP_3)
	v_dual_fmac_f32 v25, v31, v25 :: v_dual_and_b32 v8, 0xffff0000, v8
	v_div_scale_f32 v18, null, v14, v14, v13
	s_delay_alu instid0(VALU_DEP_3) | instskip(NEXT) | instid1(VALU_DEP_2)
	v_and_b32_e32 v7, 0xffff0000, v7
	v_rcp_f32_e32 v24, v18
	s_waitcnt_depctr 0xfff
	v_fma_f32 v30, -v18, v24, 1.0
	s_delay_alu instid0(VALU_DEP_1) | instskip(SKIP_1) | instid1(VALU_DEP_1)
	v_fmac_f32_e32 v24, v30, v24
	v_div_scale_f32 v19, vcc_lo, v13, v14, v13
	v_mul_f32_e32 v31, v19, v24
	v_div_scale_f32 v21, s4, v16, v17, v16
	s_delay_alu instid0(VALU_DEP_2) | instskip(NEXT) | instid1(VALU_DEP_1)
	v_fma_f32 v33, -v18, v31, v19
	v_fmac_f32_e32 v31, v33, v24
	s_delay_alu instid0(VALU_DEP_1) | instskip(NEXT) | instid1(VALU_DEP_1)
	v_fma_f32 v18, -v18, v31, v19
	v_div_fmas_f32 v18, v18, v24, v31
	s_mov_b32 vcc_lo, s4
	s_delay_alu instid0(VALU_DEP_1) | instskip(SKIP_1) | instid1(VALU_DEP_1)
	v_div_fixup_f32 v13, v18, v14, v13
	v_and_b32_e32 v5, 0xffff0000, v5
	v_div_scale_f32 v28, s6, v5, v7, v5
	v_and_b32_e32 v6, 0xffff0000, v6
	s_delay_alu instid0(VALU_DEP_1) | instskip(SKIP_1) | instid1(VALU_DEP_2)
	v_div_scale_f32 v22, null, v8, v8, v6
	v_div_scale_f32 v23, s5, v6, v8, v6
	v_rcp_f32_e32 v27, v22
	s_waitcnt_depctr 0xfff
	v_fma_f32 v32, -v22, v27, 1.0
	s_waitcnt vmcnt(0)
	s_delay_alu instid0(VALU_DEP_1) | instskip(SKIP_1) | instid1(VALU_DEP_2)
	v_dual_fmac_f32 v27, v32, v27 :: v_dual_lshlrev_b32 v0, 16, v9
	v_mul_f32_e32 v32, v21, v25
	v_dual_add_f32 v18, v13, v0 :: v_dual_and_b32 v15, 0xffff0000, v9
	v_alignbit_b32 v9, v10, v9, 16
	v_fmac_f32_e32 v0, s7, v13
	s_delay_alu instid0(VALU_DEP_4) | instskip(NEXT) | instid1(VALU_DEP_2)
	v_fma_f32 v34, -v20, v32, v21
	v_cndmask_b32_e64 v0, v0, v18, s0
	s_delay_alu instid0(VALU_DEP_2) | instskip(SKIP_1) | instid1(VALU_DEP_2)
	v_fmac_f32_e32 v32, v34, v25
	v_div_scale_f32 v26, null, v7, v7, v5
	v_fma_f32 v19, -v20, v32, v21
	s_delay_alu instid0(VALU_DEP_2) | instskip(NEXT) | instid1(VALU_DEP_1)
	v_rcp_f32_e32 v29, v26
	v_div_fmas_f32 v19, v19, v25, v32
	s_mov_b32 vcc_lo, s6
	s_delay_alu instid0(VALU_DEP_1) | instskip(SKIP_2) | instid1(VALU_DEP_1)
	v_div_fixup_f32 v16, v19, v17, v16
	s_waitcnt_depctr 0xfff
	v_fma_f32 v30, -v26, v29, 1.0
	v_dual_fmac_f32 v29, v30, v29 :: v_dual_and_b32 v10, 0xffff0000, v10
	s_delay_alu instid0(VALU_DEP_1) | instskip(NEXT) | instid1(VALU_DEP_1)
	v_dual_mul_f32 v30, v23, v27 :: v_dual_mul_f32 v35, v28, v29
	v_fma_f32 v36, -v22, v30, v23
	v_and_b32_e32 v9, 0xffff0000, v9
	s_delay_alu instid0(VALU_DEP_3) | instskip(NEXT) | instid1(VALU_DEP_1)
	v_fma_f32 v33, -v26, v35, v28
	v_dual_fmac_f32 v30, v36, v27 :: v_dual_fmac_f32 v35, v33, v29
	s_delay_alu instid0(VALU_DEP_1) | instskip(NEXT) | instid1(VALU_DEP_2)
	v_fma_f32 v20, -v22, v30, v23
	v_fma_f32 v21, -v26, v35, v28
	s_delay_alu instid0(VALU_DEP_1) | instskip(SKIP_1) | instid1(VALU_DEP_3)
	v_div_fmas_f32 v14, v21, v29, v35
	s_mov_b32 vcc_lo, s5
	v_div_fmas_f32 v17, v20, v27, v30
	v_cmp_o_f32_e32 vcc_lo, v0, v0
	s_delay_alu instid0(VALU_DEP_3) | instskip(SKIP_1) | instid1(VALU_DEP_4)
	v_div_fixup_f32 v5, v14, v7, v5
	v_add_f32_e32 v7, v16, v15
	v_div_fixup_f32 v6, v17, v8, v6
	s_delay_alu instid0(VALU_DEP_3) | instskip(SKIP_1) | instid1(VALU_DEP_3)
	v_dual_fmac_f32 v15, s7, v16 :: v_dual_add_f32 v8, v5, v9
	v_fmac_f32_e32 v9, s7, v5
	v_add_f32_e32 v5, v6, v10
	v_fmac_f32_e32 v10, s7, v6
	s_delay_alu instid0(VALU_DEP_4) | instskip(SKIP_1) | instid1(VALU_DEP_3)
	v_cndmask_b32_e64 v6, v15, v7, s0
	v_bfe_u32 v7, v0, 16, 1
	v_cndmask_b32_e64 v5, v10, v5, s0
	s_delay_alu instid0(VALU_DEP_3) | instskip(NEXT) | instid1(VALU_DEP_3)
	v_cmp_o_f32_e64 s4, v6, v6
	v_add3_u32 v7, v0, v7, 0x7fff
	s_delay_alu instid0(VALU_DEP_3) | instskip(NEXT) | instid1(VALU_DEP_2)
	v_bfe_u32 v13, v5, 16, 1
	v_lshrrev_b32_e32 v7, 16, v7
	s_delay_alu instid0(VALU_DEP_2) | instskip(NEXT) | instid1(VALU_DEP_1)
	v_add3_u32 v0, v5, v13, 0x7fff
	v_and_b32_e32 v0, 0xffff0000, v0
	v_cndmask_b32_e64 v8, v9, v8, s0
	v_bfe_u32 v9, v6, 16, 1
	s_delay_alu instid0(VALU_DEP_2) | instskip(NEXT) | instid1(VALU_DEP_2)
	v_bfe_u32 v10, v8, 16, 1
	v_add3_u32 v9, v6, v9, 0x7fff
	v_cndmask_b32_e32 v6, 0x7fc0, v7, vcc_lo
	v_cmp_o_f32_e32 vcc_lo, v8, v8
	s_delay_alu instid0(VALU_DEP_4) | instskip(NEXT) | instid1(VALU_DEP_4)
	v_add3_u32 v10, v8, v10, 0x7fff
	v_and_b32_e32 v9, 0xffff0000, v9
	s_delay_alu instid0(VALU_DEP_2) | instskip(NEXT) | instid1(VALU_DEP_2)
	v_lshrrev_b32_e32 v7, 16, v10
	v_cndmask_b32_e64 v9, 0x7fc00000, v9, s4
	v_cmp_o_f32_e64 s4, v5, v5
	s_delay_alu instid0(VALU_DEP_3) | instskip(NEXT) | instid1(VALU_DEP_3)
	v_cndmask_b32_e32 v5, 0x7fc0, v7, vcc_lo
	v_or_b32_e32 v7, v6, v9
	s_delay_alu instid0(VALU_DEP_3) | instskip(SKIP_1) | instid1(VALU_DEP_2)
	v_cndmask_b32_e64 v0, 0x7fc00000, v0, s4
	v_add_co_ci_u32_e64 v2, vcc_lo, 0, v2, s3
	v_or3_b32 v6, 0, v5, v0
	s_delay_alu instid0(VALU_DEP_4)
	v_or3_b32 v5, v7, 0, 0
	global_store_b64 v[11:12], v[5:6], off
	s_and_not1_b32 exec_lo, exec_lo, s20
	s_cbranch_execnz .LBB120_32
.LBB120_33:
	s_nop 0
	s_sendmsg sendmsg(MSG_DEALLOC_VGPRS)
	s_endpgm
	.section	.rodata,"a",@progbits
	.p2align	6, 0x0
	.amdhsa_kernel _ZN2at6native12_GLOBAL__N_125multi_tensor_apply_kernelINS1_28TensorListScalarListMetadataIfLi4EEENS1_28PointwiseOpScalarListFunctorIN3c108BFloat16ELi4ELi3ELi3EEEJSt7dividesIfEEEEvT_T0_DpT1_
		.amdhsa_group_segment_fixed_size 0
		.amdhsa_private_segment_fixed_size 0
		.amdhsa_kernarg_size 3448
		.amdhsa_user_sgpr_count 15
		.amdhsa_user_sgpr_dispatch_ptr 0
		.amdhsa_user_sgpr_queue_ptr 0
		.amdhsa_user_sgpr_kernarg_segment_ptr 1
		.amdhsa_user_sgpr_dispatch_id 0
		.amdhsa_user_sgpr_private_segment_size 0
		.amdhsa_wavefront_size32 1
		.amdhsa_uses_dynamic_stack 0
		.amdhsa_enable_private_segment 0
		.amdhsa_system_sgpr_workgroup_id_x 1
		.amdhsa_system_sgpr_workgroup_id_y 0
		.amdhsa_system_sgpr_workgroup_id_z 0
		.amdhsa_system_sgpr_workgroup_info 0
		.amdhsa_system_vgpr_workitem_id 0
		.amdhsa_next_free_vgpr 56
		.amdhsa_next_free_sgpr 27
		.amdhsa_reserve_vcc 1
		.amdhsa_float_round_mode_32 0
		.amdhsa_float_round_mode_16_64 0
		.amdhsa_float_denorm_mode_32 3
		.amdhsa_float_denorm_mode_16_64 3
		.amdhsa_dx10_clamp 1
		.amdhsa_ieee_mode 1
		.amdhsa_fp16_overflow 0
		.amdhsa_workgroup_processor_mode 1
		.amdhsa_memory_ordered 1
		.amdhsa_forward_progress 0
		.amdhsa_shared_vgpr_count 0
		.amdhsa_exception_fp_ieee_invalid_op 0
		.amdhsa_exception_fp_denorm_src 0
		.amdhsa_exception_fp_ieee_div_zero 0
		.amdhsa_exception_fp_ieee_overflow 0
		.amdhsa_exception_fp_ieee_underflow 0
		.amdhsa_exception_fp_ieee_inexact 0
		.amdhsa_exception_int_div_zero 0
	.end_amdhsa_kernel
	.section	.text._ZN2at6native12_GLOBAL__N_125multi_tensor_apply_kernelINS1_28TensorListScalarListMetadataIfLi4EEENS1_28PointwiseOpScalarListFunctorIN3c108BFloat16ELi4ELi3ELi3EEEJSt7dividesIfEEEEvT_T0_DpT1_,"axG",@progbits,_ZN2at6native12_GLOBAL__N_125multi_tensor_apply_kernelINS1_28TensorListScalarListMetadataIfLi4EEENS1_28PointwiseOpScalarListFunctorIN3c108BFloat16ELi4ELi3ELi3EEEJSt7dividesIfEEEEvT_T0_DpT1_,comdat
.Lfunc_end120:
	.size	_ZN2at6native12_GLOBAL__N_125multi_tensor_apply_kernelINS1_28TensorListScalarListMetadataIfLi4EEENS1_28PointwiseOpScalarListFunctorIN3c108BFloat16ELi4ELi3ELi3EEEJSt7dividesIfEEEEvT_T0_DpT1_, .Lfunc_end120-_ZN2at6native12_GLOBAL__N_125multi_tensor_apply_kernelINS1_28TensorListScalarListMetadataIfLi4EEENS1_28PointwiseOpScalarListFunctorIN3c108BFloat16ELi4ELi3ELi3EEEJSt7dividesIfEEEEvT_T0_DpT1_
                                        ; -- End function
	.section	.AMDGPU.csdata,"",@progbits
; Kernel info:
; codeLenInByte = 3520
; NumSgprs: 29
; NumVgprs: 56
; ScratchSize: 0
; MemoryBound: 0
; FloatMode: 240
; IeeeMode: 1
; LDSByteSize: 0 bytes/workgroup (compile time only)
; SGPRBlocks: 3
; VGPRBlocks: 6
; NumSGPRsForWavesPerEU: 29
; NumVGPRsForWavesPerEU: 56
; Occupancy: 16
; WaveLimiterHint : 0
; COMPUTE_PGM_RSRC2:SCRATCH_EN: 0
; COMPUTE_PGM_RSRC2:USER_SGPR: 15
; COMPUTE_PGM_RSRC2:TRAP_HANDLER: 0
; COMPUTE_PGM_RSRC2:TGID_X_EN: 1
; COMPUTE_PGM_RSRC2:TGID_Y_EN: 0
; COMPUTE_PGM_RSRC2:TGID_Z_EN: 0
; COMPUTE_PGM_RSRC2:TIDIG_COMP_CNT: 0
	.section	.text._ZN2at6native12_GLOBAL__N_125multi_tensor_apply_kernelINS1_28TensorListScalarListMetadataIhLi3EEENS1_28PointwiseOpScalarListFunctorIhLi3ELi3ELi0EEEJSt7dividesIhEEEEvT_T0_DpT1_,"axG",@progbits,_ZN2at6native12_GLOBAL__N_125multi_tensor_apply_kernelINS1_28TensorListScalarListMetadataIhLi3EEENS1_28PointwiseOpScalarListFunctorIhLi3ELi3ELi0EEEJSt7dividesIhEEEEvT_T0_DpT1_,comdat
	.globl	_ZN2at6native12_GLOBAL__N_125multi_tensor_apply_kernelINS1_28TensorListScalarListMetadataIhLi3EEENS1_28PointwiseOpScalarListFunctorIhLi3ELi3ELi0EEEJSt7dividesIhEEEEvT_T0_DpT1_ ; -- Begin function _ZN2at6native12_GLOBAL__N_125multi_tensor_apply_kernelINS1_28TensorListScalarListMetadataIhLi3EEENS1_28PointwiseOpScalarListFunctorIhLi3ELi3ELi0EEEJSt7dividesIhEEEEvT_T0_DpT1_
	.p2align	8
	.type	_ZN2at6native12_GLOBAL__N_125multi_tensor_apply_kernelINS1_28TensorListScalarListMetadataIhLi3EEENS1_28PointwiseOpScalarListFunctorIhLi3ELi3ELi0EEEJSt7dividesIhEEEEvT_T0_DpT1_,@function
_ZN2at6native12_GLOBAL__N_125multi_tensor_apply_kernelINS1_28TensorListScalarListMetadataIhLi3EEENS1_28PointwiseOpScalarListFunctorIhLi3ELi3ELi0EEEJSt7dividesIhEEEEvT_T0_DpT1_: ; @_ZN2at6native12_GLOBAL__N_125multi_tensor_apply_kernelINS1_28TensorListScalarListMetadataIhLi3EEENS1_28PointwiseOpScalarListFunctorIhLi3ELi3ELi0EEEJSt7dividesIhEEEEvT_T0_DpT1_
; %bb.0:
	v_mov_b32_e32 v1, s15
	s_mul_i32 s4, s15, 3
	s_mul_hi_u32 s5, s15, 3
	global_load_u8 v3, v1, s[0:1] offset:1584
	s_waitcnt vmcnt(0)
	v_add_co_u32 v1, s2, s0, v3
	s_delay_alu instid0(VALU_DEP_1)
	v_add_co_ci_u32_e64 v2, null, s1, 0, s2
	s_add_u32 s2, s0, s15
	s_addc_u32 s3, s1, 0
	s_add_u32 s2, s2, s4
	global_load_u8 v2, v[1:2], off offset:1536
	s_addc_u32 s3, s3, s5
	v_readfirstlane_b32 s4, v3
	s_load_b32 s6, s[2:3], 0x770
	s_delay_alu instid0(VALU_DEP_1)
	s_lshl_b32 s7, s4, 3
	s_clause 0x3
	s_load_b64 s[12:13], s[0:1], s7 offset:0x0
	s_load_b64 s[4:5], s[0:1], s7 offset:0x180
	;; [unrolled: 1-line block ×4, first 2 shown]
	s_waitcnt lgkmcnt(0)
	s_ashr_i32 s7, s6, 31
	s_delay_alu instid0(SALU_CYCLE_1) | instskip(NEXT) | instid1(SALU_CYCLE_1)
	s_lshl_b64 s[14:15], s[6:7], 16
	s_add_u32 s6, s12, s14
	s_addc_u32 s7, s13, s15
	s_add_u32 s16, s4, s14
	s_addc_u32 s17, s5, s15
	;; [unrolled: 2-line block ×3, first 2 shown]
	s_or_b32 s8, s18, s16
	s_delay_alu instid0(SALU_CYCLE_1) | instskip(NEXT) | instid1(SALU_CYCLE_1)
	s_and_b32 s8, s8, 3
	s_cmp_eq_u32 s8, 0
	s_cselect_b32 s20, -1, 0
	s_sub_u32 s8, s10, s14
	s_subb_u32 s9, s11, s15
	s_or_b64 s[10:11], s[10:11], s[6:7]
	s_mov_b32 s11, 0
	s_and_b32 s10, s10, 3
	s_delay_alu instid0(SALU_CYCLE_1) | instskip(SKIP_1) | instid1(SALU_CYCLE_1)
	s_cmp_eq_u64 s[10:11], 0
	s_cselect_b32 s10, -1, 0
	s_and_b32 s10, s20, s10
	s_delay_alu instid0(SALU_CYCLE_1)
	s_and_b32 vcc_lo, exec_lo, s10
	s_mov_b32 s10, -1
	s_cbranch_vccnz .LBB121_29
; %bb.1:
	v_cmp_lt_i64_e64 s10, s[8:9], 1
	s_delay_alu instid0(VALU_DEP_1)
	s_and_b32 vcc_lo, exec_lo, s10
	s_cbranch_vccnz .LBB121_28
; %bb.2:
	s_load_b32 s10, s[0:1], 0xc84
	v_add_co_u32 v22, s11, s14, v0
	s_delay_alu instid0(VALU_DEP_1) | instskip(SKIP_1) | instid1(VALU_DEP_3)
	v_add_co_ci_u32_e64 v23, null, s15, 0, s11
	v_cmp_gt_u64_e64 s11, 0x10000, s[8:9]
	v_add_co_u32 v1, vcc_lo, s12, v22
	s_delay_alu instid0(VALU_DEP_3)
	v_add_co_ci_u32_e32 v3, vcc_lo, s13, v23, vcc_lo
	v_add_co_u32 v4, vcc_lo, s4, v22
	v_add_co_ci_u32_e32 v5, vcc_lo, s5, v23, vcc_lo
	v_add_co_u32 v6, vcc_lo, s2, v22
	v_add_co_ci_u32_e32 v7, vcc_lo, s3, v23, vcc_lo
	s_waitcnt lgkmcnt(0)
	s_and_b32 s21, s10, 0xffff
	s_and_b32 s10, s11, exec_lo
	s_mul_i32 s23, s21, 3
	s_cselect_b32 s11, s9, 0
	s_cselect_b32 s10, s8, 0x10000
	s_lshl_b32 s22, s21, 1
	s_lshl_b32 s20, s21, 2
	s_add_u32 s24, s14, s23
	s_addc_u32 s25, s15, 0
	v_add_co_u32 v12, s24, s24, v0
	s_delay_alu instid0(VALU_DEP_1) | instskip(SKIP_1) | instid1(VALU_DEP_2)
	v_add_co_ci_u32_e64 v13, null, s25, 0, s24
	s_add_u32 s14, s14, s22
	v_add_co_u32 v8, vcc_lo, s12, v12
	s_delay_alu instid0(VALU_DEP_2)
	v_add_co_ci_u32_e32 v9, vcc_lo, s13, v13, vcc_lo
	v_add_co_u32 v10, vcc_lo, s4, v12
	s_addc_u32 s15, s15, 0
	v_add_co_u32 v20, s14, s14, v0
	v_add_co_ci_u32_e32 v11, vcc_lo, s5, v13, vcc_lo
	v_add_co_u32 v12, vcc_lo, s2, v12
	v_add_co_ci_u32_e64 v21, null, s15, 0, s14
	v_add_co_ci_u32_e32 v13, vcc_lo, s3, v13, vcc_lo
	v_add_co_u32 v16, vcc_lo, s12, v20
	s_delay_alu instid0(VALU_DEP_3)
	v_add_co_ci_u32_e32 v17, vcc_lo, s13, v21, vcc_lo
	v_add_co_u32 v18, vcc_lo, s4, v20
	v_add_co_ci_u32_e32 v19, vcc_lo, s5, v21, vcc_lo
	v_add_co_u32 v20, vcc_lo, s2, v20
	;; [unrolled: 2-line block ×3, first 2 shown]
	v_add_co_ci_u32_e32 v29, vcc_lo, 0, v23, vcc_lo
	v_add_co_u32 v14, s14, s23, v0
	s_delay_alu instid0(VALU_DEP_3) | instskip(NEXT) | instid1(VALU_DEP_3)
	v_add_co_u32 v24, vcc_lo, s12, v28
	v_add_co_ci_u32_e32 v25, vcc_lo, s13, v29, vcc_lo
	v_add_co_u32 v26, vcc_lo, s4, v28
	v_add_co_ci_u32_e32 v27, vcc_lo, s5, v29, vcc_lo
	v_add_co_ci_u32_e64 v15, null, 0, 0, s14
	v_add_co_u32 v22, s14, s22, v0
	v_add_co_u32 v28, vcc_lo, s2, v28
	v_add_co_u32 v30, s2, v0, s21
	v_add_co_ci_u32_e64 v23, null, 0, 0, s14
	v_add_co_ci_u32_e32 v29, vcc_lo, s3, v29, vcc_lo
	v_add_co_ci_u32_e64 v31, null, 0, 0, s2
	s_mov_b64 s[12:13], 0
	s_branch .LBB121_4
.LBB121_3:                              ;   in Loop: Header=BB121_4 Depth=1
	s_or_b32 exec_lo, exec_lo, s2
	s_add_u32 s12, s12, s20
	s_addc_u32 s13, s13, 0
	s_delay_alu instid0(SALU_CYCLE_1) | instskip(SKIP_1) | instid1(VALU_DEP_1)
	v_cmp_lt_i64_e64 s2, s[12:13], s[8:9]
	v_cmp_gt_u64_e64 s3, 0x10000, s[12:13]
	s_and_b32 s2, s2, s3
	s_delay_alu instid0(SALU_CYCLE_1)
	s_and_b32 vcc_lo, exec_lo, s2
	s_cbranch_vccz .LBB121_28
.LBB121_4:                              ; =>This Inner Loop Header: Depth=1
	s_waitcnt vmcnt(1)
	v_add_co_u32 v32, s2, v0, s12
	s_delay_alu instid0(VALU_DEP_1) | instskip(SKIP_2) | instid1(VALU_DEP_2)
	v_add_co_ci_u32_e64 v33, null, 0, s13, s2
	s_waitcnt vmcnt(0)
	v_mov_b32_e32 v34, 0
	v_cmp_gt_u64_e32 vcc_lo, s[10:11], v[32:33]
	v_mov_b32_e32 v32, 0
	s_and_saveexec_b32 s3, vcc_lo
	s_cbranch_execz .LBB121_6
; %bb.5:                                ;   in Loop: Header=BB121_4 Depth=1
	v_add_co_u32 v32, s2, v1, s12
	s_delay_alu instid0(VALU_DEP_1) | instskip(SKIP_1) | instid1(VALU_DEP_1)
	v_add_co_ci_u32_e64 v33, s2, s13, v3, s2
	v_add_co_u32 v34, s2, v4, s12
	v_add_co_ci_u32_e64 v35, s2, s13, v5, s2
	global_load_u8 v32, v[32:33], off
	global_load_u8 v34, v[34:35], off
.LBB121_6:                              ;   in Loop: Header=BB121_4 Depth=1
	s_or_b32 exec_lo, exec_lo, s3
	v_dual_mov_b32 v33, 0 :: v_dual_mov_b32 v36, 0
	s_and_saveexec_b32 s3, vcc_lo
	s_cbranch_execz .LBB121_8
; %bb.7:                                ;   in Loop: Header=BB121_4 Depth=1
	v_add_co_u32 v35, s2, v6, s12
	s_delay_alu instid0(VALU_DEP_1)
	v_add_co_ci_u32_e64 v36, s2, s13, v7, s2
	global_load_u8 v36, v[35:36], off
.LBB121_8:                              ;   in Loop: Header=BB121_4 Depth=1
	s_or_b32 exec_lo, exec_lo, s3
	v_add_co_u32 v37, s2, v30, s12
	s_delay_alu instid0(VALU_DEP_1) | instskip(NEXT) | instid1(VALU_DEP_1)
	v_add_co_ci_u32_e64 v38, s2, s13, v31, s2
	v_cmp_gt_u64_e64 s2, s[10:11], v[37:38]
	v_mov_b32_e32 v37, 0
	s_delay_alu instid0(VALU_DEP_2)
	s_and_saveexec_b32 s4, s2
	s_cbranch_execz .LBB121_10
; %bb.9:                                ;   in Loop: Header=BB121_4 Depth=1
	v_add_co_u32 v37, s3, v24, s12
	s_delay_alu instid0(VALU_DEP_1) | instskip(SKIP_1) | instid1(VALU_DEP_1)
	v_add_co_ci_u32_e64 v38, s3, s13, v25, s3
	v_add_co_u32 v39, s3, v26, s12
	v_add_co_ci_u32_e64 v40, s3, s13, v27, s3
	global_load_u8 v33, v[37:38], off
	global_load_u8 v37, v[39:40], off
.LBB121_10:                             ;   in Loop: Header=BB121_4 Depth=1
	s_or_b32 exec_lo, exec_lo, s4
	v_mov_b32_e32 v35, 0
	v_mov_b32_e32 v39, 0
	s_and_saveexec_b32 s4, s2
	s_cbranch_execz .LBB121_12
; %bb.11:                               ;   in Loop: Header=BB121_4 Depth=1
	v_add_co_u32 v38, s3, v28, s12
	s_delay_alu instid0(VALU_DEP_1)
	v_add_co_ci_u32_e64 v39, s3, s13, v29, s3
	global_load_u8 v39, v[38:39], off
.LBB121_12:                             ;   in Loop: Header=BB121_4 Depth=1
	s_or_b32 exec_lo, exec_lo, s4
	v_add_co_u32 v40, s3, v22, s12
	s_delay_alu instid0(VALU_DEP_1) | instskip(NEXT) | instid1(VALU_DEP_1)
	v_add_co_ci_u32_e64 v41, s3, s13, v23, s3
	v_cmp_gt_u64_e64 s3, s[10:11], v[40:41]
	v_mov_b32_e32 v40, 0
	s_delay_alu instid0(VALU_DEP_2)
	s_and_saveexec_b32 s5, s3
	s_cbranch_execz .LBB121_14
; %bb.13:                               ;   in Loop: Header=BB121_4 Depth=1
	v_add_co_u32 v40, s4, v16, s12
	s_delay_alu instid0(VALU_DEP_1) | instskip(SKIP_1) | instid1(VALU_DEP_1)
	v_add_co_ci_u32_e64 v41, s4, s13, v17, s4
	v_add_co_u32 v42, s4, v18, s12
	v_add_co_ci_u32_e64 v43, s4, s13, v19, s4
	global_load_u8 v35, v[40:41], off
	global_load_u8 v40, v[42:43], off
.LBB121_14:                             ;   in Loop: Header=BB121_4 Depth=1
	s_or_b32 exec_lo, exec_lo, s5
	v_dual_mov_b32 v38, 0 :: v_dual_mov_b32 v41, 0
	s_and_saveexec_b32 s5, s3
	s_cbranch_execz .LBB121_16
; %bb.15:                               ;   in Loop: Header=BB121_4 Depth=1
	v_add_co_u32 v41, s4, v20, s12
	s_delay_alu instid0(VALU_DEP_1)
	v_add_co_ci_u32_e64 v42, s4, s13, v21, s4
	global_load_u8 v41, v[41:42], off
.LBB121_16:                             ;   in Loop: Header=BB121_4 Depth=1
	s_or_b32 exec_lo, exec_lo, s5
	v_add_co_u32 v42, s4, v14, s12
	s_delay_alu instid0(VALU_DEP_1) | instskip(NEXT) | instid1(VALU_DEP_1)
	v_add_co_ci_u32_e64 v43, s4, s13, v15, s4
	v_cmp_gt_u64_e64 s4, s[10:11], v[42:43]
	v_mov_b32_e32 v42, 0
	s_delay_alu instid0(VALU_DEP_2)
	s_and_saveexec_b32 s14, s4
	s_cbranch_execnz .LBB121_22
; %bb.17:                               ;   in Loop: Header=BB121_4 Depth=1
	s_or_b32 exec_lo, exec_lo, s14
	v_mov_b32_e32 v43, 0
	s_and_saveexec_b32 s14, s4
	s_cbranch_execnz .LBB121_23
.LBB121_18:                             ;   in Loop: Header=BB121_4 Depth=1
	s_or_b32 exec_lo, exec_lo, s14
	s_and_saveexec_b32 s5, vcc_lo
	s_cbranch_execnz .LBB121_24
.LBB121_19:                             ;   in Loop: Header=BB121_4 Depth=1
	s_or_b32 exec_lo, exec_lo, s5
	s_and_saveexec_b32 s5, s2
	s_cbranch_execnz .LBB121_25
.LBB121_20:                             ;   in Loop: Header=BB121_4 Depth=1
	s_or_b32 exec_lo, exec_lo, s5
	s_and_saveexec_b32 s2, s3
	s_cbranch_execnz .LBB121_26
.LBB121_21:                             ;   in Loop: Header=BB121_4 Depth=1
	s_or_b32 exec_lo, exec_lo, s2
	s_and_saveexec_b32 s2, s4
	s_cbranch_execz .LBB121_3
	s_branch .LBB121_27
.LBB121_22:                             ;   in Loop: Header=BB121_4 Depth=1
	v_add_co_u32 v42, s5, v8, s12
	s_delay_alu instid0(VALU_DEP_1) | instskip(SKIP_1) | instid1(VALU_DEP_1)
	v_add_co_ci_u32_e64 v43, s5, s13, v9, s5
	v_add_co_u32 v44, s5, v10, s12
	v_add_co_ci_u32_e64 v45, s5, s13, v11, s5
	global_load_u8 v38, v[42:43], off
	global_load_u8 v42, v[44:45], off
	s_or_b32 exec_lo, exec_lo, s14
	v_mov_b32_e32 v43, 0
	s_and_saveexec_b32 s14, s4
	s_cbranch_execz .LBB121_18
.LBB121_23:                             ;   in Loop: Header=BB121_4 Depth=1
	v_add_co_u32 v43, s5, v12, s12
	s_delay_alu instid0(VALU_DEP_1)
	v_add_co_ci_u32_e64 v44, s5, s13, v13, s5
	global_load_u8 v43, v[43:44], off
	s_or_b32 exec_lo, exec_lo, s14
	s_and_saveexec_b32 s5, vcc_lo
	s_cbranch_execz .LBB121_19
.LBB121_24:                             ;   in Loop: Header=BB121_4 Depth=1
	s_waitcnt vmcnt(0)
	v_cvt_f32_ubyte0_e32 v36, v36
	v_cvt_f32_ubyte0_e32 v34, v34
	s_delay_alu instid0(VALU_DEP_2) | instskip(SKIP_2) | instid1(VALU_DEP_1)
	v_rcp_iflag_f32_e32 v44, v36
	s_waitcnt_depctr 0xfff
	v_mul_f32_e32 v44, v34, v44
	v_trunc_f32_e32 v44, v44
	s_delay_alu instid0(VALU_DEP_1) | instskip(SKIP_1) | instid1(VALU_DEP_2)
	v_fma_f32 v34, -v44, v36, v34
	v_cvt_u32_f32_e32 v44, v44
	v_cmp_ge_f32_e64 vcc_lo, |v34|, v36
	s_delay_alu instid0(VALU_DEP_2) | instskip(SKIP_2) | instid1(VALU_DEP_3)
	v_add_co_ci_u32_e32 v34, vcc_lo, 0, v44, vcc_lo
	v_add_co_u32 v44, vcc_lo, v1, s12
	v_add_co_ci_u32_e32 v45, vcc_lo, s13, v3, vcc_lo
	v_mad_u16 v32, v34, v2, v32
	global_store_b8 v[44:45], v32, off
	s_or_b32 exec_lo, exec_lo, s5
	s_and_saveexec_b32 s5, s2
	s_cbranch_execz .LBB121_20
.LBB121_25:                             ;   in Loop: Header=BB121_4 Depth=1
	s_waitcnt vmcnt(0)
	v_cvt_f32_ubyte0_e32 v32, v39
	v_cvt_f32_ubyte0_e32 v36, v37
	s_delay_alu instid0(VALU_DEP_2) | instskip(SKIP_2) | instid1(VALU_DEP_1)
	v_rcp_iflag_f32_e32 v34, v32
	s_waitcnt_depctr 0xfff
	v_mul_f32_e32 v34, v36, v34
	v_trunc_f32_e32 v34, v34
	s_delay_alu instid0(VALU_DEP_1) | instskip(SKIP_1) | instid1(VALU_DEP_2)
	v_fma_f32 v36, -v34, v32, v36
	v_cvt_u32_f32_e32 v34, v34
	v_cmp_ge_f32_e64 vcc_lo, |v36|, v32
	s_delay_alu instid0(VALU_DEP_2) | instskip(NEXT) | instid1(VALU_DEP_1)
	v_add_co_ci_u32_e32 v32, vcc_lo, 0, v34, vcc_lo
	v_mad_u16 v34, v32, v2, v33
	v_add_co_u32 v32, vcc_lo, v24, s12
	v_add_co_ci_u32_e32 v33, vcc_lo, s13, v25, vcc_lo
	global_store_b8 v[32:33], v34, off
	s_or_b32 exec_lo, exec_lo, s5
	s_and_saveexec_b32 s2, s3
	s_cbranch_execz .LBB121_21
.LBB121_26:                             ;   in Loop: Header=BB121_4 Depth=1
	s_waitcnt vmcnt(0)
	v_cvt_f32_ubyte0_e32 v32, v41
	v_cvt_f32_ubyte0_e32 v34, v40
	s_delay_alu instid0(VALU_DEP_2) | instskip(SKIP_2) | instid1(VALU_DEP_1)
	v_rcp_iflag_f32_e32 v33, v32
	s_waitcnt_depctr 0xfff
	v_mul_f32_e32 v33, v34, v33
	v_trunc_f32_e32 v33, v33
	s_delay_alu instid0(VALU_DEP_1) | instskip(SKIP_1) | instid1(VALU_DEP_2)
	v_fma_f32 v34, -v33, v32, v34
	v_cvt_u32_f32_e32 v33, v33
	v_cmp_ge_f32_e64 vcc_lo, |v34|, v32
	s_delay_alu instid0(VALU_DEP_2) | instskip(NEXT) | instid1(VALU_DEP_1)
	v_add_co_ci_u32_e32 v32, vcc_lo, 0, v33, vcc_lo
	v_mad_u16 v34, v32, v2, v35
	v_add_co_u32 v32, vcc_lo, v16, s12
	v_add_co_ci_u32_e32 v33, vcc_lo, s13, v17, vcc_lo
	global_store_b8 v[32:33], v34, off
	s_or_b32 exec_lo, exec_lo, s2
	s_and_saveexec_b32 s2, s4
	s_cbranch_execz .LBB121_3
.LBB121_27:                             ;   in Loop: Header=BB121_4 Depth=1
	s_waitcnt vmcnt(0)
	v_cvt_f32_ubyte0_e32 v32, v43
	v_cvt_f32_ubyte0_e32 v34, v42
	s_delay_alu instid0(VALU_DEP_2) | instskip(SKIP_2) | instid1(VALU_DEP_1)
	v_rcp_iflag_f32_e32 v33, v32
	s_waitcnt_depctr 0xfff
	v_mul_f32_e32 v33, v34, v33
	v_trunc_f32_e32 v33, v33
	s_delay_alu instid0(VALU_DEP_1) | instskip(SKIP_1) | instid1(VALU_DEP_2)
	v_fma_f32 v34, -v33, v32, v34
	v_cvt_u32_f32_e32 v33, v33
	v_cmp_ge_f32_e64 vcc_lo, |v34|, v32
	s_delay_alu instid0(VALU_DEP_2) | instskip(NEXT) | instid1(VALU_DEP_1)
	v_add_co_ci_u32_e32 v32, vcc_lo, 0, v33, vcc_lo
	v_mad_u16 v34, v32, v2, v38
	v_add_co_u32 v32, vcc_lo, v8, s12
	v_add_co_ci_u32_e32 v33, vcc_lo, s13, v9, vcc_lo
	global_store_b8 v[32:33], v34, off
	s_branch .LBB121_3
.LBB121_28:
	s_mov_b32 s10, 0
.LBB121_29:
	s_delay_alu instid0(SALU_CYCLE_1)
	s_and_not1_b32 vcc_lo, exec_lo, s10
	s_cbranch_vccnz .LBB121_33
; %bb.30:
	v_dual_mov_b32 v1, 0 :: v_dual_lshlrev_b32 v0, 2, v0
	s_mov_b32 s2, exec_lo
	s_delay_alu instid0(VALU_DEP_1)
	v_cmpx_gt_i64_e64 s[8:9], v[0:1]
	s_cbranch_execz .LBB121_33
; %bb.31:
	s_load_b32 s0, s[0:1], 0xc84
	s_mov_b32 s2, 0
	s_waitcnt lgkmcnt(0)
	s_and_b32 s0, s0, 0xffff
	s_delay_alu instid0(SALU_CYCLE_1)
	s_lshl_b32 s1, s0, 2
.LBB121_32:                             ; =>This Inner Loop Header: Depth=1
	v_add_co_u32 v3, vcc_lo, s16, v0
	v_add_co_ci_u32_e32 v4, vcc_lo, s17, v1, vcc_lo
	v_add_co_u32 v5, vcc_lo, s18, v0
	v_add_co_ci_u32_e32 v6, vcc_lo, s19, v1, vcc_lo
	;; [unrolled: 2-line block ×3, first 2 shown]
	global_load_b32 v3, v[3:4], off
	global_load_b32 v4, v[5:6], off
	global_load_b32 v5, v[7:8], off
	v_add_co_u32 v0, vcc_lo, s1, v0
	v_add_co_ci_u32_e32 v1, vcc_lo, 0, v1, vcc_lo
	s_delay_alu instid0(VALU_DEP_1)
	v_cmp_le_i64_e32 vcc_lo, s[8:9], v[0:1]
	s_waitcnt vmcnt(2)
	v_cvt_f32_ubyte0_e32 v6, v3
	s_waitcnt vmcnt(1)
	v_cvt_f32_ubyte0_e32 v9, v4
	v_cvt_f32_ubyte1_e32 v12, v4
	v_cvt_f32_ubyte2_e32 v15, v4
	v_cvt_f32_ubyte1_e32 v11, v3
	v_cvt_f32_ubyte3_e32 v4, v4
	v_rcp_iflag_f32_e32 v17, v9
	v_rcp_iflag_f32_e32 v18, v12
	;; [unrolled: 1-line block ×3, first 2 shown]
	v_cvt_f32_ubyte2_e32 v14, v3
	v_rcp_iflag_f32_e32 v20, v4
	v_cvt_f32_ubyte3_e32 v3, v3
	s_waitcnt vmcnt(0)
	v_lshrrev_b32_e32 v10, 8, v5
	v_lshrrev_b32_e32 v13, 16, v5
	;; [unrolled: 1-line block ×3, first 2 shown]
	s_delay_alu instid0(TRANS32_DEP_3) | instskip(SKIP_4) | instid1(VALU_DEP_3)
	v_dual_mul_f32 v17, v6, v17 :: v_dual_mul_f32 v18, v11, v18
	s_waitcnt_depctr 0xfff
	v_dual_mul_f32 v19, v14, v19 :: v_dual_mul_f32 v20, v3, v20
	v_trunc_f32_e32 v17, v17
	v_trunc_f32_e32 v18, v18
	;; [unrolled: 1-line block ×3, first 2 shown]
	s_delay_alu instid0(VALU_DEP_4) | instskip(NEXT) | instid1(VALU_DEP_4)
	v_trunc_f32_e32 v20, v20
	v_fma_f32 v6, -v17, v9, v6
	v_cvt_u32_f32_e32 v17, v17
	v_fma_f32 v11, -v18, v12, v11
	v_cvt_u32_f32_e32 v18, v18
	v_fma_f32 v14, -v19, v15, v14
	v_cmp_ge_f32_e64 s0, |v6|, v9
	v_cvt_u32_f32_e32 v19, v19
	v_fma_f32 v3, -v20, v4, v3
	v_cvt_u32_f32_e32 v20, v20
	s_delay_alu instid0(VALU_DEP_4) | instskip(SKIP_1) | instid1(VALU_DEP_2)
	v_add_co_ci_u32_e64 v6, s0, 0, v17, s0
	v_cmp_ge_f32_e64 s0, |v11|, v12
	v_mad_u16 v5, v6, v2, v5
	s_delay_alu instid0(VALU_DEP_2) | instskip(SKIP_1) | instid1(VALU_DEP_1)
	v_add_co_ci_u32_e64 v9, s0, 0, v18, s0
	v_cmp_ge_f32_e64 s0, |v14|, v15
	v_add_co_ci_u32_e64 v11, s0, 0, v19, s0
	v_cmp_ge_f32_e64 s0, |v3|, v4
	s_delay_alu instid0(VALU_DEP_4) | instskip(NEXT) | instid1(VALU_DEP_3)
	v_mad_u16 v4, v9, v2, v10
	v_mad_u16 v9, v11, v2, v13
	s_delay_alu instid0(VALU_DEP_3) | instskip(NEXT) | instid1(VALU_DEP_3)
	v_add_co_ci_u32_e64 v3, s0, 0, v20, s0
	v_and_b32_e32 v4, 0xff, v4
	s_delay_alu instid0(VALU_DEP_3) | instskip(SKIP_1) | instid1(VALU_DEP_4)
	v_and_b32_e32 v6, 0xff, v9
	v_cmp_lt_u64_e64 s0, 0xffff, v[0:1]
	v_mad_u16 v3, v3, v2, v16
	s_delay_alu instid0(VALU_DEP_4) | instskip(NEXT) | instid1(VALU_DEP_4)
	v_perm_b32 v4, v4, v5, 0x6050400
	v_lshlrev_b32_e32 v5, 16, v6
	s_delay_alu instid0(VALU_DEP_3) | instskip(SKIP_1) | instid1(SALU_CYCLE_1)
	v_lshlrev_b32_e32 v3, 24, v3
	s_or_b32 s0, vcc_lo, s0
	s_and_b32 s0, exec_lo, s0
	s_delay_alu instid0(VALU_DEP_1)
	v_or3_b32 v3, v4, v5, v3
	s_or_b32 s2, s0, s2
	global_store_b32 v[7:8], v3, off
	s_and_not1_b32 exec_lo, exec_lo, s2
	s_cbranch_execnz .LBB121_32
.LBB121_33:
	s_nop 0
	s_sendmsg sendmsg(MSG_DEALLOC_VGPRS)
	s_endpgm
	.section	.rodata,"a",@progbits
	.p2align	6, 0x0
	.amdhsa_kernel _ZN2at6native12_GLOBAL__N_125multi_tensor_apply_kernelINS1_28TensorListScalarListMetadataIhLi3EEENS1_28PointwiseOpScalarListFunctorIhLi3ELi3ELi0EEEJSt7dividesIhEEEEvT_T0_DpT1_
		.amdhsa_group_segment_fixed_size 0
		.amdhsa_private_segment_fixed_size 0
		.amdhsa_kernarg_size 3448
		.amdhsa_user_sgpr_count 15
		.amdhsa_user_sgpr_dispatch_ptr 0
		.amdhsa_user_sgpr_queue_ptr 0
		.amdhsa_user_sgpr_kernarg_segment_ptr 1
		.amdhsa_user_sgpr_dispatch_id 0
		.amdhsa_user_sgpr_private_segment_size 0
		.amdhsa_wavefront_size32 1
		.amdhsa_uses_dynamic_stack 0
		.amdhsa_enable_private_segment 0
		.amdhsa_system_sgpr_workgroup_id_x 1
		.amdhsa_system_sgpr_workgroup_id_y 0
		.amdhsa_system_sgpr_workgroup_id_z 0
		.amdhsa_system_sgpr_workgroup_info 0
		.amdhsa_system_vgpr_workitem_id 0
		.amdhsa_next_free_vgpr 46
		.amdhsa_next_free_sgpr 26
		.amdhsa_reserve_vcc 1
		.amdhsa_float_round_mode_32 0
		.amdhsa_float_round_mode_16_64 0
		.amdhsa_float_denorm_mode_32 3
		.amdhsa_float_denorm_mode_16_64 3
		.amdhsa_dx10_clamp 1
		.amdhsa_ieee_mode 1
		.amdhsa_fp16_overflow 0
		.amdhsa_workgroup_processor_mode 1
		.amdhsa_memory_ordered 1
		.amdhsa_forward_progress 0
		.amdhsa_shared_vgpr_count 0
		.amdhsa_exception_fp_ieee_invalid_op 0
		.amdhsa_exception_fp_denorm_src 0
		.amdhsa_exception_fp_ieee_div_zero 0
		.amdhsa_exception_fp_ieee_overflow 0
		.amdhsa_exception_fp_ieee_underflow 0
		.amdhsa_exception_fp_ieee_inexact 0
		.amdhsa_exception_int_div_zero 0
	.end_amdhsa_kernel
	.section	.text._ZN2at6native12_GLOBAL__N_125multi_tensor_apply_kernelINS1_28TensorListScalarListMetadataIhLi3EEENS1_28PointwiseOpScalarListFunctorIhLi3ELi3ELi0EEEJSt7dividesIhEEEEvT_T0_DpT1_,"axG",@progbits,_ZN2at6native12_GLOBAL__N_125multi_tensor_apply_kernelINS1_28TensorListScalarListMetadataIhLi3EEENS1_28PointwiseOpScalarListFunctorIhLi3ELi3ELi0EEEJSt7dividesIhEEEEvT_T0_DpT1_,comdat
.Lfunc_end121:
	.size	_ZN2at6native12_GLOBAL__N_125multi_tensor_apply_kernelINS1_28TensorListScalarListMetadataIhLi3EEENS1_28PointwiseOpScalarListFunctorIhLi3ELi3ELi0EEEJSt7dividesIhEEEEvT_T0_DpT1_, .Lfunc_end121-_ZN2at6native12_GLOBAL__N_125multi_tensor_apply_kernelINS1_28TensorListScalarListMetadataIhLi3EEENS1_28PointwiseOpScalarListFunctorIhLi3ELi3ELi0EEEJSt7dividesIhEEEEvT_T0_DpT1_
                                        ; -- End function
	.section	.AMDGPU.csdata,"",@progbits
; Kernel info:
; codeLenInByte = 2288
; NumSgprs: 28
; NumVgprs: 46
; ScratchSize: 0
; MemoryBound: 0
; FloatMode: 240
; IeeeMode: 1
; LDSByteSize: 0 bytes/workgroup (compile time only)
; SGPRBlocks: 3
; VGPRBlocks: 5
; NumSGPRsForWavesPerEU: 28
; NumVGPRsForWavesPerEU: 46
; Occupancy: 16
; WaveLimiterHint : 0
; COMPUTE_PGM_RSRC2:SCRATCH_EN: 0
; COMPUTE_PGM_RSRC2:USER_SGPR: 15
; COMPUTE_PGM_RSRC2:TRAP_HANDLER: 0
; COMPUTE_PGM_RSRC2:TGID_X_EN: 1
; COMPUTE_PGM_RSRC2:TGID_Y_EN: 0
; COMPUTE_PGM_RSRC2:TGID_Z_EN: 0
; COMPUTE_PGM_RSRC2:TIDIG_COMP_CNT: 0
	.section	.text._ZN2at6native12_GLOBAL__N_125multi_tensor_apply_kernelINS1_28TensorListScalarListMetadataIaLi3EEENS1_28PointwiseOpScalarListFunctorIaLi3ELi3ELi0EEEJSt7dividesIaEEEEvT_T0_DpT1_,"axG",@progbits,_ZN2at6native12_GLOBAL__N_125multi_tensor_apply_kernelINS1_28TensorListScalarListMetadataIaLi3EEENS1_28PointwiseOpScalarListFunctorIaLi3ELi3ELi0EEEJSt7dividesIaEEEEvT_T0_DpT1_,comdat
	.globl	_ZN2at6native12_GLOBAL__N_125multi_tensor_apply_kernelINS1_28TensorListScalarListMetadataIaLi3EEENS1_28PointwiseOpScalarListFunctorIaLi3ELi3ELi0EEEJSt7dividesIaEEEEvT_T0_DpT1_ ; -- Begin function _ZN2at6native12_GLOBAL__N_125multi_tensor_apply_kernelINS1_28TensorListScalarListMetadataIaLi3EEENS1_28PointwiseOpScalarListFunctorIaLi3ELi3ELi0EEEJSt7dividesIaEEEEvT_T0_DpT1_
	.p2align	8
	.type	_ZN2at6native12_GLOBAL__N_125multi_tensor_apply_kernelINS1_28TensorListScalarListMetadataIaLi3EEENS1_28PointwiseOpScalarListFunctorIaLi3ELi3ELi0EEEJSt7dividesIaEEEEvT_T0_DpT1_,@function
_ZN2at6native12_GLOBAL__N_125multi_tensor_apply_kernelINS1_28TensorListScalarListMetadataIaLi3EEENS1_28PointwiseOpScalarListFunctorIaLi3ELi3ELi0EEEJSt7dividesIaEEEEvT_T0_DpT1_: ; @_ZN2at6native12_GLOBAL__N_125multi_tensor_apply_kernelINS1_28TensorListScalarListMetadataIaLi3EEENS1_28PointwiseOpScalarListFunctorIaLi3ELi3ELi0EEEJSt7dividesIaEEEEvT_T0_DpT1_
; %bb.0:
	v_mov_b32_e32 v1, s15
	s_mul_i32 s4, s15, 3
	s_mul_hi_u32 s5, s15, 3
	global_load_u8 v3, v1, s[0:1] offset:1584
	s_waitcnt vmcnt(0)
	v_add_co_u32 v1, s2, s0, v3
	s_delay_alu instid0(VALU_DEP_1)
	v_add_co_ci_u32_e64 v2, null, s1, 0, s2
	s_add_u32 s2, s0, s15
	s_addc_u32 s3, s1, 0
	s_add_u32 s2, s2, s4
	global_load_u8 v2, v[1:2], off offset:1536
	s_addc_u32 s3, s3, s5
	v_readfirstlane_b32 s4, v3
	s_load_b32 s6, s[2:3], 0x770
	s_delay_alu instid0(VALU_DEP_1)
	s_lshl_b32 s7, s4, 3
	s_clause 0x3
	s_load_b64 s[12:13], s[0:1], s7 offset:0x0
	s_load_b64 s[4:5], s[0:1], s7 offset:0x180
	;; [unrolled: 1-line block ×4, first 2 shown]
	s_waitcnt lgkmcnt(0)
	s_ashr_i32 s7, s6, 31
	s_delay_alu instid0(SALU_CYCLE_1) | instskip(NEXT) | instid1(SALU_CYCLE_1)
	s_lshl_b64 s[14:15], s[6:7], 16
	s_add_u32 s6, s12, s14
	s_addc_u32 s7, s13, s15
	s_add_u32 s16, s4, s14
	s_addc_u32 s17, s5, s15
	;; [unrolled: 2-line block ×3, first 2 shown]
	s_or_b32 s8, s18, s16
	s_delay_alu instid0(SALU_CYCLE_1) | instskip(NEXT) | instid1(SALU_CYCLE_1)
	s_and_b32 s8, s8, 3
	s_cmp_eq_u32 s8, 0
	s_cselect_b32 s20, -1, 0
	s_sub_u32 s8, s10, s14
	s_subb_u32 s9, s11, s15
	s_or_b64 s[10:11], s[10:11], s[6:7]
	s_mov_b32 s11, 0
	s_and_b32 s10, s10, 3
	s_delay_alu instid0(SALU_CYCLE_1) | instskip(SKIP_1) | instid1(SALU_CYCLE_1)
	s_cmp_eq_u64 s[10:11], 0
	s_cselect_b32 s10, -1, 0
	s_and_b32 s10, s20, s10
	s_delay_alu instid0(SALU_CYCLE_1)
	s_and_b32 vcc_lo, exec_lo, s10
	s_mov_b32 s10, -1
	s_cbranch_vccnz .LBB122_29
; %bb.1:
	v_cmp_lt_i64_e64 s10, s[8:9], 1
	s_delay_alu instid0(VALU_DEP_1)
	s_and_b32 vcc_lo, exec_lo, s10
	s_cbranch_vccnz .LBB122_28
; %bb.2:
	s_load_b32 s10, s[0:1], 0xc84
	v_add_co_u32 v22, s11, s14, v0
	s_delay_alu instid0(VALU_DEP_1) | instskip(SKIP_1) | instid1(VALU_DEP_3)
	v_add_co_ci_u32_e64 v23, null, s15, 0, s11
	v_cmp_gt_u64_e64 s11, 0x10000, s[8:9]
	v_add_co_u32 v1, vcc_lo, s12, v22
	s_delay_alu instid0(VALU_DEP_3)
	v_add_co_ci_u32_e32 v3, vcc_lo, s13, v23, vcc_lo
	v_add_co_u32 v4, vcc_lo, s4, v22
	v_add_co_ci_u32_e32 v5, vcc_lo, s5, v23, vcc_lo
	v_add_co_u32 v6, vcc_lo, s2, v22
	v_add_co_ci_u32_e32 v7, vcc_lo, s3, v23, vcc_lo
	s_waitcnt lgkmcnt(0)
	s_and_b32 s21, s10, 0xffff
	s_and_b32 s10, s11, exec_lo
	s_mul_i32 s23, s21, 3
	s_cselect_b32 s11, s9, 0
	s_cselect_b32 s10, s8, 0x10000
	s_lshl_b32 s22, s21, 1
	s_lshl_b32 s20, s21, 2
	s_add_u32 s24, s14, s23
	s_addc_u32 s25, s15, 0
	v_add_co_u32 v12, s24, s24, v0
	s_delay_alu instid0(VALU_DEP_1) | instskip(SKIP_1) | instid1(VALU_DEP_2)
	v_add_co_ci_u32_e64 v13, null, s25, 0, s24
	s_add_u32 s14, s14, s22
	v_add_co_u32 v8, vcc_lo, s12, v12
	s_delay_alu instid0(VALU_DEP_2)
	v_add_co_ci_u32_e32 v9, vcc_lo, s13, v13, vcc_lo
	v_add_co_u32 v10, vcc_lo, s4, v12
	s_addc_u32 s15, s15, 0
	v_add_co_u32 v20, s14, s14, v0
	v_add_co_ci_u32_e32 v11, vcc_lo, s5, v13, vcc_lo
	v_add_co_u32 v12, vcc_lo, s2, v12
	v_add_co_ci_u32_e64 v21, null, s15, 0, s14
	v_add_co_ci_u32_e32 v13, vcc_lo, s3, v13, vcc_lo
	v_add_co_u32 v16, vcc_lo, s12, v20
	s_delay_alu instid0(VALU_DEP_3)
	v_add_co_ci_u32_e32 v17, vcc_lo, s13, v21, vcc_lo
	v_add_co_u32 v18, vcc_lo, s4, v20
	v_add_co_ci_u32_e32 v19, vcc_lo, s5, v21, vcc_lo
	v_add_co_u32 v20, vcc_lo, s2, v20
	;; [unrolled: 2-line block ×3, first 2 shown]
	v_add_co_ci_u32_e32 v29, vcc_lo, 0, v23, vcc_lo
	v_add_co_u32 v14, s14, s23, v0
	s_delay_alu instid0(VALU_DEP_3) | instskip(NEXT) | instid1(VALU_DEP_3)
	v_add_co_u32 v24, vcc_lo, s12, v28
	v_add_co_ci_u32_e32 v25, vcc_lo, s13, v29, vcc_lo
	v_add_co_u32 v26, vcc_lo, s4, v28
	v_add_co_ci_u32_e32 v27, vcc_lo, s5, v29, vcc_lo
	v_add_co_ci_u32_e64 v15, null, 0, 0, s14
	v_add_co_u32 v22, s14, s22, v0
	v_add_co_u32 v28, vcc_lo, s2, v28
	v_add_co_u32 v30, s2, v0, s21
	v_add_co_ci_u32_e64 v23, null, 0, 0, s14
	v_add_co_ci_u32_e32 v29, vcc_lo, s3, v29, vcc_lo
	v_add_co_ci_u32_e64 v31, null, 0, 0, s2
	s_mov_b64 s[12:13], 0
	s_branch .LBB122_4
.LBB122_3:                              ;   in Loop: Header=BB122_4 Depth=1
	s_or_b32 exec_lo, exec_lo, s2
	s_add_u32 s12, s12, s20
	s_addc_u32 s13, s13, 0
	s_delay_alu instid0(SALU_CYCLE_1) | instskip(SKIP_1) | instid1(VALU_DEP_1)
	v_cmp_lt_i64_e64 s2, s[12:13], s[8:9]
	v_cmp_gt_u64_e64 s3, 0x10000, s[12:13]
	s_and_b32 s2, s2, s3
	s_delay_alu instid0(SALU_CYCLE_1)
	s_and_b32 vcc_lo, exec_lo, s2
	s_cbranch_vccz .LBB122_28
.LBB122_4:                              ; =>This Inner Loop Header: Depth=1
	s_waitcnt vmcnt(1)
	v_add_co_u32 v32, s2, v0, s12
	s_delay_alu instid0(VALU_DEP_1) | instskip(SKIP_2) | instid1(VALU_DEP_2)
	v_add_co_ci_u32_e64 v33, null, 0, s13, s2
	s_waitcnt vmcnt(0)
	v_mov_b32_e32 v35, 0
	v_cmp_gt_u64_e32 vcc_lo, s[10:11], v[32:33]
	v_mov_b32_e32 v33, 0
	s_and_saveexec_b32 s3, vcc_lo
	s_cbranch_execz .LBB122_6
; %bb.5:                                ;   in Loop: Header=BB122_4 Depth=1
	v_add_co_u32 v32, s2, v1, s12
	s_delay_alu instid0(VALU_DEP_1) | instskip(SKIP_1) | instid1(VALU_DEP_1)
	v_add_co_ci_u32_e64 v33, s2, s13, v3, s2
	v_add_co_u32 v34, s2, v4, s12
	v_add_co_ci_u32_e64 v35, s2, s13, v5, s2
	global_load_u8 v33, v[32:33], off
	global_load_u8 v35, v[34:35], off
.LBB122_6:                              ;   in Loop: Header=BB122_4 Depth=1
	s_or_b32 exec_lo, exec_lo, s3
	v_mov_b32_e32 v32, 0
	v_mov_b32_e32 v38, 0
	s_and_saveexec_b32 s3, vcc_lo
	s_cbranch_execz .LBB122_8
; %bb.7:                                ;   in Loop: Header=BB122_4 Depth=1
	v_add_co_u32 v36, s2, v6, s12
	s_delay_alu instid0(VALU_DEP_1)
	v_add_co_ci_u32_e64 v37, s2, s13, v7, s2
	global_load_u8 v38, v[36:37], off
.LBB122_8:                              ;   in Loop: Header=BB122_4 Depth=1
	s_or_b32 exec_lo, exec_lo, s3
	v_add_co_u32 v36, s2, v30, s12
	s_delay_alu instid0(VALU_DEP_1) | instskip(NEXT) | instid1(VALU_DEP_1)
	v_add_co_ci_u32_e64 v37, s2, s13, v31, s2
	v_cmp_gt_u64_e64 s2, s[10:11], v[36:37]
	v_mov_b32_e32 v37, 0
	s_delay_alu instid0(VALU_DEP_2)
	s_and_saveexec_b32 s4, s2
	s_cbranch_execz .LBB122_10
; %bb.9:                                ;   in Loop: Header=BB122_4 Depth=1
	v_add_co_u32 v36, s3, v24, s12
	s_delay_alu instid0(VALU_DEP_1) | instskip(SKIP_1) | instid1(VALU_DEP_1)
	v_add_co_ci_u32_e64 v37, s3, s13, v25, s3
	v_add_co_u32 v39, s3, v26, s12
	v_add_co_ci_u32_e64 v40, s3, s13, v27, s3
	global_load_u8 v32, v[36:37], off
	global_load_u8 v37, v[39:40], off
.LBB122_10:                             ;   in Loop: Header=BB122_4 Depth=1
	s_or_b32 exec_lo, exec_lo, s4
	v_mov_b32_e32 v34, 0
	v_mov_b32_e32 v40, 0
	s_and_saveexec_b32 s4, s2
	s_cbranch_execz .LBB122_12
; %bb.11:                               ;   in Loop: Header=BB122_4 Depth=1
	v_add_co_u32 v39, s3, v28, s12
	s_delay_alu instid0(VALU_DEP_1)
	v_add_co_ci_u32_e64 v40, s3, s13, v29, s3
	global_load_u8 v40, v[39:40], off
.LBB122_12:                             ;   in Loop: Header=BB122_4 Depth=1
	s_or_b32 exec_lo, exec_lo, s4
	v_add_co_u32 v41, s3, v22, s12
	s_delay_alu instid0(VALU_DEP_1) | instskip(SKIP_1) | instid1(VALU_DEP_2)
	v_add_co_ci_u32_e64 v42, s3, s13, v23, s3
	v_mov_b32_e32 v39, 0
	v_cmp_gt_u64_e64 s3, s[10:11], v[41:42]
	s_delay_alu instid0(VALU_DEP_1)
	s_and_saveexec_b32 s5, s3
	s_cbranch_execz .LBB122_14
; %bb.13:                               ;   in Loop: Header=BB122_4 Depth=1
	v_add_co_u32 v41, s4, v16, s12
	s_delay_alu instid0(VALU_DEP_1) | instskip(SKIP_1) | instid1(VALU_DEP_1)
	v_add_co_ci_u32_e64 v42, s4, s13, v17, s4
	v_add_co_u32 v43, s4, v18, s12
	v_add_co_ci_u32_e64 v44, s4, s13, v19, s4
	global_load_u8 v34, v[41:42], off
	global_load_u8 v39, v[43:44], off
.LBB122_14:                             ;   in Loop: Header=BB122_4 Depth=1
	s_or_b32 exec_lo, exec_lo, s5
	v_mov_b32_e32 v36, 0
	v_mov_b32_e32 v42, 0
	s_and_saveexec_b32 s5, s3
	s_cbranch_execz .LBB122_16
; %bb.15:                               ;   in Loop: Header=BB122_4 Depth=1
	v_add_co_u32 v41, s4, v20, s12
	s_delay_alu instid0(VALU_DEP_1)
	v_add_co_ci_u32_e64 v42, s4, s13, v21, s4
	global_load_u8 v42, v[41:42], off
.LBB122_16:                             ;   in Loop: Header=BB122_4 Depth=1
	s_or_b32 exec_lo, exec_lo, s5
	v_add_co_u32 v43, s4, v14, s12
	s_delay_alu instid0(VALU_DEP_1) | instskip(SKIP_1) | instid1(VALU_DEP_2)
	v_add_co_ci_u32_e64 v44, s4, s13, v15, s4
	v_mov_b32_e32 v41, 0
	v_cmp_gt_u64_e64 s4, s[10:11], v[43:44]
	s_delay_alu instid0(VALU_DEP_1)
	s_and_saveexec_b32 s14, s4
	s_cbranch_execnz .LBB122_22
; %bb.17:                               ;   in Loop: Header=BB122_4 Depth=1
	s_or_b32 exec_lo, exec_lo, s14
	v_mov_b32_e32 v43, 0
	s_and_saveexec_b32 s14, s4
	s_cbranch_execnz .LBB122_23
.LBB122_18:                             ;   in Loop: Header=BB122_4 Depth=1
	s_or_b32 exec_lo, exec_lo, s14
	s_and_saveexec_b32 s5, vcc_lo
	s_cbranch_execnz .LBB122_24
.LBB122_19:                             ;   in Loop: Header=BB122_4 Depth=1
	s_or_b32 exec_lo, exec_lo, s5
	s_and_saveexec_b32 s5, s2
	s_cbranch_execnz .LBB122_25
.LBB122_20:                             ;   in Loop: Header=BB122_4 Depth=1
	s_or_b32 exec_lo, exec_lo, s5
	s_and_saveexec_b32 s2, s3
	s_cbranch_execnz .LBB122_26
.LBB122_21:                             ;   in Loop: Header=BB122_4 Depth=1
	s_or_b32 exec_lo, exec_lo, s2
	s_and_saveexec_b32 s2, s4
	s_cbranch_execz .LBB122_3
	s_branch .LBB122_27
.LBB122_22:                             ;   in Loop: Header=BB122_4 Depth=1
	v_add_co_u32 v43, s5, v8, s12
	s_delay_alu instid0(VALU_DEP_1) | instskip(SKIP_1) | instid1(VALU_DEP_1)
	v_add_co_ci_u32_e64 v44, s5, s13, v9, s5
	v_add_co_u32 v45, s5, v10, s12
	v_add_co_ci_u32_e64 v46, s5, s13, v11, s5
	global_load_u8 v36, v[43:44], off
	global_load_u8 v41, v[45:46], off
	s_or_b32 exec_lo, exec_lo, s14
	v_mov_b32_e32 v43, 0
	s_and_saveexec_b32 s14, s4
	s_cbranch_execz .LBB122_18
.LBB122_23:                             ;   in Loop: Header=BB122_4 Depth=1
	v_add_co_u32 v43, s5, v12, s12
	s_delay_alu instid0(VALU_DEP_1)
	v_add_co_ci_u32_e64 v44, s5, s13, v13, s5
	global_load_u8 v43, v[43:44], off
	s_or_b32 exec_lo, exec_lo, s14
	s_and_saveexec_b32 s5, vcc_lo
	s_cbranch_execz .LBB122_19
.LBB122_24:                             ;   in Loop: Header=BB122_4 Depth=1
	s_waitcnt vmcnt(0)
	v_bfe_i32 v38, v38, 0, 8
	v_bfe_i32 v35, v35, 0, 8
	s_delay_alu instid0(VALU_DEP_2) | instskip(NEXT) | instid1(VALU_DEP_2)
	v_cvt_f32_i32_e32 v44, v38
	v_cvt_f32_i32_e32 v46, v35
	v_xor_b32_e32 v35, v35, v38
	s_delay_alu instid0(VALU_DEP_3) | instskip(NEXT) | instid1(VALU_DEP_1)
	v_rcp_iflag_f32_e32 v45, v44
	v_ashrrev_i32_e32 v35, 30, v35
	s_delay_alu instid0(VALU_DEP_1) | instskip(SKIP_2) | instid1(VALU_DEP_1)
	v_or_b32_e32 v35, 1, v35
	s_waitcnt_depctr 0xfff
	v_mul_f32_e32 v45, v46, v45
	v_trunc_f32_e32 v38, v45
	s_delay_alu instid0(VALU_DEP_1) | instskip(SKIP_1) | instid1(VALU_DEP_2)
	v_fma_f32 v45, -v38, v44, v46
	v_cvt_i32_f32_e32 v38, v38
	v_cmp_ge_f32_e64 vcc_lo, |v45|, |v44|
	v_cndmask_b32_e32 v35, 0, v35, vcc_lo
	v_add_co_u32 v44, vcc_lo, v1, s12
	v_add_co_ci_u32_e32 v45, vcc_lo, s13, v3, vcc_lo
	s_delay_alu instid0(VALU_DEP_3) | instskip(NEXT) | instid1(VALU_DEP_1)
	v_add_nc_u32_e32 v35, v38, v35
	v_mad_u16 v33, v2, v35, v33
	global_store_b8 v[44:45], v33, off
	s_or_b32 exec_lo, exec_lo, s5
	s_and_saveexec_b32 s5, s2
	s_cbranch_execz .LBB122_20
.LBB122_25:                             ;   in Loop: Header=BB122_4 Depth=1
	s_waitcnt vmcnt(0)
	v_bfe_i32 v33, v40, 0, 8
	v_bfe_i32 v37, v37, 0, 8
	s_delay_alu instid0(VALU_DEP_2) | instskip(NEXT) | instid1(VALU_DEP_2)
	v_cvt_f32_i32_e32 v35, v33
	v_xor_b32_e32 v33, v37, v33
	v_cvt_f32_i32_e32 v40, v37
	s_delay_alu instid0(VALU_DEP_3) | instskip(NEXT) | instid1(VALU_DEP_2)
	v_rcp_iflag_f32_e32 v38, v35
	v_ashrrev_i32_e32 v33, 30, v33
	s_delay_alu instid0(VALU_DEP_1) | instskip(SKIP_2) | instid1(VALU_DEP_1)
	v_or_b32_e32 v33, 1, v33
	s_waitcnt_depctr 0xfff
	v_mul_f32_e32 v38, v40, v38
	v_trunc_f32_e32 v37, v38
	s_delay_alu instid0(VALU_DEP_1) | instskip(SKIP_1) | instid1(VALU_DEP_2)
	v_fma_f32 v38, -v37, v35, v40
	v_cvt_i32_f32_e32 v37, v37
	v_cmp_ge_f32_e64 vcc_lo, |v38|, |v35|
	v_cndmask_b32_e32 v33, 0, v33, vcc_lo
	s_delay_alu instid0(VALU_DEP_1) | instskip(NEXT) | instid1(VALU_DEP_1)
	v_add_nc_u32_e32 v33, v37, v33
	v_mad_u16 v35, v2, v33, v32
	v_add_co_u32 v32, vcc_lo, v24, s12
	v_add_co_ci_u32_e32 v33, vcc_lo, s13, v25, vcc_lo
	global_store_b8 v[32:33], v35, off
	s_or_b32 exec_lo, exec_lo, s5
	s_and_saveexec_b32 s2, s3
	s_cbranch_execz .LBB122_21
.LBB122_26:                             ;   in Loop: Header=BB122_4 Depth=1
	s_waitcnt vmcnt(0)
	v_bfe_i32 v32, v42, 0, 8
	v_bfe_i32 v35, v39, 0, 8
	s_delay_alu instid0(VALU_DEP_2) | instskip(NEXT) | instid1(VALU_DEP_2)
	v_cvt_f32_i32_e32 v33, v32
	v_xor_b32_e32 v32, v35, v32
	v_cvt_f32_i32_e32 v38, v35
	s_delay_alu instid0(VALU_DEP_3) | instskip(NEXT) | instid1(VALU_DEP_2)
	v_rcp_iflag_f32_e32 v37, v33
	v_ashrrev_i32_e32 v32, 30, v32
	s_delay_alu instid0(VALU_DEP_1) | instskip(SKIP_2) | instid1(VALU_DEP_1)
	v_or_b32_e32 v32, 1, v32
	s_waitcnt_depctr 0xfff
	v_mul_f32_e32 v37, v38, v37
	v_trunc_f32_e32 v35, v37
	s_delay_alu instid0(VALU_DEP_1) | instskip(SKIP_1) | instid1(VALU_DEP_2)
	v_fma_f32 v37, -v35, v33, v38
	v_cvt_i32_f32_e32 v35, v35
	v_cmp_ge_f32_e64 vcc_lo, |v37|, |v33|
	v_cndmask_b32_e32 v32, 0, v32, vcc_lo
	s_delay_alu instid0(VALU_DEP_1) | instskip(NEXT) | instid1(VALU_DEP_1)
	v_add_nc_u32_e32 v32, v35, v32
	v_mad_u16 v34, v2, v32, v34
	v_add_co_u32 v32, vcc_lo, v16, s12
	v_add_co_ci_u32_e32 v33, vcc_lo, s13, v17, vcc_lo
	global_store_b8 v[32:33], v34, off
	s_or_b32 exec_lo, exec_lo, s2
	s_and_saveexec_b32 s2, s4
	s_cbranch_execz .LBB122_3
.LBB122_27:                             ;   in Loop: Header=BB122_4 Depth=1
	s_waitcnt vmcnt(0)
	v_bfe_i32 v32, v43, 0, 8
	v_bfe_i32 v34, v41, 0, 8
	s_delay_alu instid0(VALU_DEP_2) | instskip(NEXT) | instid1(VALU_DEP_2)
	v_cvt_f32_i32_e32 v33, v32
	v_xor_b32_e32 v32, v34, v32
	v_cvt_f32_i32_e32 v37, v34
	s_delay_alu instid0(VALU_DEP_3) | instskip(NEXT) | instid1(VALU_DEP_2)
	v_rcp_iflag_f32_e32 v35, v33
	v_ashrrev_i32_e32 v32, 30, v32
	s_delay_alu instid0(VALU_DEP_1) | instskip(SKIP_2) | instid1(VALU_DEP_1)
	v_or_b32_e32 v32, 1, v32
	s_waitcnt_depctr 0xfff
	v_mul_f32_e32 v35, v37, v35
	v_trunc_f32_e32 v34, v35
	s_delay_alu instid0(VALU_DEP_1) | instskip(SKIP_1) | instid1(VALU_DEP_2)
	v_fma_f32 v35, -v34, v33, v37
	v_cvt_i32_f32_e32 v34, v34
	v_cmp_ge_f32_e64 vcc_lo, |v35|, |v33|
	v_cndmask_b32_e32 v32, 0, v32, vcc_lo
	s_delay_alu instid0(VALU_DEP_1) | instskip(NEXT) | instid1(VALU_DEP_1)
	v_add_nc_u32_e32 v32, v34, v32
	v_mad_u16 v34, v2, v32, v36
	v_add_co_u32 v32, vcc_lo, v8, s12
	v_add_co_ci_u32_e32 v33, vcc_lo, s13, v9, vcc_lo
	global_store_b8 v[32:33], v34, off
	s_branch .LBB122_3
.LBB122_28:
	s_mov_b32 s10, 0
.LBB122_29:
	s_delay_alu instid0(SALU_CYCLE_1)
	s_and_not1_b32 vcc_lo, exec_lo, s10
	s_cbranch_vccnz .LBB122_33
; %bb.30:
	v_dual_mov_b32 v1, 0 :: v_dual_lshlrev_b32 v0, 2, v0
	s_mov_b32 s2, exec_lo
	s_delay_alu instid0(VALU_DEP_1)
	v_cmpx_gt_i64_e64 s[8:9], v[0:1]
	s_cbranch_execz .LBB122_33
; %bb.31:
	s_load_b32 s0, s[0:1], 0xc84
	s_mov_b32 s2, 0
	s_waitcnt lgkmcnt(0)
	s_and_b32 s0, s0, 0xffff
	s_delay_alu instid0(SALU_CYCLE_1)
	s_lshl_b32 s1, s0, 2
.LBB122_32:                             ; =>This Inner Loop Header: Depth=1
	v_add_co_u32 v3, vcc_lo, s16, v0
	v_add_co_ci_u32_e32 v4, vcc_lo, s17, v1, vcc_lo
	v_add_co_u32 v5, vcc_lo, s18, v0
	v_add_co_ci_u32_e32 v6, vcc_lo, s19, v1, vcc_lo
	;; [unrolled: 2-line block ×3, first 2 shown]
	global_load_b32 v3, v[3:4], off
	global_load_b32 v4, v[5:6], off
	;; [unrolled: 1-line block ×3, first 2 shown]
	v_add_co_u32 v0, vcc_lo, s1, v0
	v_add_co_ci_u32_e32 v1, vcc_lo, 0, v1, vcc_lo
	s_delay_alu instid0(VALU_DEP_1)
	v_cmp_le_i64_e32 vcc_lo, s[8:9], v[0:1]
	s_waitcnt vmcnt(2)
	v_bfe_i32 v6, v3, 0, 8
	s_waitcnt vmcnt(1)
	v_bfe_i32 v9, v4, 0, 8
	v_bfe_i32 v11, v3, 8, 8
	;; [unrolled: 1-line block ×5, first 2 shown]
	v_xor_b32_e32 v17, v6, v9
	v_cvt_f32_i32_e32 v9, v9
	v_xor_b32_e32 v18, v11, v12
	v_cvt_f32_i32_e32 v12, v12
	v_ashrrev_i32_e32 v3, 24, v3
	v_ashrrev_i32_e32 v4, 24, v4
	v_xor_b32_e32 v19, v14, v15
	v_cvt_f32_i32_e32 v15, v15
	v_rcp_iflag_f32_e32 v21, v9
	v_rcp_iflag_f32_e32 v22, v12
	v_cvt_f32_i32_e32 v6, v6
	v_cvt_f32_i32_e32 v11, v11
	v_xor_b32_e32 v20, v3, v4
	v_cvt_f32_i32_e32 v4, v4
	v_rcp_iflag_f32_e32 v23, v15
	v_cvt_f32_i32_e32 v14, v14
	v_cvt_f32_i32_e32 v3, v3
	v_ashrrev_i32_e32 v18, 30, v18
	v_rcp_iflag_f32_e32 v24, v4
	v_dual_mul_f32 v21, v6, v21 :: v_dual_mul_f32 v22, v11, v22
	v_ashrrev_i32_e32 v19, 30, v19
	s_delay_alu instid0(VALU_DEP_3) | instskip(SKIP_1) | instid1(TRANS32_DEP_2)
	v_or_b32_e32 v18, 1, v18
	v_ashrrev_i32_e32 v17, 30, v17
	v_mul_f32_e32 v23, v14, v23
	v_trunc_f32_e32 v22, v22
	v_trunc_f32_e32 v21, v21
	v_or_b32_e32 v19, 1, v19
	s_delay_alu instid0(TRANS32_DEP_1)
	v_mul_f32_e32 v24, v3, v24
	v_trunc_f32_e32 v23, v23
	v_fma_f32 v11, -v22, v12, v11
	v_fma_f32 v6, -v21, v9, v6
	v_ashrrev_i32_e32 v20, 30, v20
	v_trunc_f32_e32 v24, v24
	v_fma_f32 v14, -v23, v15, v14
	v_cmp_ge_f32_e64 s0, |v11|, |v12|
	v_or_b32_e32 v17, 1, v17
	v_or_b32_e32 v20, 1, v20
	v_fma_f32 v3, -v24, v4, v3
	v_cvt_i32_f32_e32 v22, v22
	v_cndmask_b32_e64 v11, 0, v18, s0
	v_cmp_ge_f32_e64 s0, |v14|, |v15|
	v_cvt_i32_f32_e32 v23, v23
	s_waitcnt vmcnt(0)
	v_lshrrev_b32_e32 v10, 8, v5
	v_lshrrev_b32_e32 v13, 16, v5
	v_cvt_i32_f32_e32 v21, v21
	v_cndmask_b32_e64 v12, 0, v19, s0
	v_cmp_ge_f32_e64 s0, |v6|, |v9|
	v_cvt_i32_f32_e32 v24, v24
	v_lshrrev_b32_e32 v16, 24, v5
	s_delay_alu instid0(VALU_DEP_4) | instskip(NEXT) | instid1(VALU_DEP_4)
	v_add_nc_u32_e32 v9, v23, v12
	v_cndmask_b32_e64 v6, 0, v17, s0
	v_cmp_ge_f32_e64 s0, |v3|, |v4|
	v_add_nc_u32_e32 v4, v22, v11
	s_delay_alu instid0(VALU_DEP_4) | instskip(NEXT) | instid1(VALU_DEP_4)
	v_mad_u16 v9, v2, v9, v13
	v_add_nc_u32_e32 v6, v21, v6
	s_delay_alu instid0(VALU_DEP_4) | instskip(NEXT) | instid1(VALU_DEP_4)
	v_cndmask_b32_e64 v3, 0, v20, s0
	v_mad_u16 v4, v2, v4, v10
	v_cmp_lt_u64_e64 s0, 0xffff, v[0:1]
	s_delay_alu instid0(VALU_DEP_4) | instskip(NEXT) | instid1(VALU_DEP_4)
	v_mad_u16 v5, v2, v6, v5
	v_add_nc_u32_e32 v3, v24, v3
	s_delay_alu instid0(VALU_DEP_4) | instskip(SKIP_2) | instid1(VALU_DEP_3)
	v_and_b32_e32 v4, 0xff, v4
	v_and_b32_e32 v6, 0xff, v9
	s_or_b32 s0, vcc_lo, s0
	v_mad_u16 v3, v2, v3, v16
	s_delay_alu instid0(VALU_DEP_3) | instskip(NEXT) | instid1(VALU_DEP_3)
	v_perm_b32 v4, v4, v5, 0x6050400
	v_lshlrev_b32_e32 v5, 16, v6
	s_and_b32 s0, exec_lo, s0
	s_delay_alu instid0(VALU_DEP_3) | instskip(SKIP_1) | instid1(VALU_DEP_1)
	v_lshlrev_b32_e32 v3, 24, v3
	s_or_b32 s2, s0, s2
	v_or3_b32 v3, v4, v5, v3
	global_store_b32 v[7:8], v3, off
	s_and_not1_b32 exec_lo, exec_lo, s2
	s_cbranch_execnz .LBB122_32
.LBB122_33:
	s_nop 0
	s_sendmsg sendmsg(MSG_DEALLOC_VGPRS)
	s_endpgm
	.section	.rodata,"a",@progbits
	.p2align	6, 0x0
	.amdhsa_kernel _ZN2at6native12_GLOBAL__N_125multi_tensor_apply_kernelINS1_28TensorListScalarListMetadataIaLi3EEENS1_28PointwiseOpScalarListFunctorIaLi3ELi3ELi0EEEJSt7dividesIaEEEEvT_T0_DpT1_
		.amdhsa_group_segment_fixed_size 0
		.amdhsa_private_segment_fixed_size 0
		.amdhsa_kernarg_size 3448
		.amdhsa_user_sgpr_count 15
		.amdhsa_user_sgpr_dispatch_ptr 0
		.amdhsa_user_sgpr_queue_ptr 0
		.amdhsa_user_sgpr_kernarg_segment_ptr 1
		.amdhsa_user_sgpr_dispatch_id 0
		.amdhsa_user_sgpr_private_segment_size 0
		.amdhsa_wavefront_size32 1
		.amdhsa_uses_dynamic_stack 0
		.amdhsa_enable_private_segment 0
		.amdhsa_system_sgpr_workgroup_id_x 1
		.amdhsa_system_sgpr_workgroup_id_y 0
		.amdhsa_system_sgpr_workgroup_id_z 0
		.amdhsa_system_sgpr_workgroup_info 0
		.amdhsa_system_vgpr_workitem_id 0
		.amdhsa_next_free_vgpr 47
		.amdhsa_next_free_sgpr 26
		.amdhsa_reserve_vcc 1
		.amdhsa_float_round_mode_32 0
		.amdhsa_float_round_mode_16_64 0
		.amdhsa_float_denorm_mode_32 3
		.amdhsa_float_denorm_mode_16_64 3
		.amdhsa_dx10_clamp 1
		.amdhsa_ieee_mode 1
		.amdhsa_fp16_overflow 0
		.amdhsa_workgroup_processor_mode 1
		.amdhsa_memory_ordered 1
		.amdhsa_forward_progress 0
		.amdhsa_shared_vgpr_count 0
		.amdhsa_exception_fp_ieee_invalid_op 0
		.amdhsa_exception_fp_denorm_src 0
		.amdhsa_exception_fp_ieee_div_zero 0
		.amdhsa_exception_fp_ieee_overflow 0
		.amdhsa_exception_fp_ieee_underflow 0
		.amdhsa_exception_fp_ieee_inexact 0
		.amdhsa_exception_int_div_zero 0
	.end_amdhsa_kernel
	.section	.text._ZN2at6native12_GLOBAL__N_125multi_tensor_apply_kernelINS1_28TensorListScalarListMetadataIaLi3EEENS1_28PointwiseOpScalarListFunctorIaLi3ELi3ELi0EEEJSt7dividesIaEEEEvT_T0_DpT1_,"axG",@progbits,_ZN2at6native12_GLOBAL__N_125multi_tensor_apply_kernelINS1_28TensorListScalarListMetadataIaLi3EEENS1_28PointwiseOpScalarListFunctorIaLi3ELi3ELi0EEEJSt7dividesIaEEEEvT_T0_DpT1_,comdat
.Lfunc_end122:
	.size	_ZN2at6native12_GLOBAL__N_125multi_tensor_apply_kernelINS1_28TensorListScalarListMetadataIaLi3EEENS1_28PointwiseOpScalarListFunctorIaLi3ELi3ELi0EEEJSt7dividesIaEEEEvT_T0_DpT1_, .Lfunc_end122-_ZN2at6native12_GLOBAL__N_125multi_tensor_apply_kernelINS1_28TensorListScalarListMetadataIaLi3EEENS1_28PointwiseOpScalarListFunctorIaLi3ELi3ELi0EEEJSt7dividesIaEEEEvT_T0_DpT1_
                                        ; -- End function
	.section	.AMDGPU.csdata,"",@progbits
; Kernel info:
; codeLenInByte = 2560
; NumSgprs: 28
; NumVgprs: 47
; ScratchSize: 0
; MemoryBound: 0
; FloatMode: 240
; IeeeMode: 1
; LDSByteSize: 0 bytes/workgroup (compile time only)
; SGPRBlocks: 3
; VGPRBlocks: 5
; NumSGPRsForWavesPerEU: 28
; NumVGPRsForWavesPerEU: 47
; Occupancy: 16
; WaveLimiterHint : 0
; COMPUTE_PGM_RSRC2:SCRATCH_EN: 0
; COMPUTE_PGM_RSRC2:USER_SGPR: 15
; COMPUTE_PGM_RSRC2:TRAP_HANDLER: 0
; COMPUTE_PGM_RSRC2:TGID_X_EN: 1
; COMPUTE_PGM_RSRC2:TGID_Y_EN: 0
; COMPUTE_PGM_RSRC2:TGID_Z_EN: 0
; COMPUTE_PGM_RSRC2:TIDIG_COMP_CNT: 0
	.section	.text._ZN2at6native12_GLOBAL__N_125multi_tensor_apply_kernelINS1_28TensorListScalarListMetadataIiLi3EEENS1_28PointwiseOpScalarListFunctorIiLi3ELi3ELi0EEEJSt7dividesIiEEEEvT_T0_DpT1_,"axG",@progbits,_ZN2at6native12_GLOBAL__N_125multi_tensor_apply_kernelINS1_28TensorListScalarListMetadataIiLi3EEENS1_28PointwiseOpScalarListFunctorIiLi3ELi3ELi0EEEJSt7dividesIiEEEEvT_T0_DpT1_,comdat
	.globl	_ZN2at6native12_GLOBAL__N_125multi_tensor_apply_kernelINS1_28TensorListScalarListMetadataIiLi3EEENS1_28PointwiseOpScalarListFunctorIiLi3ELi3ELi0EEEJSt7dividesIiEEEEvT_T0_DpT1_ ; -- Begin function _ZN2at6native12_GLOBAL__N_125multi_tensor_apply_kernelINS1_28TensorListScalarListMetadataIiLi3EEENS1_28PointwiseOpScalarListFunctorIiLi3ELi3ELi0EEEJSt7dividesIiEEEEvT_T0_DpT1_
	.p2align	8
	.type	_ZN2at6native12_GLOBAL__N_125multi_tensor_apply_kernelINS1_28TensorListScalarListMetadataIiLi3EEENS1_28PointwiseOpScalarListFunctorIiLi3ELi3ELi0EEEJSt7dividesIiEEEEvT_T0_DpT1_,@function
_ZN2at6native12_GLOBAL__N_125multi_tensor_apply_kernelINS1_28TensorListScalarListMetadataIiLi3EEENS1_28PointwiseOpScalarListFunctorIiLi3ELi3ELi0EEEJSt7dividesIiEEEEvT_T0_DpT1_: ; @_ZN2at6native12_GLOBAL__N_125multi_tensor_apply_kernelINS1_28TensorListScalarListMetadataIiLi3EEENS1_28PointwiseOpScalarListFunctorIiLi3ELi3ELi0EEEJSt7dividesIiEEEEvT_T0_DpT1_
; %bb.0:
	v_mov_b32_e32 v1, s15
	s_add_u32 s2, s0, s15
	s_mul_i32 s3, s15, 3
	s_mul_hi_u32 s4, s15, 3
	s_addc_u32 s5, s1, 0
	global_load_u8 v1, v1, s[0:1] offset:1728
	s_add_u32 s2, s2, s3
	s_addc_u32 s3, s5, s4
	s_load_b32 s6, s[2:3], 0x800
	s_waitcnt lgkmcnt(0)
	s_ashr_i32 s7, s6, 31
	s_waitcnt vmcnt(0)
	v_readfirstlane_b32 s2, v1
	v_lshlrev_b32_e32 v1, 2, v1
	s_delay_alu instid0(VALU_DEP_2)
	s_lshl_b32 s8, s2, 3
	s_clause 0x2
	s_load_b64 s[2:3], s[0:1], s8 offset:0x0
	s_load_b64 s[4:5], s[0:1], s8 offset:0x180
	;; [unrolled: 1-line block ×3, first 2 shown]
	s_add_u32 s9, s0, s8
	s_addc_u32 s10, s1, 0
	v_sub_co_u32 v1, s9, s9, v1
	s_delay_alu instid0(VALU_DEP_1) | instskip(SKIP_1) | instid1(VALU_DEP_2)
	v_sub_co_ci_u32_e64 v2, null, s10, 0, s9
	s_load_b64 s[10:11], s[0:1], s8 offset:0x480
	v_readfirstlane_b32 s20, v1
	s_delay_alu instid0(VALU_DEP_2)
	v_readfirstlane_b32 s21, v2
	s_load_b32 s20, s[20:21], 0x600
	s_lshl_b64 s[8:9], s[6:7], 18
	s_waitcnt lgkmcnt(0)
	s_add_u32 s14, s2, s8
	s_addc_u32 s15, s3, s9
	s_and_b32 s22, s14, 15
	s_add_u32 s16, s4, s8
	s_addc_u32 s17, s5, s9
	s_add_u32 s18, s12, s8
	s_addc_u32 s19, s13, s9
	s_or_b32 s23, s18, s16
	s_delay_alu instid0(SALU_CYCLE_1) | instskip(NEXT) | instid1(SALU_CYCLE_1)
	s_and_b32 s23, s23, 15
	s_cmp_eq_u32 s23, 0
	s_cselect_b32 s21, -1, 0
	s_lshl_b64 s[6:7], s[6:7], 16
	s_delay_alu instid0(SALU_CYCLE_1) | instskip(SKIP_4) | instid1(SALU_CYCLE_1)
	s_sub_u32 s6, s10, s6
	s_subb_u32 s7, s11, s7
	s_and_b32 s10, s10, 3
	s_mov_b32 s11, 0
	s_or_b32 s10, s22, s10
	s_cmp_eq_u64 s[10:11], 0
	s_cselect_b32 s10, -1, 0
	s_delay_alu instid0(SALU_CYCLE_1) | instskip(NEXT) | instid1(SALU_CYCLE_1)
	s_and_b32 s10, s21, s10
	s_and_b32 vcc_lo, exec_lo, s10
	s_mov_b32 s10, -1
	s_cbranch_vccnz .LBB123_29
; %bb.1:
	v_cmp_lt_i64_e64 s10, s[6:7], 1
	s_delay_alu instid0(VALU_DEP_1)
	s_and_b32 vcc_lo, exec_lo, s10
	s_cbranch_vccnz .LBB123_28
; %bb.2:
	s_load_b32 s10, s[0:1], 0xd14
	v_dual_mov_b32 v2, 0 :: v_dual_lshlrev_b32 v1, 2, v0
	v_cmp_gt_u64_e64 s11, 0x10000, s[6:7]
	s_delay_alu instid0(VALU_DEP_2) | instskip(NEXT) | instid1(VALU_DEP_1)
	v_add_co_u32 v5, s21, s2, v1
	v_add_co_ci_u32_e64 v6, null, s3, 0, s21
	v_add_co_u32 v7, s21, s4, v1
	s_delay_alu instid0(VALU_DEP_1)
	v_add_co_ci_u32_e64 v8, null, s5, 0, s21
	s_waitcnt lgkmcnt(0)
	s_and_b32 s22, s10, 0xffff
	v_add_co_u32 v9, s10, s12, v1
	v_mad_u64_u32 v[3:4], null, s22, 12, v[1:2]
	v_add_co_ci_u32_e64 v10, null, s13, 0, s10
	s_and_b32 s10, s11, exec_lo
	s_cselect_b32 s11, s7, 0
	s_cselect_b32 s10, s6, 0x10000
	s_lshl_b32 s24, s22, 3
	s_delay_alu instid0(VALU_DEP_2) | instskip(NEXT) | instid1(VALU_DEP_3)
	v_add_co_u32 v11, vcc_lo, s2, v3
	v_add_co_ci_u32_e32 v12, vcc_lo, s3, v4, vcc_lo
	v_add_co_u32 v13, vcc_lo, s4, v3
	v_add_co_u32 v1, s24, s24, v1
	v_add_co_ci_u32_e32 v14, vcc_lo, s5, v4, vcc_lo
	s_mul_i32 s23, s22, 3
	v_add_co_u32 v15, vcc_lo, s12, v3
	v_add_co_ci_u32_e64 v2, null, 0, 0, s24
	v_add_co_ci_u32_e32 v16, vcc_lo, s13, v4, vcc_lo
	v_add_co_u32 v17, s23, s23, v0
	v_add_co_u32 v19, vcc_lo, s2, v1
	v_add_co_ci_u32_e64 v18, null, 0, 0, s23
	v_add_co_u32 v23, s23, v0, s22
	v_add_co_ci_u32_e32 v20, vcc_lo, s3, v2, vcc_lo
	v_add_co_u32 v21, vcc_lo, s4, v1
	v_add_co_ci_u32_e32 v22, vcc_lo, s5, v2, vcc_lo
	v_add_co_u32 v24, vcc_lo, s12, v1
	v_lshlrev_b32_e32 v1, 2, v23
	s_lshl_b32 s21, s22, 1
	v_add_co_ci_u32_e32 v25, vcc_lo, s13, v2, vcc_lo
	v_add_co_u32 v27, s21, s21, v0
	s_delay_alu instid0(VALU_DEP_3) | instskip(NEXT) | instid1(VALU_DEP_1)
	v_add_co_u32 v29, s2, s2, v1
	v_add_co_ci_u32_e64 v30, null, s3, 0, s2
	v_add_co_u32 v31, s2, s4, v1
	s_delay_alu instid0(VALU_DEP_1)
	v_add_co_ci_u32_e64 v32, null, s5, 0, s2
	v_add_co_u32 v33, s2, s12, v1
	v_add_co_ci_u32_e64 v26, null, 0, 0, s23
	v_add_co_ci_u32_e64 v28, null, 0, 0, s21
	;; [unrolled: 1-line block ×3, first 2 shown]
	s_lshl_b32 s21, s22, 2
	s_lshl_b32 s22, s22, 4
	s_mov_b64 s[12:13], 0
	s_branch .LBB123_4
.LBB123_3:                              ;   in Loop: Header=BB123_4 Depth=1
	s_or_b32 exec_lo, exec_lo, s2
	v_add_co_u32 v5, vcc_lo, v5, s22
	v_add_co_ci_u32_e32 v6, vcc_lo, 0, v6, vcc_lo
	v_add_co_u32 v7, vcc_lo, v7, s22
	v_add_co_ci_u32_e32 v8, vcc_lo, 0, v8, vcc_lo
	;; [unrolled: 2-line block ×9, first 2 shown]
	s_add_u32 s12, s12, s21
	v_add_co_u32 v29, vcc_lo, v29, s22
	s_addc_u32 s13, s13, 0
	v_add_co_ci_u32_e32 v30, vcc_lo, 0, v30, vcc_lo
	v_cmp_lt_i64_e64 s2, s[12:13], s[6:7]
	v_cmp_gt_u64_e64 s3, 0x10000, s[12:13]
	v_add_co_u32 v31, vcc_lo, v31, s22
	v_add_co_ci_u32_e32 v32, vcc_lo, 0, v32, vcc_lo
	v_add_co_u32 v33, vcc_lo, v33, s22
	v_add_co_ci_u32_e32 v34, vcc_lo, 0, v34, vcc_lo
	s_and_b32 s2, s2, s3
	s_delay_alu instid0(SALU_CYCLE_1)
	s_and_b32 vcc_lo, exec_lo, s2
	s_cbranch_vccz .LBB123_28
.LBB123_4:                              ; =>This Inner Loop Header: Depth=1
	s_waitcnt vmcnt(1)
	v_add_co_u32 v1, s2, v0, s12
	s_delay_alu instid0(VALU_DEP_1) | instskip(SKIP_3) | instid1(VALU_DEP_3)
	v_add_co_ci_u32_e64 v2, null, 0, s13, s2
	v_mov_b32_e32 v4, 0
	s_waitcnt vmcnt(0)
	v_mov_b32_e32 v38, 0
	v_cmp_gt_u64_e64 s4, s[10:11], v[1:2]
	s_delay_alu instid0(VALU_DEP_1)
	s_and_saveexec_b32 s2, s4
	s_cbranch_execz .LBB123_6
; %bb.5:                                ;   in Loop: Header=BB123_4 Depth=1
	v_add_co_u32 v1, vcc_lo, v5, s8
	v_add_co_ci_u32_e32 v2, vcc_lo, s9, v6, vcc_lo
	v_add_co_u32 v35, vcc_lo, v7, s8
	v_add_co_ci_u32_e32 v36, vcc_lo, s9, v8, vcc_lo
	global_load_b32 v4, v[1:2], off
	global_load_b32 v38, v[35:36], off
.LBB123_6:                              ;   in Loop: Header=BB123_4 Depth=1
	s_or_b32 exec_lo, exec_lo, s2
	v_dual_mov_b32 v3, 0 :: v_dual_mov_b32 v42, 0
	s_and_saveexec_b32 s2, s4
	s_cbranch_execz .LBB123_8
; %bb.7:                                ;   in Loop: Header=BB123_4 Depth=1
	v_add_co_u32 v1, vcc_lo, v9, s8
	v_add_co_ci_u32_e32 v2, vcc_lo, s9, v10, vcc_lo
	global_load_b32 v42, v[1:2], off
.LBB123_8:                              ;   in Loop: Header=BB123_4 Depth=1
	s_or_b32 exec_lo, exec_lo, s2
	v_add_co_u32 v1, vcc_lo, v23, s12
	v_add_co_ci_u32_e32 v2, vcc_lo, s13, v26, vcc_lo
	v_mov_b32_e32 v37, 0
	s_delay_alu instid0(VALU_DEP_2) | instskip(NEXT) | instid1(VALU_DEP_1)
	v_cmp_gt_u64_e64 s3, s[10:11], v[1:2]
	s_and_saveexec_b32 s2, s3
	s_cbranch_execz .LBB123_10
; %bb.9:                                ;   in Loop: Header=BB123_4 Depth=1
	v_add_co_u32 v1, vcc_lo, v29, s8
	v_add_co_ci_u32_e32 v2, vcc_lo, s9, v30, vcc_lo
	v_add_co_u32 v35, vcc_lo, v31, s8
	v_add_co_ci_u32_e32 v36, vcc_lo, s9, v32, vcc_lo
	global_load_b32 v3, v[1:2], off
	global_load_b32 v37, v[35:36], off
.LBB123_10:                             ;   in Loop: Header=BB123_4 Depth=1
	s_or_b32 exec_lo, exec_lo, s2
	v_dual_mov_b32 v2, 0 :: v_dual_mov_b32 v41, 0
	s_and_saveexec_b32 s2, s3
	s_cbranch_execz .LBB123_12
; %bb.11:                               ;   in Loop: Header=BB123_4 Depth=1
	v_add_co_u32 v35, vcc_lo, v33, s8
	v_add_co_ci_u32_e32 v36, vcc_lo, s9, v34, vcc_lo
	global_load_b32 v41, v[35:36], off
.LBB123_12:                             ;   in Loop: Header=BB123_4 Depth=1
	s_or_b32 exec_lo, exec_lo, s2
	v_add_co_u32 v35, vcc_lo, v27, s12
	v_add_co_ci_u32_e32 v36, vcc_lo, s13, v28, vcc_lo
	s_delay_alu instid0(VALU_DEP_1) | instskip(SKIP_1) | instid1(VALU_DEP_2)
	v_cmp_gt_u64_e64 s2, s[10:11], v[35:36]
	v_mov_b32_e32 v36, 0
	s_and_saveexec_b32 s5, s2
	s_cbranch_execz .LBB123_14
; %bb.13:                               ;   in Loop: Header=BB123_4 Depth=1
	v_add_co_u32 v1, vcc_lo, v19, s8
	v_add_co_ci_u32_e32 v2, vcc_lo, s9, v20, vcc_lo
	v_add_co_u32 v35, vcc_lo, v21, s8
	v_add_co_ci_u32_e32 v36, vcc_lo, s9, v22, vcc_lo
	global_load_b32 v2, v[1:2], off
	global_load_b32 v36, v[35:36], off
.LBB123_14:                             ;   in Loop: Header=BB123_4 Depth=1
	s_or_b32 exec_lo, exec_lo, s5
	v_dual_mov_b32 v1, 0 :: v_dual_mov_b32 v40, 0
	s_and_saveexec_b32 s5, s2
	s_cbranch_execz .LBB123_16
; %bb.15:                               ;   in Loop: Header=BB123_4 Depth=1
	v_add_co_u32 v39, vcc_lo, v24, s8
	v_add_co_ci_u32_e32 v40, vcc_lo, s9, v25, vcc_lo
	global_load_b32 v40, v[39:40], off
.LBB123_16:                             ;   in Loop: Header=BB123_4 Depth=1
	s_or_b32 exec_lo, exec_lo, s5
	v_add_co_u32 v43, vcc_lo, v17, s12
	v_add_co_ci_u32_e32 v44, vcc_lo, s13, v18, vcc_lo
	v_mov_b32_e32 v35, 0
	s_delay_alu instid0(VALU_DEP_2)
	v_cmp_gt_u64_e32 vcc_lo, s[10:11], v[43:44]
	s_and_saveexec_b32 s23, vcc_lo
	s_cbranch_execnz .LBB123_22
; %bb.17:                               ;   in Loop: Header=BB123_4 Depth=1
	s_or_b32 exec_lo, exec_lo, s23
	v_mov_b32_e32 v39, 0
	s_and_saveexec_b32 s23, vcc_lo
	s_cbranch_execnz .LBB123_23
.LBB123_18:                             ;   in Loop: Header=BB123_4 Depth=1
	s_or_b32 exec_lo, exec_lo, s23
	s_and_saveexec_b32 s5, s4
	s_cbranch_execnz .LBB123_24
.LBB123_19:                             ;   in Loop: Header=BB123_4 Depth=1
	s_or_b32 exec_lo, exec_lo, s5
	s_and_saveexec_b32 s4, s3
	s_cbranch_execnz .LBB123_25
.LBB123_20:                             ;   in Loop: Header=BB123_4 Depth=1
	s_or_b32 exec_lo, exec_lo, s4
	s_and_saveexec_b32 s3, s2
	s_cbranch_execnz .LBB123_26
.LBB123_21:                             ;   in Loop: Header=BB123_4 Depth=1
	s_or_b32 exec_lo, exec_lo, s3
	s_and_saveexec_b32 s2, vcc_lo
	s_cbranch_execz .LBB123_3
	s_branch .LBB123_27
.LBB123_22:                             ;   in Loop: Header=BB123_4 Depth=1
	v_add_co_u32 v43, s5, v11, s8
	s_delay_alu instid0(VALU_DEP_1) | instskip(SKIP_1) | instid1(VALU_DEP_1)
	v_add_co_ci_u32_e64 v44, s5, s9, v12, s5
	v_add_co_u32 v45, s5, v13, s8
	v_add_co_ci_u32_e64 v46, s5, s9, v14, s5
	global_load_b32 v1, v[43:44], off
	global_load_b32 v35, v[45:46], off
	s_or_b32 exec_lo, exec_lo, s23
	v_mov_b32_e32 v39, 0
	s_and_saveexec_b32 s23, vcc_lo
	s_cbranch_execz .LBB123_18
.LBB123_23:                             ;   in Loop: Header=BB123_4 Depth=1
	v_add_co_u32 v43, s5, v15, s8
	s_delay_alu instid0(VALU_DEP_1)
	v_add_co_ci_u32_e64 v44, s5, s9, v16, s5
	global_load_b32 v39, v[43:44], off
	s_or_b32 exec_lo, exec_lo, s23
	s_and_saveexec_b32 s5, s4
	s_cbranch_execz .LBB123_19
.LBB123_24:                             ;   in Loop: Header=BB123_4 Depth=1
	s_waitcnt vmcnt(0)
	v_sub_nc_u32_e32 v43, 0, v42
	v_sub_nc_u32_e32 v46, 0, v38
	s_delay_alu instid0(VALU_DEP_2) | instskip(NEXT) | instid1(VALU_DEP_2)
	v_max_i32_e32 v43, v42, v43
	v_max_i32_e32 v46, v38, v46
	v_xor_b32_e32 v38, v38, v42
	s_delay_alu instid0(VALU_DEP_3) | instskip(SKIP_1) | instid1(VALU_DEP_3)
	v_cvt_f32_u32_e32 v44, v43
	v_sub_nc_u32_e32 v45, 0, v43
	v_ashrrev_i32_e32 v38, 31, v38
	s_delay_alu instid0(VALU_DEP_3) | instskip(SKIP_2) | instid1(VALU_DEP_1)
	v_rcp_iflag_f32_e32 v44, v44
	s_waitcnt_depctr 0xfff
	v_mul_f32_e32 v44, 0x4f7ffffe, v44
	v_cvt_u32_f32_e32 v44, v44
	s_delay_alu instid0(VALU_DEP_1) | instskip(NEXT) | instid1(VALU_DEP_1)
	v_mul_lo_u32 v45, v45, v44
	v_mul_hi_u32 v45, v44, v45
	s_delay_alu instid0(VALU_DEP_1) | instskip(NEXT) | instid1(VALU_DEP_1)
	v_add_nc_u32_e32 v44, v44, v45
	v_mul_hi_u32 v44, v46, v44
	s_delay_alu instid0(VALU_DEP_1) | instskip(NEXT) | instid1(VALU_DEP_1)
	v_mul_lo_u32 v45, v44, v43
	v_sub_nc_u32_e32 v45, v46, v45
	v_add_nc_u32_e32 v46, 1, v44
	s_delay_alu instid0(VALU_DEP_2) | instskip(SKIP_1) | instid1(VALU_DEP_1)
	v_sub_nc_u32_e32 v47, v45, v43
	v_cmp_ge_u32_e64 s4, v45, v43
	v_cndmask_b32_e64 v44, v44, v46, s4
	s_delay_alu instid0(VALU_DEP_3) | instskip(NEXT) | instid1(VALU_DEP_2)
	v_cndmask_b32_e64 v42, v45, v47, s4
	v_add_nc_u32_e32 v45, 1, v44
	s_delay_alu instid0(VALU_DEP_2) | instskip(NEXT) | instid1(VALU_DEP_1)
	v_cmp_ge_u32_e64 s4, v42, v43
	v_cndmask_b32_e64 v42, v44, v45, s4
	s_delay_alu instid0(VALU_DEP_1) | instskip(NEXT) | instid1(VALU_DEP_1)
	v_xor_b32_e32 v42, v42, v38
	v_sub_nc_u32_e32 v38, v42, v38
	s_delay_alu instid0(VALU_DEP_1) | instskip(SKIP_1) | instid1(VALU_DEP_1)
	v_mad_u64_u32 v[42:43], null, v38, s20, v[4:5]
	v_add_co_u32 v43, s4, v5, s8
	v_add_co_ci_u32_e64 v44, s4, s9, v6, s4
	global_store_b32 v[43:44], v42, off
	s_or_b32 exec_lo, exec_lo, s5
	s_and_saveexec_b32 s4, s3
	s_cbranch_execz .LBB123_20
.LBB123_25:                             ;   in Loop: Header=BB123_4 Depth=1
	s_waitcnt vmcnt(0)
	v_sub_nc_u32_e32 v4, 0, v41
	v_sub_nc_u32_e32 v43, 0, v37
	s_delay_alu instid0(VALU_DEP_2) | instskip(NEXT) | instid1(VALU_DEP_2)
	v_max_i32_e32 v4, v41, v4
	v_max_i32_e32 v43, v37, v43
	v_xor_b32_e32 v37, v37, v41
	s_delay_alu instid0(VALU_DEP_3) | instskip(SKIP_1) | instid1(VALU_DEP_3)
	v_cvt_f32_u32_e32 v38, v4
	v_sub_nc_u32_e32 v42, 0, v4
	v_ashrrev_i32_e32 v37, 31, v37
	s_delay_alu instid0(VALU_DEP_3) | instskip(SKIP_2) | instid1(VALU_DEP_1)
	v_rcp_iflag_f32_e32 v38, v38
	s_waitcnt_depctr 0xfff
	v_mul_f32_e32 v38, 0x4f7ffffe, v38
	v_cvt_u32_f32_e32 v38, v38
	s_delay_alu instid0(VALU_DEP_1) | instskip(NEXT) | instid1(VALU_DEP_1)
	v_mul_lo_u32 v42, v42, v38
	v_mul_hi_u32 v42, v38, v42
	s_delay_alu instid0(VALU_DEP_1) | instskip(NEXT) | instid1(VALU_DEP_1)
	v_add_nc_u32_e32 v38, v38, v42
	v_mul_hi_u32 v38, v43, v38
	s_delay_alu instid0(VALU_DEP_1) | instskip(NEXT) | instid1(VALU_DEP_1)
	v_mul_lo_u32 v42, v38, v4
	v_sub_nc_u32_e32 v42, v43, v42
	v_add_nc_u32_e32 v43, 1, v38
	s_delay_alu instid0(VALU_DEP_2) | instskip(SKIP_1) | instid1(VALU_DEP_1)
	v_sub_nc_u32_e32 v44, v42, v4
	v_cmp_ge_u32_e64 s3, v42, v4
	v_cndmask_b32_e64 v38, v38, v43, s3
	s_delay_alu instid0(VALU_DEP_3) | instskip(NEXT) | instid1(VALU_DEP_2)
	v_cndmask_b32_e64 v41, v42, v44, s3
	v_add_nc_u32_e32 v42, 1, v38
	s_delay_alu instid0(VALU_DEP_2) | instskip(NEXT) | instid1(VALU_DEP_1)
	v_cmp_ge_u32_e64 s3, v41, v4
	v_cndmask_b32_e64 v4, v38, v42, s3
	s_delay_alu instid0(VALU_DEP_1) | instskip(NEXT) | instid1(VALU_DEP_1)
	v_xor_b32_e32 v4, v4, v37
	v_sub_nc_u32_e32 v4, v4, v37
	s_delay_alu instid0(VALU_DEP_1) | instskip(SKIP_1) | instid1(VALU_DEP_1)
	v_mad_u64_u32 v[37:38], null, v4, s20, v[3:4]
	v_add_co_u32 v3, s3, v29, s8
	v_add_co_ci_u32_e64 v4, s3, s9, v30, s3
	global_store_b32 v[3:4], v37, off
	s_or_b32 exec_lo, exec_lo, s4
	s_and_saveexec_b32 s3, s2
	s_cbranch_execz .LBB123_21
.LBB123_26:                             ;   in Loop: Header=BB123_4 Depth=1
	s_waitcnt vmcnt(0)
	v_sub_nc_u32_e32 v3, 0, v40
	v_sub_nc_u32_e32 v38, 0, v36
	s_delay_alu instid0(VALU_DEP_2) | instskip(NEXT) | instid1(VALU_DEP_2)
	v_max_i32_e32 v3, v40, v3
	v_max_i32_e32 v38, v36, v38
	v_xor_b32_e32 v36, v36, v40
	s_delay_alu instid0(VALU_DEP_3) | instskip(SKIP_1) | instid1(VALU_DEP_3)
	v_cvt_f32_u32_e32 v4, v3
	v_sub_nc_u32_e32 v37, 0, v3
	v_ashrrev_i32_e32 v36, 31, v36
	s_delay_alu instid0(VALU_DEP_3) | instskip(SKIP_2) | instid1(VALU_DEP_1)
	v_rcp_iflag_f32_e32 v4, v4
	s_waitcnt_depctr 0xfff
	v_mul_f32_e32 v4, 0x4f7ffffe, v4
	v_cvt_u32_f32_e32 v4, v4
	s_delay_alu instid0(VALU_DEP_1) | instskip(NEXT) | instid1(VALU_DEP_1)
	v_mul_lo_u32 v37, v37, v4
	v_mul_hi_u32 v37, v4, v37
	s_delay_alu instid0(VALU_DEP_1) | instskip(NEXT) | instid1(VALU_DEP_1)
	v_add_nc_u32_e32 v4, v4, v37
	v_mul_hi_u32 v4, v38, v4
	s_delay_alu instid0(VALU_DEP_1) | instskip(NEXT) | instid1(VALU_DEP_1)
	v_mul_lo_u32 v37, v4, v3
	v_sub_nc_u32_e32 v37, v38, v37
	v_add_nc_u32_e32 v38, 1, v4
	s_delay_alu instid0(VALU_DEP_2) | instskip(SKIP_1) | instid1(VALU_DEP_1)
	v_sub_nc_u32_e32 v41, v37, v3
	v_cmp_ge_u32_e64 s2, v37, v3
	v_cndmask_b32_e64 v4, v4, v38, s2
	s_delay_alu instid0(VALU_DEP_3) | instskip(NEXT) | instid1(VALU_DEP_2)
	v_cndmask_b32_e64 v37, v37, v41, s2
	v_add_nc_u32_e32 v38, 1, v4
	s_delay_alu instid0(VALU_DEP_2) | instskip(NEXT) | instid1(VALU_DEP_1)
	v_cmp_ge_u32_e64 s2, v37, v3
	v_cndmask_b32_e64 v3, v4, v38, s2
	s_delay_alu instid0(VALU_DEP_1) | instskip(NEXT) | instid1(VALU_DEP_1)
	v_xor_b32_e32 v3, v3, v36
	v_sub_nc_u32_e32 v36, v3, v36
	s_delay_alu instid0(VALU_DEP_1) | instskip(SKIP_1) | instid1(VALU_DEP_1)
	v_mad_u64_u32 v[3:4], null, v36, s20, v[2:3]
	v_add_co_u32 v36, s2, v19, s8
	v_add_co_ci_u32_e64 v37, s2, s9, v20, s2
	global_store_b32 v[36:37], v3, off
	s_or_b32 exec_lo, exec_lo, s3
	s_and_saveexec_b32 s2, vcc_lo
	s_cbranch_execz .LBB123_3
.LBB123_27:                             ;   in Loop: Header=BB123_4 Depth=1
	s_waitcnt vmcnt(0)
	v_sub_nc_u32_e32 v2, 0, v39
	v_sub_nc_u32_e32 v36, 0, v35
	s_delay_alu instid0(VALU_DEP_2) | instskip(NEXT) | instid1(VALU_DEP_2)
	v_max_i32_e32 v2, v39, v2
	v_max_i32_e32 v36, v35, v36
	v_xor_b32_e32 v35, v35, v39
	s_delay_alu instid0(VALU_DEP_3) | instskip(SKIP_1) | instid1(VALU_DEP_3)
	v_cvt_f32_u32_e32 v3, v2
	v_sub_nc_u32_e32 v4, 0, v2
	v_ashrrev_i32_e32 v35, 31, v35
	s_delay_alu instid0(VALU_DEP_3) | instskip(SKIP_2) | instid1(VALU_DEP_1)
	v_rcp_iflag_f32_e32 v3, v3
	s_waitcnt_depctr 0xfff
	v_mul_f32_e32 v3, 0x4f7ffffe, v3
	v_cvt_u32_f32_e32 v3, v3
	s_delay_alu instid0(VALU_DEP_1) | instskip(NEXT) | instid1(VALU_DEP_1)
	v_mul_lo_u32 v4, v4, v3
	v_mul_hi_u32 v4, v3, v4
	s_delay_alu instid0(VALU_DEP_1) | instskip(NEXT) | instid1(VALU_DEP_1)
	v_add_nc_u32_e32 v3, v3, v4
	v_mul_hi_u32 v3, v36, v3
	s_delay_alu instid0(VALU_DEP_1) | instskip(NEXT) | instid1(VALU_DEP_1)
	v_mul_lo_u32 v4, v3, v2
	v_sub_nc_u32_e32 v4, v36, v4
	v_add_nc_u32_e32 v36, 1, v3
	s_delay_alu instid0(VALU_DEP_2) | instskip(SKIP_1) | instid1(VALU_DEP_2)
	v_sub_nc_u32_e32 v37, v4, v2
	v_cmp_ge_u32_e32 vcc_lo, v4, v2
	v_dual_cndmask_b32 v4, v4, v37 :: v_dual_cndmask_b32 v3, v3, v36
	s_delay_alu instid0(VALU_DEP_1) | instskip(NEXT) | instid1(VALU_DEP_2)
	v_cmp_ge_u32_e32 vcc_lo, v4, v2
	v_add_nc_u32_e32 v36, 1, v3
	s_delay_alu instid0(VALU_DEP_1) | instskip(NEXT) | instid1(VALU_DEP_1)
	v_cndmask_b32_e32 v2, v3, v36, vcc_lo
	v_xor_b32_e32 v2, v2, v35
	s_delay_alu instid0(VALU_DEP_1) | instskip(NEXT) | instid1(VALU_DEP_1)
	v_sub_nc_u32_e32 v4, v2, v35
	v_mad_u64_u32 v[2:3], null, v4, s20, v[1:2]
	v_add_co_u32 v3, vcc_lo, v11, s8
	v_add_co_ci_u32_e32 v4, vcc_lo, s9, v12, vcc_lo
	global_store_b32 v[3:4], v2, off
	s_branch .LBB123_3
.LBB123_28:
	s_mov_b32 s10, 0
.LBB123_29:
	s_delay_alu instid0(SALU_CYCLE_1)
	s_and_not1_b32 vcc_lo, exec_lo, s10
	s_cbranch_vccnz .LBB123_33
; %bb.30:
	s_waitcnt vmcnt(1)
	v_dual_mov_b32 v2, 0 :: v_dual_lshlrev_b32 v1, 2, v0
	s_mov_b32 s3, 0
	s_mov_b32 s2, exec_lo
	s_delay_alu instid0(VALU_DEP_1)
	v_cmpx_gt_i64_e64 s[6:7], v[1:2]
	s_cbranch_execz .LBB123_33
; %bb.31:
	s_load_b32 s0, s[0:1], 0xd14
	s_waitcnt lgkmcnt(0)
	s_and_b32 s0, s0, 0xffff
	s_delay_alu instid0(SALU_CYCLE_1)
	v_add_lshl_u32 v1, v0, s0, 2
	v_lshlrev_b32_e32 v0, 4, v0
	s_lshl_b32 s4, s0, 2
	s_lshl_b32 s5, s0, 4
.LBB123_32:                             ; =>This Inner Loop Header: Depth=1
	s_delay_alu instid0(VALU_DEP_1) | instskip(NEXT) | instid1(VALU_DEP_1)
	v_add_co_u32 v3, s0, s16, v0
	v_add_co_ci_u32_e64 v4, null, s17, 0, s0
	v_add_co_u32 v7, s0, s18, v0
	s_delay_alu instid0(VALU_DEP_1) | instskip(SKIP_1) | instid1(VALU_DEP_1)
	v_add_co_ci_u32_e64 v8, null, s19, 0, s0
	v_add_co_u32 v15, s0, s14, v0
	v_add_co_ci_u32_e64 v16, null, s15, 0, s0
	global_load_b128 v[3:6], v[3:4], off
	global_load_b128 v[7:10], v[7:8], off
	;; [unrolled: 1-line block ×3, first 2 shown]
	v_cmp_le_i64_e32 vcc_lo, s[6:7], v[1:2]
	v_cmp_lt_u64_e64 s0, 0xffff, v[1:2]
	v_add_co_u32 v1, s1, v1, s4
	s_delay_alu instid0(VALU_DEP_1) | instskip(NEXT) | instid1(VALU_DEP_3)
	v_add_co_ci_u32_e64 v2, s1, 0, v2, s1
	s_or_b32 s8, vcc_lo, s0
	s_add_u32 s14, s14, s5
	s_addc_u32 s15, s15, 0
	s_add_u32 s18, s18, s5
	s_addc_u32 s19, s19, 0
	s_add_u32 s16, s16, s5
	s_addc_u32 s17, s17, 0
	s_waitcnt vmcnt(2)
	v_sub_nc_u32_e32 v22, 0, v4
	s_waitcnt vmcnt(1)
	v_sub_nc_u32_e32 v20, 0, v7
	v_xor_b32_e32 v18, v3, v7
	v_xor_b32_e32 v21, v4, v8
	v_sub_nc_u32_e32 v23, 0, v8
	v_max_i32_e32 v4, v4, v22
	v_max_i32_e32 v7, v7, v20
	v_sub_nc_u32_e32 v29, 0, v10
	v_xor_b32_e32 v27, v6, v10
	v_max_i32_e32 v8, v8, v23
	v_sub_nc_u32_e32 v28, 0, v6
	v_cvt_f32_u32_e32 v22, v7
	v_sub_nc_u32_e32 v23, 0, v7
	v_max_i32_e32 v10, v10, v29
	v_sub_nc_u32_e32 v19, 0, v3
	v_max_i32_e32 v6, v6, v28
	v_rcp_iflag_f32_e32 v22, v22
	s_waitcnt vmcnt(0)
	v_mov_b32_e32 v17, v14
	v_cvt_f32_u32_e32 v28, v10
	v_max_i32_e32 v3, v3, v19
	v_xor_b32_e32 v24, v5, v9
	v_sub_nc_u32_e32 v29, 0, v10
	v_sub_nc_u32_e32 v26, 0, v9
	v_rcp_iflag_f32_e32 v28, v28
	v_sub_nc_u32_e32 v25, 0, v5
	v_ashrrev_i32_e32 v20, 31, v24
	v_mul_f32_e32 v22, 0x4f7ffffe, v22
	v_cvt_f32_u32_e32 v24, v8
	v_max_i32_e32 v9, v9, v26
	v_max_i32_e32 v5, v5, v25
	v_sub_nc_u32_e32 v25, 0, v8
	v_cvt_u32_f32_e32 v22, v22
	v_rcp_iflag_f32_e32 v24, v24
	v_cvt_f32_u32_e32 v26, v9
	v_ashrrev_i32_e32 v19, 31, v21
	v_ashrrev_i32_e32 v21, 31, v27
	v_mul_lo_u32 v23, v23, v22
	v_sub_nc_u32_e32 v27, 0, v9
	v_rcp_iflag_f32_e32 v26, v26
	v_ashrrev_i32_e32 v18, 31, v18
	s_delay_alu instid0(VALU_DEP_3) | instskip(NEXT) | instid1(VALU_DEP_1)
	v_mul_hi_u32 v23, v22, v23
	v_add_nc_u32_e32 v22, v22, v23
	s_delay_alu instid0(VALU_DEP_1) | instskip(SKIP_1) | instid1(VALU_DEP_1)
	v_mul_hi_u32 v22, v3, v22
	v_mul_f32_e32 v28, 0x4f7ffffe, v28
	v_cvt_u32_f32_e32 v28, v28
	s_delay_alu instid0(VALU_DEP_1) | instskip(NEXT) | instid1(VALU_DEP_1)
	v_mul_lo_u32 v29, v29, v28
	v_mul_hi_u32 v29, v28, v29
	v_mul_f32_e32 v24, 0x4f7ffffe, v24
	s_delay_alu instid0(VALU_DEP_1) | instskip(NEXT) | instid1(VALU_DEP_1)
	v_cvt_u32_f32_e32 v24, v24
	v_mul_lo_u32 v25, v25, v24
	s_delay_alu instid0(VALU_DEP_1) | instskip(NEXT) | instid1(VALU_DEP_1)
	v_mul_hi_u32 v25, v24, v25
	v_dual_mul_f32 v26, 0x4f7ffffe, v26 :: v_dual_add_nc_u32 v23, v24, v25
	s_delay_alu instid0(VALU_DEP_1) | instskip(SKIP_1) | instid1(VALU_DEP_3)
	v_cvt_u32_f32_e32 v26, v26
	v_add_nc_u32_e32 v25, v28, v29
	v_mul_hi_u32 v23, v4, v23
	s_delay_alu instid0(VALU_DEP_3) | instskip(NEXT) | instid1(VALU_DEP_3)
	v_mul_lo_u32 v27, v27, v26
	v_mul_hi_u32 v25, v6, v25
	s_delay_alu instid0(VALU_DEP_3) | instskip(NEXT) | instid1(VALU_DEP_3)
	v_mul_lo_u32 v28, v23, v8
	;; [unrolled: 3-line block ×3, first 2 shown]
	v_sub_nc_u32_e32 v4, v4, v28
	s_delay_alu instid0(VALU_DEP_3)
	v_add_nc_u32_e32 v24, v26, v27
	v_mul_lo_u32 v26, v22, v7
	v_add_nc_u32_e32 v27, 1, v22
	v_sub_nc_u32_e32 v6, v6, v30
	v_cmp_ge_u32_e64 s0, v4, v8
	v_mul_hi_u32 v24, v5, v24
	s_delay_alu instid0(VALU_DEP_3) | instskip(SKIP_1) | instid1(VALU_DEP_3)
	v_cmp_ge_u32_e64 s2, v6, v10
	v_sub_nc_u32_e32 v3, v3, v26
	v_mul_lo_u32 v29, v24, v9
	s_delay_alu instid0(VALU_DEP_2) | instskip(SKIP_2) | instid1(VALU_DEP_2)
	v_cmp_ge_u32_e32 vcc_lo, v3, v7
	v_sub_nc_u32_e32 v26, v3, v7
	v_dual_cndmask_b32 v22, v22, v27 :: v_dual_add_nc_u32 v33, 1, v25
	v_cndmask_b32_e32 v3, v3, v26, vcc_lo
	v_sub_nc_u32_e32 v5, v5, v29
	v_sub_nc_u32_e32 v29, v6, v10
	s_delay_alu instid0(VALU_DEP_4)
	v_cndmask_b32_e64 v25, v25, v33, s2
	v_add_nc_u32_e32 v26, 1, v22
	v_cmp_ge_u32_e32 vcc_lo, v3, v7
	v_cmp_ge_u32_e64 s1, v5, v9
	v_sub_nc_u32_e32 v28, v5, v9
	v_cndmask_b32_e64 v6, v6, v29, s2
	v_dual_cndmask_b32 v3, v22, v26 :: v_dual_add_nc_u32 v32, 1, v24
	v_sub_nc_u32_e32 v27, v4, v8
	s_delay_alu instid0(VALU_DEP_4)
	v_cndmask_b32_e64 v5, v5, v28, s1
	v_add_nc_u32_e32 v28, 1, v25
	v_cmp_ge_u32_e32 vcc_lo, v6, v10
	v_add_nc_u32_e32 v31, 1, v23
	v_cndmask_b32_e64 v4, v4, v27, s0
	v_cndmask_b32_e64 v24, v24, v32, s1
	v_xor_b32_e32 v3, v3, v18
	v_cndmask_b32_e32 v6, v25, v28, vcc_lo
	v_cndmask_b32_e64 v23, v23, v31, s0
	v_cmp_ge_u32_e32 vcc_lo, v4, v8
	s_and_b32 s0, exec_lo, s8
	s_delay_alu instid0(VALU_DEP_3) | instskip(NEXT) | instid1(VALU_DEP_3)
	v_xor_b32_e32 v6, v6, v21
	v_add_nc_u32_e32 v27, 1, v23
	v_add_nc_u32_e32 v29, 1, v24
	s_or_b32 s3, s0, s3
	s_delay_alu instid0(VALU_DEP_3) | instskip(NEXT) | instid1(VALU_DEP_3)
	v_sub_nc_u32_e32 v6, v6, v21
	v_cndmask_b32_e32 v4, v23, v27, vcc_lo
	v_cmp_ge_u32_e32 vcc_lo, v5, v9
	v_sub_nc_u32_e32 v9, v3, v18
	s_delay_alu instid0(VALU_DEP_3) | instskip(SKIP_1) | instid1(VALU_DEP_2)
	v_xor_b32_e32 v4, v4, v19
	v_cndmask_b32_e32 v5, v24, v29, vcc_lo
	v_sub_nc_u32_e32 v10, v4, v19
	s_delay_alu instid0(VALU_DEP_2) | instskip(SKIP_1) | instid1(VALU_DEP_2)
	v_xor_b32_e32 v5, v5, v20
	v_mad_u64_u32 v[3:4], null, v9, s20, v[11:12]
	v_sub_nc_u32_e32 v18, v5, v20
	s_delay_alu instid0(VALU_DEP_4) | instskip(NEXT) | instid1(VALU_DEP_2)
	v_mad_u64_u32 v[4:5], null, v10, s20, v[12:13]
	v_mad_u64_u32 v[7:8], null, v6, s20, v[17:18]
	;; [unrolled: 1-line block ×3, first 2 shown]
	s_delay_alu instid0(VALU_DEP_2)
	v_mov_b32_e32 v6, v7
	global_store_b128 v[15:16], v[3:6], off
	s_and_not1_b32 exec_lo, exec_lo, s3
	s_cbranch_execnz .LBB123_32
.LBB123_33:
	s_nop 0
	s_sendmsg sendmsg(MSG_DEALLOC_VGPRS)
	s_endpgm
	.section	.rodata,"a",@progbits
	.p2align	6, 0x0
	.amdhsa_kernel _ZN2at6native12_GLOBAL__N_125multi_tensor_apply_kernelINS1_28TensorListScalarListMetadataIiLi3EEENS1_28PointwiseOpScalarListFunctorIiLi3ELi3ELi0EEEJSt7dividesIiEEEEvT_T0_DpT1_
		.amdhsa_group_segment_fixed_size 0
		.amdhsa_private_segment_fixed_size 0
		.amdhsa_kernarg_size 3592
		.amdhsa_user_sgpr_count 15
		.amdhsa_user_sgpr_dispatch_ptr 0
		.amdhsa_user_sgpr_queue_ptr 0
		.amdhsa_user_sgpr_kernarg_segment_ptr 1
		.amdhsa_user_sgpr_dispatch_id 0
		.amdhsa_user_sgpr_private_segment_size 0
		.amdhsa_wavefront_size32 1
		.amdhsa_uses_dynamic_stack 0
		.amdhsa_enable_private_segment 0
		.amdhsa_system_sgpr_workgroup_id_x 1
		.amdhsa_system_sgpr_workgroup_id_y 0
		.amdhsa_system_sgpr_workgroup_id_z 0
		.amdhsa_system_sgpr_workgroup_info 0
		.amdhsa_system_vgpr_workitem_id 0
		.amdhsa_next_free_vgpr 48
		.amdhsa_next_free_sgpr 25
		.amdhsa_reserve_vcc 1
		.amdhsa_float_round_mode_32 0
		.amdhsa_float_round_mode_16_64 0
		.amdhsa_float_denorm_mode_32 3
		.amdhsa_float_denorm_mode_16_64 3
		.amdhsa_dx10_clamp 1
		.amdhsa_ieee_mode 1
		.amdhsa_fp16_overflow 0
		.amdhsa_workgroup_processor_mode 1
		.amdhsa_memory_ordered 1
		.amdhsa_forward_progress 0
		.amdhsa_shared_vgpr_count 0
		.amdhsa_exception_fp_ieee_invalid_op 0
		.amdhsa_exception_fp_denorm_src 0
		.amdhsa_exception_fp_ieee_div_zero 0
		.amdhsa_exception_fp_ieee_overflow 0
		.amdhsa_exception_fp_ieee_underflow 0
		.amdhsa_exception_fp_ieee_inexact 0
		.amdhsa_exception_int_div_zero 0
	.end_amdhsa_kernel
	.section	.text._ZN2at6native12_GLOBAL__N_125multi_tensor_apply_kernelINS1_28TensorListScalarListMetadataIiLi3EEENS1_28PointwiseOpScalarListFunctorIiLi3ELi3ELi0EEEJSt7dividesIiEEEEvT_T0_DpT1_,"axG",@progbits,_ZN2at6native12_GLOBAL__N_125multi_tensor_apply_kernelINS1_28TensorListScalarListMetadataIiLi3EEENS1_28PointwiseOpScalarListFunctorIiLi3ELi3ELi0EEEJSt7dividesIiEEEEvT_T0_DpT1_,comdat
.Lfunc_end123:
	.size	_ZN2at6native12_GLOBAL__N_125multi_tensor_apply_kernelINS1_28TensorListScalarListMetadataIiLi3EEENS1_28PointwiseOpScalarListFunctorIiLi3ELi3ELi0EEEJSt7dividesIiEEEEvT_T0_DpT1_, .Lfunc_end123-_ZN2at6native12_GLOBAL__N_125multi_tensor_apply_kernelINS1_28TensorListScalarListMetadataIiLi3EEENS1_28PointwiseOpScalarListFunctorIiLi3ELi3ELi0EEEJSt7dividesIiEEEEvT_T0_DpT1_
                                        ; -- End function
	.section	.AMDGPU.csdata,"",@progbits
; Kernel info:
; codeLenInByte = 3312
; NumSgprs: 27
; NumVgprs: 48
; ScratchSize: 0
; MemoryBound: 0
; FloatMode: 240
; IeeeMode: 1
; LDSByteSize: 0 bytes/workgroup (compile time only)
; SGPRBlocks: 3
; VGPRBlocks: 5
; NumSGPRsForWavesPerEU: 27
; NumVGPRsForWavesPerEU: 48
; Occupancy: 16
; WaveLimiterHint : 0
; COMPUTE_PGM_RSRC2:SCRATCH_EN: 0
; COMPUTE_PGM_RSRC2:USER_SGPR: 15
; COMPUTE_PGM_RSRC2:TRAP_HANDLER: 0
; COMPUTE_PGM_RSRC2:TGID_X_EN: 1
; COMPUTE_PGM_RSRC2:TGID_Y_EN: 0
; COMPUTE_PGM_RSRC2:TGID_Z_EN: 0
; COMPUTE_PGM_RSRC2:TIDIG_COMP_CNT: 0
	.section	.text._ZN2at6native12_GLOBAL__N_125multi_tensor_apply_kernelINS1_28TensorListScalarListMetadataIlLi3EEENS1_28PointwiseOpScalarListFunctorIlLi3ELi3ELi0EEEJSt7dividesIlEEEEvT_T0_DpT1_,"axG",@progbits,_ZN2at6native12_GLOBAL__N_125multi_tensor_apply_kernelINS1_28TensorListScalarListMetadataIlLi3EEENS1_28PointwiseOpScalarListFunctorIlLi3ELi3ELi0EEEJSt7dividesIlEEEEvT_T0_DpT1_,comdat
	.globl	_ZN2at6native12_GLOBAL__N_125multi_tensor_apply_kernelINS1_28TensorListScalarListMetadataIlLi3EEENS1_28PointwiseOpScalarListFunctorIlLi3ELi3ELi0EEEJSt7dividesIlEEEEvT_T0_DpT1_ ; -- Begin function _ZN2at6native12_GLOBAL__N_125multi_tensor_apply_kernelINS1_28TensorListScalarListMetadataIlLi3EEENS1_28PointwiseOpScalarListFunctorIlLi3ELi3ELi0EEEJSt7dividesIlEEEEvT_T0_DpT1_
	.p2align	8
	.type	_ZN2at6native12_GLOBAL__N_125multi_tensor_apply_kernelINS1_28TensorListScalarListMetadataIlLi3EEENS1_28PointwiseOpScalarListFunctorIlLi3ELi3ELi0EEEJSt7dividesIlEEEEvT_T0_DpT1_,@function
_ZN2at6native12_GLOBAL__N_125multi_tensor_apply_kernelINS1_28TensorListScalarListMetadataIlLi3EEENS1_28PointwiseOpScalarListFunctorIlLi3ELi3ELi0EEEJSt7dividesIlEEEEvT_T0_DpT1_: ; @_ZN2at6native12_GLOBAL__N_125multi_tensor_apply_kernelINS1_28TensorListScalarListMetadataIlLi3EEENS1_28PointwiseOpScalarListFunctorIlLi3ELi3ELi0EEEJSt7dividesIlEEEEvT_T0_DpT1_
; %bb.0:
	v_mov_b32_e32 v1, s15
	s_add_u32 s2, s0, s15
	s_mul_hi_u32 s3, s15, 3
	s_mul_i32 s15, s15, 3
	s_addc_u32 s4, s1, 0
	global_load_u8 v1, v1, s[0:1] offset:1920
	s_add_u32 s2, s2, s15
	s_addc_u32 s3, s4, s3
	s_load_b32 s10, s[2:3], 0x8c0
	s_waitcnt lgkmcnt(0)
	s_ashr_i32 s11, s10, 31
	s_delay_alu instid0(SALU_CYCLE_1) | instskip(SKIP_2) | instid1(VALU_DEP_1)
	s_lshl_b64 s[12:13], s[10:11], 19
	s_waitcnt vmcnt(0)
	v_readfirstlane_b32 s5, v1
	s_lshl_b32 s8, s5, 3
	s_clause 0x4
	s_load_b64 s[2:3], s[0:1], s8 offset:0x0
	s_load_b64 s[4:5], s[0:1], s8 offset:0x180
	;; [unrolled: 1-line block ×5, first 2 shown]
	s_waitcnt lgkmcnt(0)
	s_add_u32 s18, s2, s12
	s_addc_u32 s19, s3, s13
	s_and_b32 s16, s18, 31
	s_add_u32 s20, s4, s12
	s_addc_u32 s21, s5, s13
	s_add_u32 s22, s6, s12
	s_addc_u32 s23, s7, s13
	s_or_b32 s17, s22, s20
	s_delay_alu instid0(SALU_CYCLE_1) | instskip(NEXT) | instid1(SALU_CYCLE_1)
	s_and_b32 s17, s17, 31
	s_cmp_eq_u32 s17, 0
	s_mov_b32 s17, 0
	s_cselect_b32 s24, -1, 0
	s_lshl_b64 s[10:11], s[10:11], 16
	s_delay_alu instid0(SALU_CYCLE_1) | instskip(SKIP_3) | instid1(SALU_CYCLE_1)
	s_sub_u32 s10, s14, s10
	s_subb_u32 s11, s15, s11
	s_and_b32 s14, s14, 3
	s_mov_b32 s15, s17
	s_or_b64 s[14:15], s[16:17], s[14:15]
	s_delay_alu instid0(SALU_CYCLE_1) | instskip(SKIP_1) | instid1(SALU_CYCLE_1)
	s_cmp_eq_u64 s[14:15], 0
	s_cselect_b32 s14, -1, 0
	s_and_b32 s14, s24, s14
	s_delay_alu instid0(SALU_CYCLE_1)
	s_and_b32 vcc_lo, exec_lo, s14
	s_mov_b32 s14, -1
	s_cbranch_vccnz .LBB124_45
; %bb.1:
	v_cmp_lt_i64_e64 s14, s[10:11], 1
	s_delay_alu instid0(VALU_DEP_1)
	s_and_b32 vcc_lo, exec_lo, s14
	s_cbranch_vccnz .LBB124_44
; %bb.2:
	s_load_b32 s14, s[0:1], 0xdd4
	v_dual_mov_b32 v1, 0 :: v_dual_lshlrev_b32 v2, 3, v0
	v_cmp_gt_u64_e64 s15, 0x10000, s[10:11]
	s_delay_alu instid0(VALU_DEP_2) | instskip(NEXT) | instid1(VALU_DEP_1)
	v_add_co_u32 v29, s16, s2, v2
	v_add_co_ci_u32_e64 v30, null, s3, 0, s16
	v_add_co_u32 v31, s16, s4, v2
	s_delay_alu instid0(VALU_DEP_1)
	v_add_co_ci_u32_e64 v32, null, s5, 0, s16
	s_waitcnt lgkmcnt(0)
	s_and_b32 s16, s14, 0xffff
	v_add_co_u32 v33, s14, s6, v2
	s_mul_i32 s24, s16, 3
	v_add_co_ci_u32_e64 v34, null, s7, 0, s14
	v_add_co_u32 v41, s24, s24, v0
	s_delay_alu instid0(VALU_DEP_1)
	v_add_co_ci_u32_e64 v42, null, 0, 0, s24
	v_add_co_u32 v47, s24, v0, s16
	v_mov_b32_e32 v3, v1
	s_and_b32 s14, s15, exec_lo
	s_cselect_b32 s15, s11, 0
	s_cselect_b32 s14, s10, 0x10000
	s_lshl_b32 s25, s16, 4
	v_mad_u64_u32 v[4:5], null, s16, 24, v[2:3]
	v_add_co_u32 v2, s25, s25, v2
	s_delay_alu instid0(VALU_DEP_1) | instskip(SKIP_2) | instid1(VALU_DEP_4)
	v_add_co_ci_u32_e64 v3, null, 0, 0, s25
	s_lshl_b32 s17, s16, 1
	v_add_co_ci_u32_e64 v50, null, 0, 0, s24
	v_add_co_u32 v35, vcc_lo, s2, v4
	v_add_co_ci_u32_e32 v36, vcc_lo, s3, v5, vcc_lo
	v_add_co_u32 v37, vcc_lo, s4, v4
	v_add_co_ci_u32_e32 v38, vcc_lo, s5, v5, vcc_lo
	;; [unrolled: 2-line block ×5, first 2 shown]
	v_add_co_u32 v48, vcc_lo, s6, v2
	v_lshlrev_b32_e32 v2, 3, v47
	v_add_co_u32 v51, s17, s17, v0
	v_add_co_ci_u32_e32 v49, vcc_lo, s7, v3, vcc_lo
	s_delay_alu instid0(VALU_DEP_3) | instskip(NEXT) | instid1(VALU_DEP_1)
	v_add_co_u32 v53, s2, s2, v2
	v_add_co_ci_u32_e64 v54, null, s3, 0, s2
	v_add_co_u32 v55, s2, s4, v2
	s_delay_alu instid0(VALU_DEP_1)
	v_add_co_ci_u32_e64 v56, null, s5, 0, s2
	v_add_co_u32 v57, s2, s6, v2
	v_add_co_ci_u32_e64 v52, null, 0, 0, s17
	v_add_co_ci_u32_e64 v58, null, s7, 0, s2
	s_lshl_b32 s7, s16, 2
	s_lshl_b32 s24, s16, 5
	s_mov_b64 s[16:17], 0
	s_branch .LBB124_4
.LBB124_3:                              ;   in Loop: Header=BB124_4 Depth=1
	s_or_b32 exec_lo, exec_lo, s2
	v_add_co_u32 v29, vcc_lo, v29, s24
	v_add_co_ci_u32_e32 v30, vcc_lo, 0, v30, vcc_lo
	v_add_co_u32 v31, vcc_lo, v31, s24
	v_add_co_ci_u32_e32 v32, vcc_lo, 0, v32, vcc_lo
	;; [unrolled: 2-line block ×9, first 2 shown]
	s_add_u32 s16, s16, s7
	v_add_co_u32 v53, vcc_lo, v53, s24
	s_addc_u32 s17, s17, 0
	v_add_co_ci_u32_e32 v54, vcc_lo, 0, v54, vcc_lo
	v_cmp_lt_i64_e64 s2, s[16:17], s[10:11]
	v_cmp_gt_u64_e64 s3, 0x10000, s[16:17]
	v_add_co_u32 v55, vcc_lo, v55, s24
	v_add_co_ci_u32_e32 v56, vcc_lo, 0, v56, vcc_lo
	v_add_co_u32 v57, vcc_lo, v57, s24
	v_add_co_ci_u32_e32 v58, vcc_lo, 0, v58, vcc_lo
	s_and_b32 s2, s2, s3
	s_delay_alu instid0(SALU_CYCLE_1)
	s_and_b32 vcc_lo, exec_lo, s2
	s_cbranch_vccz .LBB124_44
.LBB124_4:                              ; =>This Inner Loop Header: Depth=1
	v_add_co_u32 v2, s2, v0, s16
	s_delay_alu instid0(VALU_DEP_1) | instskip(SKIP_2) | instid1(VALU_DEP_2)
	v_add_co_ci_u32_e64 v3, null, 0, s17, s2
	v_mov_b32_e32 v13, 0
	v_mov_b32_e32 v14, 0
	v_mov_b32_e32 v11, v13
	s_delay_alu instid0(VALU_DEP_4) | instskip(NEXT) | instid1(VALU_DEP_3)
	v_cmp_gt_u64_e64 s5, s[14:15], v[2:3]
	v_dual_mov_b32 v3, v13 :: v_dual_mov_b32 v4, v14
	v_mov_b32_e32 v12, v14
	s_delay_alu instid0(VALU_DEP_3)
	s_and_saveexec_b32 s2, s5
	s_cbranch_execz .LBB124_6
; %bb.5:                                ;   in Loop: Header=BB124_4 Depth=1
	v_add_co_u32 v2, vcc_lo, v29, s12
	v_add_co_ci_u32_e32 v3, vcc_lo, s13, v30, vcc_lo
	v_add_co_u32 v5, vcc_lo, v31, s12
	v_add_co_ci_u32_e32 v6, vcc_lo, s13, v32, vcc_lo
	global_load_b64 v[3:4], v[2:3], off
	global_load_b64 v[11:12], v[5:6], off
.LBB124_6:                              ;   in Loop: Header=BB124_4 Depth=1
	s_or_b32 exec_lo, exec_lo, s2
	s_and_saveexec_b32 s2, s5
	s_cbranch_execz .LBB124_8
; %bb.7:                                ;   in Loop: Header=BB124_4 Depth=1
	v_add_co_u32 v5, vcc_lo, v33, s12
	v_add_co_ci_u32_e32 v6, vcc_lo, s13, v34, vcc_lo
	global_load_b64 v[13:14], v[5:6], off
.LBB124_8:                              ;   in Loop: Header=BB124_4 Depth=1
	s_or_b32 exec_lo, exec_lo, s2
	v_add_co_u32 v5, vcc_lo, v47, s16
	v_add_co_ci_u32_e32 v6, vcc_lo, s17, v50, vcc_lo
	v_mov_b32_e32 v27, 0
	v_mov_b32_e32 v28, 0
	s_delay_alu instid0(VALU_DEP_2) | instskip(NEXT) | instid1(VALU_DEP_4)
	v_mov_b32_e32 v21, v27
	v_cmp_gt_u64_e64 s2, s[14:15], v[5:6]
	s_delay_alu instid0(VALU_DEP_3) | instskip(SKIP_1) | instid1(VALU_DEP_3)
	v_dual_mov_b32 v5, v27 :: v_dual_mov_b32 v6, v28
	v_mov_b32_e32 v22, v28
	s_and_saveexec_b32 s3, s2
	s_cbranch_execz .LBB124_10
; %bb.9:                                ;   in Loop: Header=BB124_4 Depth=1
	v_add_co_u32 v5, vcc_lo, v53, s12
	v_add_co_ci_u32_e32 v6, vcc_lo, s13, v54, vcc_lo
	v_add_co_u32 v7, vcc_lo, v55, s12
	v_add_co_ci_u32_e32 v8, vcc_lo, s13, v56, vcc_lo
	global_load_b64 v[5:6], v[5:6], off
	global_load_b64 v[21:22], v[7:8], off
.LBB124_10:                             ;   in Loop: Header=BB124_4 Depth=1
	s_or_b32 exec_lo, exec_lo, s3
	s_and_saveexec_b32 s3, s2
	s_cbranch_execz .LBB124_12
; %bb.11:                               ;   in Loop: Header=BB124_4 Depth=1
	v_add_co_u32 v7, vcc_lo, v57, s12
	v_add_co_ci_u32_e32 v8, vcc_lo, s13, v58, vcc_lo
	global_load_b64 v[27:28], v[7:8], off
.LBB124_12:                             ;   in Loop: Header=BB124_4 Depth=1
	s_or_b32 exec_lo, exec_lo, s3
	v_add_co_u32 v7, vcc_lo, v51, s16
	v_add_co_ci_u32_e32 v8, vcc_lo, s17, v52, vcc_lo
	v_mov_b32_e32 v25, 0
	v_mov_b32_e32 v26, 0
	s_delay_alu instid0(VALU_DEP_2) | instskip(NEXT) | instid1(VALU_DEP_4)
	v_mov_b32_e32 v23, v25
	v_cmp_gt_u64_e64 s3, s[14:15], v[7:8]
	s_delay_alu instid0(VALU_DEP_3) | instskip(SKIP_1) | instid1(VALU_DEP_3)
	v_dual_mov_b32 v7, v25 :: v_dual_mov_b32 v8, v26
	v_mov_b32_e32 v24, v26
	s_and_saveexec_b32 s4, s3
	s_cbranch_execz .LBB124_14
; %bb.13:                               ;   in Loop: Header=BB124_4 Depth=1
	v_add_co_u32 v7, vcc_lo, v43, s12
	v_add_co_ci_u32_e32 v8, vcc_lo, s13, v44, vcc_lo
	v_add_co_u32 v9, vcc_lo, v45, s12
	v_add_co_ci_u32_e32 v10, vcc_lo, s13, v46, vcc_lo
	global_load_b64 v[7:8], v[7:8], off
	global_load_b64 v[23:24], v[9:10], off
.LBB124_14:                             ;   in Loop: Header=BB124_4 Depth=1
	s_or_b32 exec_lo, exec_lo, s4
	s_and_saveexec_b32 s4, s3
	s_cbranch_execz .LBB124_16
; %bb.15:                               ;   in Loop: Header=BB124_4 Depth=1
	v_add_co_u32 v9, vcc_lo, v48, s12
	v_add_co_ci_u32_e32 v10, vcc_lo, s13, v49, vcc_lo
	global_load_b64 v[25:26], v[9:10], off
.LBB124_16:                             ;   in Loop: Header=BB124_4 Depth=1
	s_or_b32 exec_lo, exec_lo, s4
	v_add_co_u32 v9, vcc_lo, v41, s16
	v_add_co_ci_u32_e32 v10, vcc_lo, s17, v42, vcc_lo
	v_mov_b32_e32 v19, 0
	v_mov_b32_e32 v20, 0
	s_delay_alu instid0(VALU_DEP_2) | instskip(NEXT) | instid1(VALU_DEP_4)
	v_mov_b32_e32 v17, v19
	v_cmp_gt_u64_e64 s4, s[14:15], v[9:10]
	s_delay_alu instid0(VALU_DEP_3) | instskip(SKIP_1) | instid1(VALU_DEP_3)
	v_dual_mov_b32 v9, v19 :: v_dual_mov_b32 v10, v20
	v_mov_b32_e32 v18, v20
	s_and_saveexec_b32 s6, s4
	s_cbranch_execz .LBB124_18
; %bb.17:                               ;   in Loop: Header=BB124_4 Depth=1
	v_add_co_u32 v9, vcc_lo, v35, s12
	v_add_co_ci_u32_e32 v10, vcc_lo, s13, v36, vcc_lo
	v_add_co_u32 v15, vcc_lo, v37, s12
	v_add_co_ci_u32_e32 v16, vcc_lo, s13, v38, vcc_lo
	global_load_b64 v[9:10], v[9:10], off
	global_load_b64 v[17:18], v[15:16], off
.LBB124_18:                             ;   in Loop: Header=BB124_4 Depth=1
	s_or_b32 exec_lo, exec_lo, s6
	s_and_saveexec_b32 s6, s4
	s_cbranch_execz .LBB124_20
; %bb.19:                               ;   in Loop: Header=BB124_4 Depth=1
	v_add_co_u32 v15, vcc_lo, v39, s12
	v_add_co_ci_u32_e32 v16, vcc_lo, s13, v40, vcc_lo
	global_load_b64 v[19:20], v[15:16], off
.LBB124_20:                             ;   in Loop: Header=BB124_4 Depth=1
	s_or_b32 exec_lo, exec_lo, s6
	s_waitcnt vmcnt(0)
	v_or_b32_e32 v2, v22, v28
                                        ; implicit-def: $vgpr15_vgpr16
	s_mov_b32 s6, exec_lo
	s_delay_alu instid0(VALU_DEP_1)
	v_cmpx_ne_u64_e32 0, v[1:2]
	s_xor_b32 s25, exec_lo, s6
	s_cbranch_execz .LBB124_22
; %bb.21:                               ;   in Loop: Header=BB124_4 Depth=1
	v_ashrrev_i32_e32 v2, 31, v28
	s_delay_alu instid0(VALU_DEP_1) | instskip(SKIP_1) | instid1(VALU_DEP_2)
	v_add_co_u32 v15, vcc_lo, v27, v2
	v_add_co_ci_u32_e32 v16, vcc_lo, v28, v2, vcc_lo
	v_xor_b32_e32 v61, v15, v2
	s_delay_alu instid0(VALU_DEP_2) | instskip(NEXT) | instid1(VALU_DEP_2)
	v_xor_b32_e32 v62, v16, v2
	v_cvt_f32_u32_e32 v15, v61
	v_sub_co_u32 v63, vcc_lo, 0, v61
	s_delay_alu instid0(VALU_DEP_3) | instskip(SKIP_1) | instid1(VALU_DEP_2)
	v_cvt_f32_u32_e32 v16, v62
	v_sub_co_ci_u32_e32 v64, vcc_lo, 0, v62, vcc_lo
	v_fmac_f32_e32 v15, 0x4f800000, v16
	s_delay_alu instid0(VALU_DEP_1) | instskip(SKIP_2) | instid1(VALU_DEP_1)
	v_rcp_f32_e32 v15, v15
	s_waitcnt_depctr 0xfff
	v_mul_f32_e32 v15, 0x5f7ffffc, v15
	v_mul_f32_e32 v16, 0x2f800000, v15
	s_delay_alu instid0(VALU_DEP_1) | instskip(NEXT) | instid1(VALU_DEP_1)
	v_trunc_f32_e32 v16, v16
	v_fmac_f32_e32 v15, 0xcf800000, v16
	v_cvt_u32_f32_e32 v65, v16
	s_delay_alu instid0(VALU_DEP_2) | instskip(NEXT) | instid1(VALU_DEP_2)
	v_cvt_u32_f32_e32 v66, v15
	v_mul_lo_u32 v27, v63, v65
	s_delay_alu instid0(VALU_DEP_2) | instskip(SKIP_1) | instid1(VALU_DEP_1)
	v_mul_lo_u32 v28, v64, v66
	v_mad_u64_u32 v[15:16], null, v63, v66, 0
	v_add3_u32 v67, v16, v27, v28
	s_delay_alu instid0(VALU_DEP_2) | instskip(SKIP_1) | instid1(VALU_DEP_3)
	v_mul_hi_u32 v68, v66, v15
	v_mad_u64_u32 v[59:60], null, v65, v15, 0
	v_mad_u64_u32 v[27:28], null, v66, v67, 0
	;; [unrolled: 1-line block ×3, first 2 shown]
	s_delay_alu instid0(VALU_DEP_2) | instskip(NEXT) | instid1(VALU_DEP_3)
	v_add_co_u32 v27, vcc_lo, v68, v27
	v_add_co_ci_u32_e32 v28, vcc_lo, 0, v28, vcc_lo
	s_delay_alu instid0(VALU_DEP_2) | instskip(NEXT) | instid1(VALU_DEP_2)
	v_add_co_u32 v27, vcc_lo, v27, v59
	v_add_co_ci_u32_e32 v27, vcc_lo, v28, v60, vcc_lo
	v_add_co_ci_u32_e32 v16, vcc_lo, 0, v16, vcc_lo
	s_delay_alu instid0(VALU_DEP_2) | instskip(NEXT) | instid1(VALU_DEP_2)
	v_add_co_u32 v15, vcc_lo, v27, v15
	v_add_co_ci_u32_e32 v16, vcc_lo, 0, v16, vcc_lo
	s_delay_alu instid0(VALU_DEP_2) | instskip(NEXT) | instid1(VALU_DEP_2)
	v_add_co_u32 v66, vcc_lo, v66, v15
	v_add_co_ci_u32_e32 v65, vcc_lo, v65, v16, vcc_lo
	s_delay_alu instid0(VALU_DEP_2) | instskip(SKIP_1) | instid1(VALU_DEP_3)
	v_mul_lo_u32 v27, v64, v66
	v_mad_u64_u32 v[15:16], null, v63, v66, 0
	v_mul_lo_u32 v28, v63, v65
	s_delay_alu instid0(VALU_DEP_2) | instskip(SKIP_1) | instid1(VALU_DEP_3)
	v_mul_hi_u32 v64, v66, v15
	v_mad_u64_u32 v[59:60], null, v65, v15, 0
	v_add3_u32 v63, v16, v28, v27
	s_delay_alu instid0(VALU_DEP_1) | instskip(SKIP_2) | instid1(VALU_DEP_3)
	v_mad_u64_u32 v[27:28], null, v66, v63, 0
	v_mad_u64_u32 v[15:16], null, v65, v63, 0
	v_ashrrev_i32_e32 v63, 31, v22
	v_add_co_u32 v27, vcc_lo, v64, v27
	s_delay_alu instid0(VALU_DEP_4) | instskip(NEXT) | instid1(VALU_DEP_3)
	v_add_co_ci_u32_e32 v28, vcc_lo, 0, v28, vcc_lo
	v_xor_b32_e32 v2, v63, v2
	s_delay_alu instid0(VALU_DEP_3) | instskip(NEXT) | instid1(VALU_DEP_3)
	v_add_co_u32 v27, vcc_lo, v27, v59
	v_add_co_ci_u32_e32 v27, vcc_lo, v28, v60, vcc_lo
	v_add_co_ci_u32_e32 v16, vcc_lo, 0, v16, vcc_lo
	v_add_co_u32 v21, vcc_lo, v21, v63
	v_add_co_ci_u32_e32 v22, vcc_lo, v22, v63, vcc_lo
	s_delay_alu instid0(VALU_DEP_4) | instskip(NEXT) | instid1(VALU_DEP_4)
	v_add_co_u32 v15, vcc_lo, v27, v15
	v_add_co_ci_u32_e32 v16, vcc_lo, 0, v16, vcc_lo
	s_delay_alu instid0(VALU_DEP_4) | instskip(NEXT) | instid1(VALU_DEP_3)
	v_xor_b32_e32 v59, v21, v63
	v_add_co_u32 v27, vcc_lo, v66, v15
	s_delay_alu instid0(VALU_DEP_3) | instskip(SKIP_1) | instid1(VALU_DEP_3)
	v_add_co_ci_u32_e32 v60, vcc_lo, v65, v16, vcc_lo
	v_xor_b32_e32 v64, v22, v63
	v_mul_hi_u32 v65, v59, v27
	s_delay_alu instid0(VALU_DEP_3) | instskip(NEXT) | instid1(VALU_DEP_3)
	v_mad_u64_u32 v[15:16], null, v59, v60, 0
	v_mad_u64_u32 v[21:22], null, v64, v27, 0
	;; [unrolled: 1-line block ×3, first 2 shown]
	s_delay_alu instid0(VALU_DEP_3) | instskip(NEXT) | instid1(VALU_DEP_4)
	v_add_co_u32 v15, vcc_lo, v65, v15
	v_add_co_ci_u32_e32 v16, vcc_lo, 0, v16, vcc_lo
	s_delay_alu instid0(VALU_DEP_2) | instskip(NEXT) | instid1(VALU_DEP_2)
	v_add_co_u32 v15, vcc_lo, v15, v21
	v_add_co_ci_u32_e32 v15, vcc_lo, v16, v22, vcc_lo
	v_add_co_ci_u32_e32 v16, vcc_lo, 0, v28, vcc_lo
	s_delay_alu instid0(VALU_DEP_2) | instskip(NEXT) | instid1(VALU_DEP_2)
	v_add_co_u32 v21, vcc_lo, v15, v27
	v_add_co_ci_u32_e32 v22, vcc_lo, 0, v16, vcc_lo
	s_delay_alu instid0(VALU_DEP_2) | instskip(SKIP_1) | instid1(VALU_DEP_3)
	v_mul_lo_u32 v27, v62, v21
	v_mad_u64_u32 v[15:16], null, v61, v21, 0
	v_mul_lo_u32 v28, v61, v22
	s_delay_alu instid0(VALU_DEP_2) | instskip(NEXT) | instid1(VALU_DEP_2)
	v_sub_co_u32 v15, vcc_lo, v59, v15
	v_add3_u32 v16, v16, v28, v27
	s_delay_alu instid0(VALU_DEP_1) | instskip(NEXT) | instid1(VALU_DEP_1)
	v_sub_nc_u32_e32 v27, v64, v16
	v_sub_co_ci_u32_e64 v27, s6, v27, v62, vcc_lo
	v_add_co_u32 v28, s6, v21, 2
	s_delay_alu instid0(VALU_DEP_1) | instskip(SKIP_3) | instid1(VALU_DEP_3)
	v_add_co_ci_u32_e64 v59, s6, 0, v22, s6
	v_sub_co_u32 v60, s6, v15, v61
	v_sub_co_ci_u32_e32 v16, vcc_lo, v64, v16, vcc_lo
	v_subrev_co_ci_u32_e64 v27, s6, 0, v27, s6
	v_cmp_ge_u32_e32 vcc_lo, v60, v61
	s_delay_alu instid0(VALU_DEP_3) | instskip(SKIP_1) | instid1(VALU_DEP_4)
	v_cmp_eq_u32_e64 s6, v16, v62
	v_cndmask_b32_e64 v60, 0, -1, vcc_lo
	v_cmp_ge_u32_e32 vcc_lo, v27, v62
	v_cndmask_b32_e64 v64, 0, -1, vcc_lo
	v_cmp_ge_u32_e32 vcc_lo, v15, v61
	;; [unrolled: 2-line block ×3, first 2 shown]
	v_cndmask_b32_e64 v61, 0, -1, vcc_lo
	v_cmp_eq_u32_e32 vcc_lo, v27, v62
	s_delay_alu instid0(VALU_DEP_2) | instskip(SKIP_3) | instid1(VALU_DEP_3)
	v_cndmask_b32_e64 v15, v61, v15, s6
	v_cndmask_b32_e32 v27, v64, v60, vcc_lo
	v_add_co_u32 v60, vcc_lo, v21, 1
	v_add_co_ci_u32_e32 v64, vcc_lo, 0, v22, vcc_lo
	v_cmp_ne_u32_e32 vcc_lo, 0, v27
	s_delay_alu instid0(VALU_DEP_2) | instskip(NEXT) | instid1(VALU_DEP_4)
	v_cndmask_b32_e32 v16, v64, v59, vcc_lo
	v_cndmask_b32_e32 v27, v60, v28, vcc_lo
	v_cmp_ne_u32_e32 vcc_lo, 0, v15
	s_delay_alu instid0(VALU_DEP_2) | instskip(NEXT) | instid1(VALU_DEP_1)
	v_dual_cndmask_b32 v15, v22, v16 :: v_dual_cndmask_b32 v16, v21, v27
                                        ; implicit-def: $vgpr27_vgpr28
	v_xor_b32_e32 v21, v15, v2
	s_delay_alu instid0(VALU_DEP_2) | instskip(NEXT) | instid1(VALU_DEP_1)
	v_xor_b32_e32 v16, v16, v2
	v_sub_co_u32 v15, vcc_lo, v16, v2
	s_delay_alu instid0(VALU_DEP_3)
	v_sub_co_ci_u32_e32 v16, vcc_lo, v21, v2, vcc_lo
                                        ; implicit-def: $vgpr21_vgpr22
.LBB124_22:                             ;   in Loop: Header=BB124_4 Depth=1
	s_and_not1_saveexec_b32 s6, s25
	s_cbranch_execz .LBB124_24
; %bb.23:                               ;   in Loop: Header=BB124_4 Depth=1
	v_cvt_f32_u32_e32 v2, v27
	v_sub_nc_u32_e32 v15, 0, v27
	s_delay_alu instid0(VALU_DEP_2) | instskip(SKIP_2) | instid1(VALU_DEP_1)
	v_rcp_iflag_f32_e32 v2, v2
	s_waitcnt_depctr 0xfff
	v_mul_f32_e32 v2, 0x4f7ffffe, v2
	v_cvt_u32_f32_e32 v2, v2
	s_delay_alu instid0(VALU_DEP_1) | instskip(NEXT) | instid1(VALU_DEP_1)
	v_mul_lo_u32 v15, v15, v2
	v_mul_hi_u32 v15, v2, v15
	s_delay_alu instid0(VALU_DEP_1) | instskip(NEXT) | instid1(VALU_DEP_1)
	v_add_nc_u32_e32 v2, v2, v15
	v_mul_hi_u32 v2, v21, v2
	s_delay_alu instid0(VALU_DEP_1) | instskip(SKIP_1) | instid1(VALU_DEP_2)
	v_mul_lo_u32 v15, v2, v27
	v_add_nc_u32_e32 v16, 1, v2
	v_sub_nc_u32_e32 v15, v21, v15
	s_delay_alu instid0(VALU_DEP_1) | instskip(SKIP_1) | instid1(VALU_DEP_2)
	v_sub_nc_u32_e32 v21, v15, v27
	v_cmp_ge_u32_e32 vcc_lo, v15, v27
	v_dual_cndmask_b32 v15, v15, v21 :: v_dual_cndmask_b32 v2, v2, v16
	s_delay_alu instid0(VALU_DEP_1) | instskip(NEXT) | instid1(VALU_DEP_2)
	v_cmp_ge_u32_e32 vcc_lo, v15, v27
	v_add_nc_u32_e32 v16, 1, v2
	s_delay_alu instid0(VALU_DEP_1)
	v_dual_cndmask_b32 v15, v2, v16 :: v_dual_mov_b32 v16, v1
.LBB124_24:                             ;   in Loop: Header=BB124_4 Depth=1
	s_or_b32 exec_lo, exec_lo, s6
	v_or_b32_e32 v2, v24, v26
                                        ; implicit-def: $vgpr21_vgpr22
	s_mov_b32 s6, exec_lo
	s_delay_alu instid0(VALU_DEP_1)
	v_cmpx_ne_u64_e32 0, v[1:2]
	s_xor_b32 s25, exec_lo, s6
	s_cbranch_execz .LBB124_26
; %bb.25:                               ;   in Loop: Header=BB124_4 Depth=1
	v_ashrrev_i32_e32 v2, 31, v26
	s_delay_alu instid0(VALU_DEP_1) | instskip(SKIP_1) | instid1(VALU_DEP_2)
	v_add_co_u32 v21, vcc_lo, v25, v2
	v_add_co_ci_u32_e32 v22, vcc_lo, v26, v2, vcc_lo
	v_xor_b32_e32 v59, v21, v2
	s_delay_alu instid0(VALU_DEP_2) | instskip(NEXT) | instid1(VALU_DEP_2)
	v_xor_b32_e32 v60, v22, v2
	v_cvt_f32_u32_e32 v21, v59
	v_sub_co_u32 v61, vcc_lo, 0, v59
	s_delay_alu instid0(VALU_DEP_3) | instskip(SKIP_1) | instid1(VALU_DEP_2)
	v_cvt_f32_u32_e32 v22, v60
	v_sub_co_ci_u32_e32 v62, vcc_lo, 0, v60, vcc_lo
	v_fmac_f32_e32 v21, 0x4f800000, v22
	s_delay_alu instid0(VALU_DEP_1) | instskip(SKIP_2) | instid1(VALU_DEP_1)
	v_rcp_f32_e32 v21, v21
	s_waitcnt_depctr 0xfff
	v_mul_f32_e32 v21, 0x5f7ffffc, v21
	v_mul_f32_e32 v22, 0x2f800000, v21
	s_delay_alu instid0(VALU_DEP_1) | instskip(NEXT) | instid1(VALU_DEP_1)
	v_trunc_f32_e32 v22, v22
	v_fmac_f32_e32 v21, 0xcf800000, v22
	v_cvt_u32_f32_e32 v63, v22
	s_delay_alu instid0(VALU_DEP_2) | instskip(NEXT) | instid1(VALU_DEP_2)
	v_cvt_u32_f32_e32 v64, v21
	v_mul_lo_u32 v25, v61, v63
	s_delay_alu instid0(VALU_DEP_2) | instskip(SKIP_1) | instid1(VALU_DEP_1)
	v_mul_lo_u32 v26, v62, v64
	v_mad_u64_u32 v[21:22], null, v61, v64, 0
	v_add3_u32 v65, v22, v25, v26
	s_delay_alu instid0(VALU_DEP_2) | instskip(SKIP_1) | instid1(VALU_DEP_3)
	v_mul_hi_u32 v66, v64, v21
	v_mad_u64_u32 v[27:28], null, v63, v21, 0
	v_mad_u64_u32 v[25:26], null, v64, v65, 0
	;; [unrolled: 1-line block ×3, first 2 shown]
	s_delay_alu instid0(VALU_DEP_2) | instskip(NEXT) | instid1(VALU_DEP_3)
	v_add_co_u32 v25, vcc_lo, v66, v25
	v_add_co_ci_u32_e32 v26, vcc_lo, 0, v26, vcc_lo
	s_delay_alu instid0(VALU_DEP_2) | instskip(NEXT) | instid1(VALU_DEP_2)
	v_add_co_u32 v25, vcc_lo, v25, v27
	v_add_co_ci_u32_e32 v25, vcc_lo, v26, v28, vcc_lo
	v_add_co_ci_u32_e32 v22, vcc_lo, 0, v22, vcc_lo
	s_delay_alu instid0(VALU_DEP_2) | instskip(NEXT) | instid1(VALU_DEP_2)
	v_add_co_u32 v21, vcc_lo, v25, v21
	v_add_co_ci_u32_e32 v22, vcc_lo, 0, v22, vcc_lo
	s_delay_alu instid0(VALU_DEP_2) | instskip(NEXT) | instid1(VALU_DEP_2)
	v_add_co_u32 v64, vcc_lo, v64, v21
	v_add_co_ci_u32_e32 v63, vcc_lo, v63, v22, vcc_lo
	s_delay_alu instid0(VALU_DEP_2) | instskip(SKIP_1) | instid1(VALU_DEP_3)
	v_mul_lo_u32 v25, v62, v64
	v_mad_u64_u32 v[21:22], null, v61, v64, 0
	v_mul_lo_u32 v26, v61, v63
	s_delay_alu instid0(VALU_DEP_2) | instskip(SKIP_1) | instid1(VALU_DEP_3)
	v_mul_hi_u32 v62, v64, v21
	v_mad_u64_u32 v[27:28], null, v63, v21, 0
	v_add3_u32 v61, v22, v26, v25
	s_delay_alu instid0(VALU_DEP_1) | instskip(SKIP_2) | instid1(VALU_DEP_3)
	v_mad_u64_u32 v[25:26], null, v64, v61, 0
	v_mad_u64_u32 v[21:22], null, v63, v61, 0
	v_ashrrev_i32_e32 v61, 31, v24
	v_add_co_u32 v25, vcc_lo, v62, v25
	s_delay_alu instid0(VALU_DEP_4) | instskip(NEXT) | instid1(VALU_DEP_3)
	v_add_co_ci_u32_e32 v26, vcc_lo, 0, v26, vcc_lo
	v_xor_b32_e32 v2, v61, v2
	s_delay_alu instid0(VALU_DEP_3) | instskip(NEXT) | instid1(VALU_DEP_3)
	v_add_co_u32 v25, vcc_lo, v25, v27
	v_add_co_ci_u32_e32 v25, vcc_lo, v26, v28, vcc_lo
	v_add_co_ci_u32_e32 v22, vcc_lo, 0, v22, vcc_lo
	v_add_co_u32 v23, vcc_lo, v23, v61
	v_add_co_ci_u32_e32 v24, vcc_lo, v24, v61, vcc_lo
	s_delay_alu instid0(VALU_DEP_4) | instskip(NEXT) | instid1(VALU_DEP_4)
	v_add_co_u32 v21, vcc_lo, v25, v21
	v_add_co_ci_u32_e32 v22, vcc_lo, 0, v22, vcc_lo
	s_delay_alu instid0(VALU_DEP_4) | instskip(NEXT) | instid1(VALU_DEP_3)
	v_xor_b32_e32 v27, v23, v61
	v_add_co_u32 v25, vcc_lo, v64, v21
	s_delay_alu instid0(VALU_DEP_3) | instskip(SKIP_1) | instid1(VALU_DEP_3)
	v_add_co_ci_u32_e32 v28, vcc_lo, v63, v22, vcc_lo
	v_xor_b32_e32 v62, v24, v61
	v_mul_hi_u32 v63, v27, v25
	s_delay_alu instid0(VALU_DEP_3) | instskip(NEXT) | instid1(VALU_DEP_3)
	v_mad_u64_u32 v[21:22], null, v27, v28, 0
	v_mad_u64_u32 v[23:24], null, v62, v25, 0
	;; [unrolled: 1-line block ×3, first 2 shown]
	s_delay_alu instid0(VALU_DEP_3) | instskip(NEXT) | instid1(VALU_DEP_4)
	v_add_co_u32 v21, vcc_lo, v63, v21
	v_add_co_ci_u32_e32 v22, vcc_lo, 0, v22, vcc_lo
	s_delay_alu instid0(VALU_DEP_2) | instskip(NEXT) | instid1(VALU_DEP_2)
	v_add_co_u32 v21, vcc_lo, v21, v23
	v_add_co_ci_u32_e32 v21, vcc_lo, v22, v24, vcc_lo
	v_add_co_ci_u32_e32 v22, vcc_lo, 0, v26, vcc_lo
	s_delay_alu instid0(VALU_DEP_2) | instskip(NEXT) | instid1(VALU_DEP_2)
	v_add_co_u32 v23, vcc_lo, v21, v25
	v_add_co_ci_u32_e32 v24, vcc_lo, 0, v22, vcc_lo
	s_delay_alu instid0(VALU_DEP_2) | instskip(SKIP_1) | instid1(VALU_DEP_3)
	v_mul_lo_u32 v25, v60, v23
	v_mad_u64_u32 v[21:22], null, v59, v23, 0
	v_mul_lo_u32 v26, v59, v24
	s_delay_alu instid0(VALU_DEP_2) | instskip(NEXT) | instid1(VALU_DEP_2)
	v_sub_co_u32 v21, vcc_lo, v27, v21
	v_add3_u32 v22, v22, v26, v25
	s_delay_alu instid0(VALU_DEP_1) | instskip(NEXT) | instid1(VALU_DEP_1)
	v_sub_nc_u32_e32 v25, v62, v22
	v_sub_co_ci_u32_e64 v25, s6, v25, v60, vcc_lo
	v_add_co_u32 v26, s6, v23, 2
	s_delay_alu instid0(VALU_DEP_1) | instskip(SKIP_3) | instid1(VALU_DEP_3)
	v_add_co_ci_u32_e64 v27, s6, 0, v24, s6
	v_sub_co_u32 v28, s6, v21, v59
	v_sub_co_ci_u32_e32 v22, vcc_lo, v62, v22, vcc_lo
	v_subrev_co_ci_u32_e64 v25, s6, 0, v25, s6
	v_cmp_ge_u32_e32 vcc_lo, v28, v59
	s_delay_alu instid0(VALU_DEP_3) | instskip(SKIP_1) | instid1(VALU_DEP_4)
	v_cmp_eq_u32_e64 s6, v22, v60
	v_cndmask_b32_e64 v28, 0, -1, vcc_lo
	v_cmp_ge_u32_e32 vcc_lo, v25, v60
	v_cndmask_b32_e64 v62, 0, -1, vcc_lo
	v_cmp_ge_u32_e32 vcc_lo, v21, v59
	;; [unrolled: 2-line block ×3, first 2 shown]
	v_cndmask_b32_e64 v59, 0, -1, vcc_lo
	v_cmp_eq_u32_e32 vcc_lo, v25, v60
	s_delay_alu instid0(VALU_DEP_2) | instskip(SKIP_3) | instid1(VALU_DEP_3)
	v_cndmask_b32_e64 v21, v59, v21, s6
	v_cndmask_b32_e32 v25, v62, v28, vcc_lo
	v_add_co_u32 v28, vcc_lo, v23, 1
	v_add_co_ci_u32_e32 v62, vcc_lo, 0, v24, vcc_lo
	v_cmp_ne_u32_e32 vcc_lo, 0, v25
	s_delay_alu instid0(VALU_DEP_2) | instskip(SKIP_1) | instid1(VALU_DEP_2)
	v_dual_cndmask_b32 v22, v62, v27 :: v_dual_cndmask_b32 v25, v28, v26
	v_cmp_ne_u32_e32 vcc_lo, 0, v21
	v_dual_cndmask_b32 v21, v24, v22 :: v_dual_cndmask_b32 v22, v23, v25
                                        ; implicit-def: $vgpr25_vgpr26
	s_delay_alu instid0(VALU_DEP_1) | instskip(NEXT) | instid1(VALU_DEP_2)
	v_xor_b32_e32 v23, v21, v2
	v_xor_b32_e32 v22, v22, v2
	s_delay_alu instid0(VALU_DEP_1) | instskip(NEXT) | instid1(VALU_DEP_3)
	v_sub_co_u32 v21, vcc_lo, v22, v2
	v_sub_co_ci_u32_e32 v22, vcc_lo, v23, v2, vcc_lo
                                        ; implicit-def: $vgpr23_vgpr24
.LBB124_26:                             ;   in Loop: Header=BB124_4 Depth=1
	s_and_not1_saveexec_b32 s6, s25
	s_cbranch_execz .LBB124_28
; %bb.27:                               ;   in Loop: Header=BB124_4 Depth=1
	v_cvt_f32_u32_e32 v2, v25
	v_sub_nc_u32_e32 v21, 0, v25
	s_delay_alu instid0(VALU_DEP_2) | instskip(SKIP_2) | instid1(VALU_DEP_1)
	v_rcp_iflag_f32_e32 v2, v2
	s_waitcnt_depctr 0xfff
	v_mul_f32_e32 v2, 0x4f7ffffe, v2
	v_cvt_u32_f32_e32 v2, v2
	s_delay_alu instid0(VALU_DEP_1) | instskip(NEXT) | instid1(VALU_DEP_1)
	v_mul_lo_u32 v21, v21, v2
	v_mul_hi_u32 v21, v2, v21
	s_delay_alu instid0(VALU_DEP_1) | instskip(NEXT) | instid1(VALU_DEP_1)
	v_add_nc_u32_e32 v2, v2, v21
	v_mul_hi_u32 v2, v23, v2
	s_delay_alu instid0(VALU_DEP_1) | instskip(SKIP_1) | instid1(VALU_DEP_2)
	v_mul_lo_u32 v21, v2, v25
	v_add_nc_u32_e32 v22, 1, v2
	v_sub_nc_u32_e32 v21, v23, v21
	s_delay_alu instid0(VALU_DEP_1) | instskip(SKIP_1) | instid1(VALU_DEP_2)
	v_sub_nc_u32_e32 v23, v21, v25
	v_cmp_ge_u32_e32 vcc_lo, v21, v25
	v_dual_cndmask_b32 v21, v21, v23 :: v_dual_cndmask_b32 v2, v2, v22
	s_delay_alu instid0(VALU_DEP_1) | instskip(NEXT) | instid1(VALU_DEP_2)
	v_cmp_ge_u32_e32 vcc_lo, v21, v25
	v_add_nc_u32_e32 v22, 1, v2
	s_delay_alu instid0(VALU_DEP_1)
	v_dual_cndmask_b32 v21, v2, v22 :: v_dual_mov_b32 v22, v1
.LBB124_28:                             ;   in Loop: Header=BB124_4 Depth=1
	s_or_b32 exec_lo, exec_lo, s6
	v_or_b32_e32 v2, v18, v20
                                        ; implicit-def: $vgpr23_vgpr24
	s_mov_b32 s6, exec_lo
	s_delay_alu instid0(VALU_DEP_1)
	v_cmpx_ne_u64_e32 0, v[1:2]
	s_xor_b32 s25, exec_lo, s6
	s_cbranch_execnz .LBB124_34
; %bb.29:                               ;   in Loop: Header=BB124_4 Depth=1
	s_and_not1_saveexec_b32 s6, s25
	s_cbranch_execnz .LBB124_35
.LBB124_30:                             ;   in Loop: Header=BB124_4 Depth=1
	s_or_b32 exec_lo, exec_lo, s6
	s_and_saveexec_b32 s6, s5
	s_cbranch_execnz .LBB124_36
.LBB124_31:                             ;   in Loop: Header=BB124_4 Depth=1
	s_or_b32 exec_lo, exec_lo, s6
	s_and_saveexec_b32 s5, s2
	s_cbranch_execnz .LBB124_41
.LBB124_32:                             ;   in Loop: Header=BB124_4 Depth=1
	s_or_b32 exec_lo, exec_lo, s5
	s_and_saveexec_b32 s2, s3
	s_cbranch_execnz .LBB124_42
.LBB124_33:                             ;   in Loop: Header=BB124_4 Depth=1
	s_or_b32 exec_lo, exec_lo, s2
	s_and_saveexec_b32 s2, s4
	s_cbranch_execz .LBB124_3
	s_branch .LBB124_43
.LBB124_34:                             ;   in Loop: Header=BB124_4 Depth=1
	v_ashrrev_i32_e32 v2, 31, v20
	s_delay_alu instid0(VALU_DEP_1) | instskip(SKIP_1) | instid1(VALU_DEP_2)
	v_add_co_u32 v19, vcc_lo, v19, v2
	v_add_co_ci_u32_e32 v20, vcc_lo, v20, v2, vcc_lo
	v_xor_b32_e32 v27, v19, v2
	s_delay_alu instid0(VALU_DEP_2) | instskip(NEXT) | instid1(VALU_DEP_2)
	v_xor_b32_e32 v28, v20, v2
	v_cvt_f32_u32_e32 v19, v27
	v_sub_co_u32 v59, vcc_lo, 0, v27
	s_delay_alu instid0(VALU_DEP_3) | instskip(SKIP_1) | instid1(VALU_DEP_2)
	v_cvt_f32_u32_e32 v20, v28
	v_sub_co_ci_u32_e32 v60, vcc_lo, 0, v28, vcc_lo
	v_fmac_f32_e32 v19, 0x4f800000, v20
	s_delay_alu instid0(VALU_DEP_1) | instskip(SKIP_2) | instid1(VALU_DEP_1)
	v_rcp_f32_e32 v19, v19
	s_waitcnt_depctr 0xfff
	v_mul_f32_e32 v19, 0x5f7ffffc, v19
	v_mul_f32_e32 v20, 0x2f800000, v19
	s_delay_alu instid0(VALU_DEP_1) | instskip(NEXT) | instid1(VALU_DEP_1)
	v_trunc_f32_e32 v20, v20
	v_fmac_f32_e32 v19, 0xcf800000, v20
	v_cvt_u32_f32_e32 v61, v20
	s_delay_alu instid0(VALU_DEP_2) | instskip(NEXT) | instid1(VALU_DEP_2)
	v_cvt_u32_f32_e32 v62, v19
	v_mul_lo_u32 v23, v59, v61
	s_delay_alu instid0(VALU_DEP_2) | instskip(SKIP_1) | instid1(VALU_DEP_1)
	v_mul_lo_u32 v24, v60, v62
	v_mad_u64_u32 v[19:20], null, v59, v62, 0
	v_add3_u32 v63, v20, v23, v24
	s_delay_alu instid0(VALU_DEP_2) | instskip(SKIP_1) | instid1(VALU_DEP_3)
	v_mul_hi_u32 v64, v62, v19
	v_mad_u64_u32 v[25:26], null, v61, v19, 0
	v_mad_u64_u32 v[23:24], null, v62, v63, 0
	;; [unrolled: 1-line block ×3, first 2 shown]
	s_delay_alu instid0(VALU_DEP_2) | instskip(NEXT) | instid1(VALU_DEP_3)
	v_add_co_u32 v23, vcc_lo, v64, v23
	v_add_co_ci_u32_e32 v24, vcc_lo, 0, v24, vcc_lo
	s_delay_alu instid0(VALU_DEP_2) | instskip(NEXT) | instid1(VALU_DEP_2)
	v_add_co_u32 v23, vcc_lo, v23, v25
	v_add_co_ci_u32_e32 v23, vcc_lo, v24, v26, vcc_lo
	v_add_co_ci_u32_e32 v20, vcc_lo, 0, v20, vcc_lo
	s_delay_alu instid0(VALU_DEP_2) | instskip(NEXT) | instid1(VALU_DEP_2)
	v_add_co_u32 v19, vcc_lo, v23, v19
	v_add_co_ci_u32_e32 v20, vcc_lo, 0, v20, vcc_lo
	s_delay_alu instid0(VALU_DEP_2) | instskip(NEXT) | instid1(VALU_DEP_2)
	v_add_co_u32 v62, vcc_lo, v62, v19
	v_add_co_ci_u32_e32 v61, vcc_lo, v61, v20, vcc_lo
	s_delay_alu instid0(VALU_DEP_2) | instskip(SKIP_1) | instid1(VALU_DEP_3)
	v_mul_lo_u32 v23, v60, v62
	v_mad_u64_u32 v[19:20], null, v59, v62, 0
	v_mul_lo_u32 v24, v59, v61
	s_delay_alu instid0(VALU_DEP_2) | instskip(SKIP_1) | instid1(VALU_DEP_3)
	v_mul_hi_u32 v60, v62, v19
	v_mad_u64_u32 v[25:26], null, v61, v19, 0
	v_add3_u32 v59, v20, v24, v23
	s_delay_alu instid0(VALU_DEP_1) | instskip(SKIP_2) | instid1(VALU_DEP_3)
	v_mad_u64_u32 v[23:24], null, v62, v59, 0
	v_mad_u64_u32 v[19:20], null, v61, v59, 0
	v_ashrrev_i32_e32 v59, 31, v18
	v_add_co_u32 v23, vcc_lo, v60, v23
	s_delay_alu instid0(VALU_DEP_4) | instskip(NEXT) | instid1(VALU_DEP_3)
	v_add_co_ci_u32_e32 v24, vcc_lo, 0, v24, vcc_lo
	v_xor_b32_e32 v2, v59, v2
	s_delay_alu instid0(VALU_DEP_3) | instskip(NEXT) | instid1(VALU_DEP_3)
	v_add_co_u32 v23, vcc_lo, v23, v25
	v_add_co_ci_u32_e32 v23, vcc_lo, v24, v26, vcc_lo
	v_add_co_ci_u32_e32 v20, vcc_lo, 0, v20, vcc_lo
	v_add_co_u32 v17, vcc_lo, v17, v59
	v_add_co_ci_u32_e32 v18, vcc_lo, v18, v59, vcc_lo
	s_delay_alu instid0(VALU_DEP_4) | instskip(NEXT) | instid1(VALU_DEP_4)
	v_add_co_u32 v19, vcc_lo, v23, v19
	v_add_co_ci_u32_e32 v20, vcc_lo, 0, v20, vcc_lo
	s_delay_alu instid0(VALU_DEP_4) | instskip(NEXT) | instid1(VALU_DEP_3)
	v_xor_b32_e32 v25, v17, v59
	v_add_co_u32 v23, vcc_lo, v62, v19
	s_delay_alu instid0(VALU_DEP_3) | instskip(SKIP_1) | instid1(VALU_DEP_3)
	v_add_co_ci_u32_e32 v26, vcc_lo, v61, v20, vcc_lo
	v_xor_b32_e32 v60, v18, v59
	v_mul_hi_u32 v61, v25, v23
	s_delay_alu instid0(VALU_DEP_3) | instskip(NEXT) | instid1(VALU_DEP_3)
	v_mad_u64_u32 v[17:18], null, v25, v26, 0
	v_mad_u64_u32 v[19:20], null, v60, v23, 0
	v_mad_u64_u32 v[23:24], null, v60, v26, 0
	s_delay_alu instid0(VALU_DEP_3) | instskip(NEXT) | instid1(VALU_DEP_4)
	v_add_co_u32 v17, vcc_lo, v61, v17
	v_add_co_ci_u32_e32 v18, vcc_lo, 0, v18, vcc_lo
	s_delay_alu instid0(VALU_DEP_2) | instskip(NEXT) | instid1(VALU_DEP_2)
	v_add_co_u32 v17, vcc_lo, v17, v19
	v_add_co_ci_u32_e32 v17, vcc_lo, v18, v20, vcc_lo
	v_add_co_ci_u32_e32 v18, vcc_lo, 0, v24, vcc_lo
	s_delay_alu instid0(VALU_DEP_2) | instskip(NEXT) | instid1(VALU_DEP_2)
	v_add_co_u32 v19, vcc_lo, v17, v23
	v_add_co_ci_u32_e32 v20, vcc_lo, 0, v18, vcc_lo
	s_delay_alu instid0(VALU_DEP_2) | instskip(SKIP_1) | instid1(VALU_DEP_3)
	v_mul_lo_u32 v23, v28, v19
	v_mad_u64_u32 v[17:18], null, v27, v19, 0
	v_mul_lo_u32 v24, v27, v20
	s_delay_alu instid0(VALU_DEP_2) | instskip(NEXT) | instid1(VALU_DEP_2)
	v_sub_co_u32 v17, vcc_lo, v25, v17
	v_add3_u32 v18, v18, v24, v23
	s_delay_alu instid0(VALU_DEP_1) | instskip(NEXT) | instid1(VALU_DEP_1)
	v_sub_nc_u32_e32 v23, v60, v18
	v_sub_co_ci_u32_e64 v23, s6, v23, v28, vcc_lo
	v_add_co_u32 v24, s6, v19, 2
	s_delay_alu instid0(VALU_DEP_1) | instskip(SKIP_3) | instid1(VALU_DEP_3)
	v_add_co_ci_u32_e64 v25, s6, 0, v20, s6
	v_sub_co_u32 v26, s6, v17, v27
	v_sub_co_ci_u32_e32 v18, vcc_lo, v60, v18, vcc_lo
	v_subrev_co_ci_u32_e64 v23, s6, 0, v23, s6
	v_cmp_ge_u32_e32 vcc_lo, v26, v27
	s_delay_alu instid0(VALU_DEP_3) | instskip(SKIP_1) | instid1(VALU_DEP_4)
	v_cmp_eq_u32_e64 s6, v18, v28
	v_cndmask_b32_e64 v26, 0, -1, vcc_lo
	v_cmp_ge_u32_e32 vcc_lo, v23, v28
	v_cndmask_b32_e64 v60, 0, -1, vcc_lo
	v_cmp_ge_u32_e32 vcc_lo, v17, v27
	v_cndmask_b32_e64 v17, 0, -1, vcc_lo
	v_cmp_ge_u32_e32 vcc_lo, v18, v28
	v_cndmask_b32_e64 v27, 0, -1, vcc_lo
	v_cmp_eq_u32_e32 vcc_lo, v23, v28
	s_delay_alu instid0(VALU_DEP_2) | instskip(SKIP_3) | instid1(VALU_DEP_3)
	v_cndmask_b32_e64 v17, v27, v17, s6
	v_cndmask_b32_e32 v23, v60, v26, vcc_lo
	v_add_co_u32 v26, vcc_lo, v19, 1
	v_add_co_ci_u32_e32 v60, vcc_lo, 0, v20, vcc_lo
	v_cmp_ne_u32_e32 vcc_lo, 0, v23
	s_delay_alu instid0(VALU_DEP_2) | instskip(SKIP_1) | instid1(VALU_DEP_2)
	v_dual_cndmask_b32 v18, v60, v25 :: v_dual_cndmask_b32 v23, v26, v24
	v_cmp_ne_u32_e32 vcc_lo, 0, v17
	v_dual_cndmask_b32 v17, v20, v18 :: v_dual_cndmask_b32 v18, v19, v23
                                        ; implicit-def: $vgpr19_vgpr20
	s_delay_alu instid0(VALU_DEP_1) | instskip(NEXT) | instid1(VALU_DEP_2)
	v_xor_b32_e32 v17, v17, v2
	v_xor_b32_e32 v18, v18, v2
	s_delay_alu instid0(VALU_DEP_1) | instskip(NEXT) | instid1(VALU_DEP_3)
	v_sub_co_u32 v23, vcc_lo, v18, v2
	v_sub_co_ci_u32_e32 v24, vcc_lo, v17, v2, vcc_lo
                                        ; implicit-def: $vgpr17_vgpr18
	s_and_not1_saveexec_b32 s6, s25
	s_cbranch_execz .LBB124_30
.LBB124_35:                             ;   in Loop: Header=BB124_4 Depth=1
	v_cvt_f32_u32_e32 v2, v19
	v_sub_nc_u32_e32 v18, 0, v19
	v_mov_b32_e32 v24, v1
	s_delay_alu instid0(VALU_DEP_3) | instskip(SKIP_2) | instid1(VALU_DEP_1)
	v_rcp_iflag_f32_e32 v2, v2
	s_waitcnt_depctr 0xfff
	v_mul_f32_e32 v2, 0x4f7ffffe, v2
	v_cvt_u32_f32_e32 v2, v2
	s_delay_alu instid0(VALU_DEP_1) | instskip(NEXT) | instid1(VALU_DEP_1)
	v_mul_lo_u32 v18, v18, v2
	v_mul_hi_u32 v18, v2, v18
	s_delay_alu instid0(VALU_DEP_1) | instskip(NEXT) | instid1(VALU_DEP_1)
	v_add_nc_u32_e32 v2, v2, v18
	v_mul_hi_u32 v2, v17, v2
	s_delay_alu instid0(VALU_DEP_1) | instskip(NEXT) | instid1(VALU_DEP_1)
	v_mul_lo_u32 v18, v2, v19
	v_sub_nc_u32_e32 v17, v17, v18
	v_add_nc_u32_e32 v18, 1, v2
	s_delay_alu instid0(VALU_DEP_2) | instskip(SKIP_1) | instid1(VALU_DEP_2)
	v_sub_nc_u32_e32 v20, v17, v19
	v_cmp_ge_u32_e32 vcc_lo, v17, v19
	v_dual_cndmask_b32 v17, v17, v20 :: v_dual_cndmask_b32 v2, v2, v18
	s_delay_alu instid0(VALU_DEP_1) | instskip(NEXT) | instid1(VALU_DEP_2)
	v_cmp_ge_u32_e32 vcc_lo, v17, v19
	v_add_nc_u32_e32 v18, 1, v2
	s_delay_alu instid0(VALU_DEP_1)
	v_cndmask_b32_e32 v23, v2, v18, vcc_lo
	s_or_b32 exec_lo, exec_lo, s6
	s_and_saveexec_b32 s6, s5
	s_cbranch_execz .LBB124_31
.LBB124_36:                             ;   in Loop: Header=BB124_4 Depth=1
	v_or_b32_e32 v2, v12, v14
                                        ; implicit-def: $vgpr17_vgpr18
	s_mov_b32 s5, exec_lo
	s_delay_alu instid0(VALU_DEP_1)
	v_cmpx_ne_u64_e32 0, v[1:2]
	s_xor_b32 s25, exec_lo, s5
	s_cbranch_execz .LBB124_38
; %bb.37:                               ;   in Loop: Header=BB124_4 Depth=1
	v_ashrrev_i32_e32 v2, 31, v14
	s_delay_alu instid0(VALU_DEP_1) | instskip(SKIP_1) | instid1(VALU_DEP_2)
	v_add_co_u32 v13, vcc_lo, v13, v2
	v_add_co_ci_u32_e32 v14, vcc_lo, v14, v2, vcc_lo
	v_xor_b32_e32 v25, v13, v2
	s_delay_alu instid0(VALU_DEP_2) | instskip(NEXT) | instid1(VALU_DEP_2)
	v_xor_b32_e32 v26, v14, v2
	v_cvt_f32_u32_e32 v13, v25
	v_sub_co_u32 v27, vcc_lo, 0, v25
	s_delay_alu instid0(VALU_DEP_3) | instskip(SKIP_1) | instid1(VALU_DEP_2)
	v_cvt_f32_u32_e32 v14, v26
	v_sub_co_ci_u32_e32 v28, vcc_lo, 0, v26, vcc_lo
	v_fmac_f32_e32 v13, 0x4f800000, v14
	s_delay_alu instid0(VALU_DEP_1) | instskip(SKIP_2) | instid1(VALU_DEP_1)
	v_rcp_f32_e32 v13, v13
	s_waitcnt_depctr 0xfff
	v_mul_f32_e32 v13, 0x5f7ffffc, v13
	v_mul_f32_e32 v14, 0x2f800000, v13
	s_delay_alu instid0(VALU_DEP_1) | instskip(NEXT) | instid1(VALU_DEP_1)
	v_trunc_f32_e32 v14, v14
	v_fmac_f32_e32 v13, 0xcf800000, v14
	v_cvt_u32_f32_e32 v59, v14
	s_delay_alu instid0(VALU_DEP_2) | instskip(NEXT) | instid1(VALU_DEP_2)
	v_cvt_u32_f32_e32 v60, v13
	v_mul_lo_u32 v17, v27, v59
	s_delay_alu instid0(VALU_DEP_2) | instskip(SKIP_1) | instid1(VALU_DEP_1)
	v_mul_lo_u32 v18, v28, v60
	v_mad_u64_u32 v[13:14], null, v27, v60, 0
	v_add3_u32 v61, v14, v17, v18
	s_delay_alu instid0(VALU_DEP_2) | instskip(SKIP_1) | instid1(VALU_DEP_3)
	v_mul_hi_u32 v62, v60, v13
	v_mad_u64_u32 v[19:20], null, v59, v13, 0
	v_mad_u64_u32 v[17:18], null, v60, v61, 0
	;; [unrolled: 1-line block ×3, first 2 shown]
	s_delay_alu instid0(VALU_DEP_2) | instskip(NEXT) | instid1(VALU_DEP_3)
	v_add_co_u32 v17, vcc_lo, v62, v17
	v_add_co_ci_u32_e32 v18, vcc_lo, 0, v18, vcc_lo
	s_delay_alu instid0(VALU_DEP_2) | instskip(NEXT) | instid1(VALU_DEP_2)
	v_add_co_u32 v17, vcc_lo, v17, v19
	v_add_co_ci_u32_e32 v17, vcc_lo, v18, v20, vcc_lo
	v_add_co_ci_u32_e32 v14, vcc_lo, 0, v14, vcc_lo
	s_delay_alu instid0(VALU_DEP_2) | instskip(NEXT) | instid1(VALU_DEP_2)
	v_add_co_u32 v13, vcc_lo, v17, v13
	v_add_co_ci_u32_e32 v14, vcc_lo, 0, v14, vcc_lo
	s_delay_alu instid0(VALU_DEP_2) | instskip(NEXT) | instid1(VALU_DEP_2)
	v_add_co_u32 v60, vcc_lo, v60, v13
	v_add_co_ci_u32_e32 v59, vcc_lo, v59, v14, vcc_lo
	s_delay_alu instid0(VALU_DEP_2) | instskip(SKIP_1) | instid1(VALU_DEP_3)
	v_mul_lo_u32 v17, v28, v60
	v_mad_u64_u32 v[13:14], null, v27, v60, 0
	v_mul_lo_u32 v18, v27, v59
	s_delay_alu instid0(VALU_DEP_2) | instskip(SKIP_1) | instid1(VALU_DEP_3)
	v_mul_hi_u32 v28, v60, v13
	v_mad_u64_u32 v[19:20], null, v59, v13, 0
	v_add3_u32 v27, v14, v18, v17
	s_delay_alu instid0(VALU_DEP_1) | instskip(SKIP_2) | instid1(VALU_DEP_3)
	v_mad_u64_u32 v[17:18], null, v60, v27, 0
	v_mad_u64_u32 v[13:14], null, v59, v27, 0
	v_ashrrev_i32_e32 v27, 31, v12
	v_add_co_u32 v17, vcc_lo, v28, v17
	s_delay_alu instid0(VALU_DEP_4) | instskip(NEXT) | instid1(VALU_DEP_3)
	v_add_co_ci_u32_e32 v18, vcc_lo, 0, v18, vcc_lo
	v_xor_b32_e32 v2, v27, v2
	s_delay_alu instid0(VALU_DEP_3) | instskip(NEXT) | instid1(VALU_DEP_3)
	v_add_co_u32 v17, vcc_lo, v17, v19
	v_add_co_ci_u32_e32 v17, vcc_lo, v18, v20, vcc_lo
	v_add_co_ci_u32_e32 v14, vcc_lo, 0, v14, vcc_lo
	v_add_co_u32 v11, vcc_lo, v11, v27
	v_add_co_ci_u32_e32 v12, vcc_lo, v12, v27, vcc_lo
	s_delay_alu instid0(VALU_DEP_4) | instskip(NEXT) | instid1(VALU_DEP_4)
	v_add_co_u32 v13, vcc_lo, v17, v13
	v_add_co_ci_u32_e32 v14, vcc_lo, 0, v14, vcc_lo
	s_delay_alu instid0(VALU_DEP_4) | instskip(NEXT) | instid1(VALU_DEP_3)
	v_xor_b32_e32 v19, v11, v27
	v_add_co_u32 v17, vcc_lo, v60, v13
	s_delay_alu instid0(VALU_DEP_3) | instskip(SKIP_1) | instid1(VALU_DEP_3)
	v_add_co_ci_u32_e32 v20, vcc_lo, v59, v14, vcc_lo
	v_xor_b32_e32 v28, v12, v27
	v_mul_hi_u32 v59, v19, v17
	s_delay_alu instid0(VALU_DEP_3) | instskip(NEXT) | instid1(VALU_DEP_3)
	v_mad_u64_u32 v[11:12], null, v19, v20, 0
	v_mad_u64_u32 v[13:14], null, v28, v17, 0
	;; [unrolled: 1-line block ×3, first 2 shown]
	s_delay_alu instid0(VALU_DEP_3) | instskip(NEXT) | instid1(VALU_DEP_4)
	v_add_co_u32 v11, vcc_lo, v59, v11
	v_add_co_ci_u32_e32 v12, vcc_lo, 0, v12, vcc_lo
	s_delay_alu instid0(VALU_DEP_2) | instskip(NEXT) | instid1(VALU_DEP_2)
	v_add_co_u32 v11, vcc_lo, v11, v13
	v_add_co_ci_u32_e32 v11, vcc_lo, v12, v14, vcc_lo
	v_add_co_ci_u32_e32 v12, vcc_lo, 0, v18, vcc_lo
	s_delay_alu instid0(VALU_DEP_2) | instskip(NEXT) | instid1(VALU_DEP_2)
	v_add_co_u32 v13, vcc_lo, v11, v17
	v_add_co_ci_u32_e32 v14, vcc_lo, 0, v12, vcc_lo
	s_delay_alu instid0(VALU_DEP_2) | instskip(SKIP_1) | instid1(VALU_DEP_3)
	v_mul_lo_u32 v17, v26, v13
	v_mad_u64_u32 v[11:12], null, v25, v13, 0
	v_mul_lo_u32 v18, v25, v14
	s_delay_alu instid0(VALU_DEP_2) | instskip(NEXT) | instid1(VALU_DEP_2)
	v_sub_co_u32 v11, vcc_lo, v19, v11
	v_add3_u32 v12, v12, v18, v17
	s_delay_alu instid0(VALU_DEP_1) | instskip(NEXT) | instid1(VALU_DEP_1)
	v_sub_nc_u32_e32 v17, v28, v12
	v_sub_co_ci_u32_e64 v17, s5, v17, v26, vcc_lo
	v_add_co_u32 v18, s5, v13, 2
	s_delay_alu instid0(VALU_DEP_1) | instskip(SKIP_3) | instid1(VALU_DEP_3)
	v_add_co_ci_u32_e64 v19, s5, 0, v14, s5
	v_sub_co_u32 v20, s5, v11, v25
	v_sub_co_ci_u32_e32 v12, vcc_lo, v28, v12, vcc_lo
	v_subrev_co_ci_u32_e64 v17, s5, 0, v17, s5
	v_cmp_ge_u32_e32 vcc_lo, v20, v25
	s_delay_alu instid0(VALU_DEP_3) | instskip(SKIP_1) | instid1(VALU_DEP_4)
	v_cmp_eq_u32_e64 s5, v12, v26
	v_cndmask_b32_e64 v20, 0, -1, vcc_lo
	v_cmp_ge_u32_e32 vcc_lo, v17, v26
	v_cndmask_b32_e64 v28, 0, -1, vcc_lo
	v_cmp_ge_u32_e32 vcc_lo, v11, v25
	;; [unrolled: 2-line block ×3, first 2 shown]
	v_cndmask_b32_e64 v25, 0, -1, vcc_lo
	v_cmp_eq_u32_e32 vcc_lo, v17, v26
	s_delay_alu instid0(VALU_DEP_2) | instskip(SKIP_3) | instid1(VALU_DEP_3)
	v_cndmask_b32_e64 v11, v25, v11, s5
	v_cndmask_b32_e32 v17, v28, v20, vcc_lo
	v_add_co_u32 v20, vcc_lo, v13, 1
	v_add_co_ci_u32_e32 v28, vcc_lo, 0, v14, vcc_lo
	v_cmp_ne_u32_e32 vcc_lo, 0, v17
	s_delay_alu instid0(VALU_DEP_2) | instskip(NEXT) | instid1(VALU_DEP_4)
	v_cndmask_b32_e32 v12, v28, v19, vcc_lo
	v_cndmask_b32_e32 v17, v20, v18, vcc_lo
	v_cmp_ne_u32_e32 vcc_lo, 0, v11
	s_delay_alu instid0(VALU_DEP_2) | instskip(NEXT) | instid1(VALU_DEP_1)
	v_dual_cndmask_b32 v11, v14, v12 :: v_dual_cndmask_b32 v12, v13, v17
                                        ; implicit-def: $vgpr13_vgpr14
	v_xor_b32_e32 v11, v11, v2
	s_delay_alu instid0(VALU_DEP_2) | instskip(NEXT) | instid1(VALU_DEP_1)
	v_xor_b32_e32 v12, v12, v2
	v_sub_co_u32 v17, vcc_lo, v12, v2
	s_delay_alu instid0(VALU_DEP_3)
	v_sub_co_ci_u32_e32 v18, vcc_lo, v11, v2, vcc_lo
                                        ; implicit-def: $vgpr11_vgpr12
.LBB124_38:                             ;   in Loop: Header=BB124_4 Depth=1
	s_and_not1_saveexec_b32 s5, s25
	s_cbranch_execz .LBB124_40
; %bb.39:                               ;   in Loop: Header=BB124_4 Depth=1
	v_cvt_f32_u32_e32 v2, v13
	v_sub_nc_u32_e32 v12, 0, v13
	v_mov_b32_e32 v18, v1
	s_delay_alu instid0(VALU_DEP_3) | instskip(SKIP_2) | instid1(VALU_DEP_1)
	v_rcp_iflag_f32_e32 v2, v2
	s_waitcnt_depctr 0xfff
	v_mul_f32_e32 v2, 0x4f7ffffe, v2
	v_cvt_u32_f32_e32 v2, v2
	s_delay_alu instid0(VALU_DEP_1) | instskip(NEXT) | instid1(VALU_DEP_1)
	v_mul_lo_u32 v12, v12, v2
	v_mul_hi_u32 v12, v2, v12
	s_delay_alu instid0(VALU_DEP_1) | instskip(NEXT) | instid1(VALU_DEP_1)
	v_add_nc_u32_e32 v2, v2, v12
	v_mul_hi_u32 v2, v11, v2
	s_delay_alu instid0(VALU_DEP_1) | instskip(NEXT) | instid1(VALU_DEP_1)
	v_mul_lo_u32 v12, v2, v13
	v_sub_nc_u32_e32 v11, v11, v12
	v_add_nc_u32_e32 v12, 1, v2
	s_delay_alu instid0(VALU_DEP_2) | instskip(SKIP_1) | instid1(VALU_DEP_2)
	v_sub_nc_u32_e32 v14, v11, v13
	v_cmp_ge_u32_e32 vcc_lo, v11, v13
	v_dual_cndmask_b32 v11, v11, v14 :: v_dual_cndmask_b32 v2, v2, v12
	s_delay_alu instid0(VALU_DEP_1) | instskip(NEXT) | instid1(VALU_DEP_2)
	v_cmp_ge_u32_e32 vcc_lo, v11, v13
	v_add_nc_u32_e32 v12, 1, v2
	s_delay_alu instid0(VALU_DEP_1)
	v_cndmask_b32_e32 v17, v2, v12, vcc_lo
.LBB124_40:                             ;   in Loop: Header=BB124_4 Depth=1
	s_or_b32 exec_lo, exec_lo, s5
	s_delay_alu instid0(VALU_DEP_1) | instskip(SKIP_4) | instid1(VALU_DEP_3)
	v_mad_u64_u32 v[11:12], null, v17, s8, v[3:4]
	v_mul_lo_u32 v4, v17, s9
	v_mul_lo_u32 v13, v18, s8
	v_add_co_u32 v2, vcc_lo, v29, s12
	v_add_co_ci_u32_e32 v3, vcc_lo, s13, v30, vcc_lo
	v_add3_u32 v12, v13, v12, v4
	global_store_b64 v[2:3], v[11:12], off
	s_or_b32 exec_lo, exec_lo, s6
	s_and_saveexec_b32 s5, s2
	s_cbranch_execz .LBB124_32
.LBB124_41:                             ;   in Loop: Header=BB124_4 Depth=1
	v_mad_u64_u32 v[2:3], null, v15, s8, v[5:6]
	v_mul_lo_u32 v4, v15, s9
	v_mul_lo_u32 v5, v16, s8
	s_delay_alu instid0(VALU_DEP_1)
	v_add3_u32 v3, v5, v3, v4
	v_add_co_u32 v4, vcc_lo, v53, s12
	v_add_co_ci_u32_e32 v5, vcc_lo, s13, v54, vcc_lo
	global_store_b64 v[4:5], v[2:3], off
	s_or_b32 exec_lo, exec_lo, s5
	s_and_saveexec_b32 s2, s3
	s_cbranch_execz .LBB124_33
.LBB124_42:                             ;   in Loop: Header=BB124_4 Depth=1
	v_mad_u64_u32 v[2:3], null, v21, s8, v[7:8]
	v_mul_lo_u32 v4, v21, s9
	v_mul_lo_u32 v5, v22, s8
	s_delay_alu instid0(VALU_DEP_1)
	v_add3_u32 v3, v5, v3, v4
	v_add_co_u32 v4, vcc_lo, v43, s12
	v_add_co_ci_u32_e32 v5, vcc_lo, s13, v44, vcc_lo
	global_store_b64 v[4:5], v[2:3], off
	s_or_b32 exec_lo, exec_lo, s2
	s_and_saveexec_b32 s2, s4
	s_cbranch_execz .LBB124_3
.LBB124_43:                             ;   in Loop: Header=BB124_4 Depth=1
	v_mad_u64_u32 v[2:3], null, v23, s8, v[9:10]
	v_mul_lo_u32 v4, v23, s9
	v_mul_lo_u32 v5, v24, s8
	s_delay_alu instid0(VALU_DEP_1)
	v_add3_u32 v3, v5, v3, v4
	v_add_co_u32 v4, vcc_lo, v35, s12
	v_add_co_ci_u32_e32 v5, vcc_lo, s13, v36, vcc_lo
	global_store_b64 v[4:5], v[2:3], off
	s_branch .LBB124_3
.LBB124_44:
	s_mov_b32 s14, 0
.LBB124_45:
	s_delay_alu instid0(SALU_CYCLE_1)
	s_and_not1_b32 vcc_lo, exec_lo, s14
	s_cbranch_vccnz .LBB124_65
; %bb.46:
	v_dual_mov_b32 v24, 0 :: v_dual_lshlrev_b32 v1, 2, v0
	s_mov_b32 s2, 0
	s_mov_b32 s3, exec_lo
	s_delay_alu instid0(VALU_DEP_1) | instskip(NEXT) | instid1(VALU_DEP_1)
	v_mov_b32_e32 v2, v24
	v_cmpx_gt_i64_e64 s[10:11], v[1:2]
	s_cbranch_execz .LBB124_65
; %bb.47:
	s_load_b32 s0, s[0:1], 0xdd4
	v_dual_mov_b32 v27, v24 :: v_dual_lshlrev_b32 v32, 5, v0
	s_waitcnt lgkmcnt(0)
	s_and_b32 s0, s0, 0xffff
	s_delay_alu instid0(SALU_CYCLE_1)
	v_add_lshl_u32 v26, v0, s0, 2
	s_lshl_b32 s1, s0, 2
	s_lshl_b32 s3, s0, 5
	s_branch .LBB124_49
.LBB124_48:                             ;   in Loop: Header=BB124_49 Depth=1
	s_or_b32 exec_lo, exec_lo, s0
	v_cmp_le_i64_e32 vcc_lo, s[10:11], v[26:27]
	v_cmp_lt_u64_e64 s0, 0xffff, v[26:27]
	v_mul_lo_u32 v14, v18, s9
	s_waitcnt vmcnt(1)
	v_mad_u64_u32 v[10:11], null, v18, s8, v[0:1]
	v_mul_lo_u32 v0, v16, s9
	v_mul_lo_u32 v1, v17, s8
	s_waitcnt vmcnt(0)
	v_mad_u64_u32 v[17:18], null, v16, s8, v[6:7]
	v_mul_lo_u32 v6, v30, s9
	v_mul_lo_u32 v7, v31, s8
	v_mad_u64_u32 v[15:16], null, v30, s8, v[4:5]
	v_mul_lo_u32 v19, v19, s8
	v_mul_lo_u32 v4, v8, s9
	;; [unrolled: 1-line block ×3, first 2 shown]
	v_mad_u64_u32 v[12:13], null, v8, s8, v[2:3]
	s_or_b32 s0, vcc_lo, s0
	s_add_u32 s18, s18, s3
	s_addc_u32 s19, s19, 0
	s_add_u32 s22, s22, s3
	v_add_co_u32 v26, vcc_lo, v26, s1
	s_addc_u32 s23, s23, 0
	s_add_u32 s20, s20, s3
	v_add3_u32 v18, v1, v18, v0
	v_add3_u32 v16, v7, v16, v6
	v_add_co_ci_u32_e32 v27, vcc_lo, 0, v27, vcc_lo
	s_addc_u32 s21, s21, 0
	v_add3_u32 v11, v19, v11, v14
	v_add3_u32 v13, v5, v13, v4
	s_and_b32 s0, exec_lo, s0
	s_clause 0x1
	global_store_b128 v[28:29], v[15:18], off
	global_store_b128 v[28:29], v[10:13], off offset:16
	s_or_b32 s2, s0, s2
	s_delay_alu instid0(SALU_CYCLE_1)
	s_and_not1_b32 exec_lo, exec_lo, s2
	s_cbranch_execz .LBB124_65
.LBB124_49:                             ; =>This Inner Loop Header: Depth=1
	v_add_co_u32 v0, s0, s20, v32
	s_delay_alu instid0(VALU_DEP_1) | instskip(SKIP_1) | instid1(VALU_DEP_1)
	v_add_co_ci_u32_e64 v1, null, s21, 0, s0
	v_add_co_u32 v2, s0, s22, v32
	v_add_co_ci_u32_e64 v3, null, s23, 0, s0
	v_add_co_u32 v28, s0, s18, v32
	global_load_b128 v[16:19], v[0:1], off
	global_load_b128 v[20:23], v[2:3], off
	v_add_co_ci_u32_e64 v29, null, s19, 0, s0
	global_load_b128 v[8:11], v[0:1], off offset:16
	global_load_b128 v[12:15], v[2:3], off offset:16
	s_clause 0x1
	global_load_b128 v[0:3], v[28:29], off offset:16
	global_load_b128 v[4:7], v[28:29], off
                                        ; implicit-def: $vgpr30_vgpr31
	s_mov_b32 s0, exec_lo
	s_waitcnt vmcnt(4)
	v_or_b32_e32 v25, v17, v21
	s_delay_alu instid0(VALU_DEP_1)
	v_cmpx_ne_u64_e32 0, v[24:25]
	s_xor_b32 s4, exec_lo, s0
	s_cbranch_execz .LBB124_51
; %bb.50:                               ;   in Loop: Header=BB124_49 Depth=1
	v_ashrrev_i32_e32 v25, 31, v21
	s_delay_alu instid0(VALU_DEP_1) | instskip(SKIP_1) | instid1(VALU_DEP_2)
	v_add_co_u32 v20, vcc_lo, v20, v25
	v_add_co_ci_u32_e32 v21, vcc_lo, v21, v25, vcc_lo
	v_xor_b32_e32 v35, v20, v25
	s_delay_alu instid0(VALU_DEP_2) | instskip(NEXT) | instid1(VALU_DEP_2)
	v_xor_b32_e32 v36, v21, v25
	v_cvt_f32_u32_e32 v20, v35
	v_sub_co_u32 v37, vcc_lo, 0, v35
	s_delay_alu instid0(VALU_DEP_3) | instskip(SKIP_1) | instid1(VALU_DEP_2)
	v_cvt_f32_u32_e32 v21, v36
	v_sub_co_ci_u32_e32 v38, vcc_lo, 0, v36, vcc_lo
	v_fmac_f32_e32 v20, 0x4f800000, v21
	s_delay_alu instid0(VALU_DEP_1) | instskip(SKIP_2) | instid1(VALU_DEP_1)
	v_rcp_f32_e32 v20, v20
	s_waitcnt_depctr 0xfff
	v_mul_f32_e32 v20, 0x5f7ffffc, v20
	v_mul_f32_e32 v21, 0x2f800000, v20
	s_delay_alu instid0(VALU_DEP_1) | instskip(NEXT) | instid1(VALU_DEP_1)
	v_trunc_f32_e32 v21, v21
	v_fmac_f32_e32 v20, 0xcf800000, v21
	v_cvt_u32_f32_e32 v39, v21
	s_delay_alu instid0(VALU_DEP_2) | instskip(NEXT) | instid1(VALU_DEP_2)
	v_cvt_u32_f32_e32 v40, v20
	v_mul_lo_u32 v30, v37, v39
	s_delay_alu instid0(VALU_DEP_2) | instskip(SKIP_1) | instid1(VALU_DEP_1)
	v_mul_lo_u32 v31, v38, v40
	v_mad_u64_u32 v[20:21], null, v37, v40, 0
	v_add3_u32 v41, v21, v30, v31
	s_delay_alu instid0(VALU_DEP_2) | instskip(SKIP_1) | instid1(VALU_DEP_3)
	v_mul_hi_u32 v42, v40, v20
	v_mad_u64_u32 v[33:34], null, v39, v20, 0
	v_mad_u64_u32 v[30:31], null, v40, v41, 0
	;; [unrolled: 1-line block ×3, first 2 shown]
	s_delay_alu instid0(VALU_DEP_2) | instskip(NEXT) | instid1(VALU_DEP_3)
	v_add_co_u32 v30, vcc_lo, v42, v30
	v_add_co_ci_u32_e32 v31, vcc_lo, 0, v31, vcc_lo
	s_delay_alu instid0(VALU_DEP_2) | instskip(NEXT) | instid1(VALU_DEP_2)
	v_add_co_u32 v30, vcc_lo, v30, v33
	v_add_co_ci_u32_e32 v30, vcc_lo, v31, v34, vcc_lo
	v_add_co_ci_u32_e32 v21, vcc_lo, 0, v21, vcc_lo
	s_delay_alu instid0(VALU_DEP_2) | instskip(NEXT) | instid1(VALU_DEP_2)
	v_add_co_u32 v20, vcc_lo, v30, v20
	v_add_co_ci_u32_e32 v21, vcc_lo, 0, v21, vcc_lo
	s_delay_alu instid0(VALU_DEP_2) | instskip(NEXT) | instid1(VALU_DEP_2)
	v_add_co_u32 v40, vcc_lo, v40, v20
	v_add_co_ci_u32_e32 v39, vcc_lo, v39, v21, vcc_lo
	s_delay_alu instid0(VALU_DEP_2) | instskip(SKIP_1) | instid1(VALU_DEP_3)
	v_mul_lo_u32 v30, v38, v40
	v_mad_u64_u32 v[20:21], null, v37, v40, 0
	v_mul_lo_u32 v31, v37, v39
	s_delay_alu instid0(VALU_DEP_2) | instskip(SKIP_1) | instid1(VALU_DEP_3)
	v_mul_hi_u32 v38, v40, v20
	v_mad_u64_u32 v[33:34], null, v39, v20, 0
	v_add3_u32 v37, v21, v31, v30
	s_delay_alu instid0(VALU_DEP_1) | instskip(SKIP_2) | instid1(VALU_DEP_3)
	v_mad_u64_u32 v[30:31], null, v40, v37, 0
	v_mad_u64_u32 v[20:21], null, v39, v37, 0
	v_ashrrev_i32_e32 v37, 31, v17
	v_add_co_u32 v30, vcc_lo, v38, v30
	s_delay_alu instid0(VALU_DEP_4) | instskip(NEXT) | instid1(VALU_DEP_2)
	v_add_co_ci_u32_e32 v31, vcc_lo, 0, v31, vcc_lo
	v_add_co_u32 v30, vcc_lo, v30, v33
	s_delay_alu instid0(VALU_DEP_2) | instskip(SKIP_3) | instid1(VALU_DEP_4)
	v_add_co_ci_u32_e32 v30, vcc_lo, v31, v34, vcc_lo
	v_add_co_ci_u32_e32 v21, vcc_lo, 0, v21, vcc_lo
	v_add_co_u32 v16, vcc_lo, v16, v37
	v_add_co_ci_u32_e32 v17, vcc_lo, v17, v37, vcc_lo
	v_add_co_u32 v20, vcc_lo, v30, v20
	s_delay_alu instid0(VALU_DEP_4) | instskip(NEXT) | instid1(VALU_DEP_4)
	v_add_co_ci_u32_e32 v21, vcc_lo, 0, v21, vcc_lo
	v_xor_b32_e32 v33, v16, v37
	s_delay_alu instid0(VALU_DEP_3) | instskip(NEXT) | instid1(VALU_DEP_3)
	v_add_co_u32 v30, vcc_lo, v40, v20
	v_add_co_ci_u32_e32 v34, vcc_lo, v39, v21, vcc_lo
	v_xor_b32_e32 v38, v17, v37
	s_delay_alu instid0(VALU_DEP_3) | instskip(NEXT) | instid1(VALU_DEP_3)
	v_mul_hi_u32 v39, v33, v30
	v_mad_u64_u32 v[16:17], null, v33, v34, 0
	s_delay_alu instid0(VALU_DEP_3) | instskip(SKIP_1) | instid1(VALU_DEP_3)
	v_mad_u64_u32 v[20:21], null, v38, v30, 0
	v_mad_u64_u32 v[30:31], null, v38, v34, 0
	v_add_co_u32 v16, vcc_lo, v39, v16
	s_delay_alu instid0(VALU_DEP_4) | instskip(NEXT) | instid1(VALU_DEP_2)
	v_add_co_ci_u32_e32 v17, vcc_lo, 0, v17, vcc_lo
	v_add_co_u32 v16, vcc_lo, v16, v20
	s_delay_alu instid0(VALU_DEP_2) | instskip(SKIP_1) | instid1(VALU_DEP_2)
	v_add_co_ci_u32_e32 v16, vcc_lo, v17, v21, vcc_lo
	v_add_co_ci_u32_e32 v17, vcc_lo, 0, v31, vcc_lo
	v_add_co_u32 v20, vcc_lo, v16, v30
	s_delay_alu instid0(VALU_DEP_2) | instskip(NEXT) | instid1(VALU_DEP_2)
	v_add_co_ci_u32_e32 v21, vcc_lo, 0, v17, vcc_lo
	v_mul_lo_u32 v30, v36, v20
	v_mad_u64_u32 v[16:17], null, v35, v20, 0
	s_delay_alu instid0(VALU_DEP_3) | instskip(NEXT) | instid1(VALU_DEP_2)
	v_mul_lo_u32 v31, v35, v21
	v_sub_co_u32 v16, vcc_lo, v33, v16
	s_delay_alu instid0(VALU_DEP_2) | instskip(NEXT) | instid1(VALU_DEP_1)
	v_add3_u32 v17, v17, v31, v30
	v_sub_nc_u32_e32 v30, v38, v17
	s_delay_alu instid0(VALU_DEP_1) | instskip(SKIP_1) | instid1(VALU_DEP_1)
	v_sub_co_ci_u32_e64 v30, s0, v30, v36, vcc_lo
	v_add_co_u32 v31, s0, v20, 2
	v_add_co_ci_u32_e64 v33, s0, 0, v21, s0
	v_sub_co_u32 v34, s0, v16, v35
	v_sub_co_ci_u32_e32 v17, vcc_lo, v38, v17, vcc_lo
	v_subrev_co_ci_u32_e64 v30, s0, 0, v30, s0
	s_delay_alu instid0(VALU_DEP_3) | instskip(NEXT) | instid1(VALU_DEP_3)
	v_cmp_ge_u32_e32 vcc_lo, v34, v35
	v_cmp_eq_u32_e64 s0, v17, v36
	v_cndmask_b32_e64 v34, 0, -1, vcc_lo
	s_delay_alu instid0(VALU_DEP_4)
	v_cmp_ge_u32_e32 vcc_lo, v30, v36
	v_cndmask_b32_e64 v38, 0, -1, vcc_lo
	v_cmp_ge_u32_e32 vcc_lo, v16, v35
	v_cndmask_b32_e64 v16, 0, -1, vcc_lo
	;; [unrolled: 2-line block ×3, first 2 shown]
	v_cmp_eq_u32_e32 vcc_lo, v30, v36
	s_delay_alu instid0(VALU_DEP_2) | instskip(SKIP_3) | instid1(VALU_DEP_3)
	v_cndmask_b32_e64 v16, v35, v16, s0
	v_cndmask_b32_e32 v30, v38, v34, vcc_lo
	v_add_co_u32 v34, vcc_lo, v20, 1
	v_add_co_ci_u32_e32 v38, vcc_lo, 0, v21, vcc_lo
	v_cmp_ne_u32_e32 vcc_lo, 0, v30
	s_delay_alu instid0(VALU_DEP_2) | instskip(NEXT) | instid1(VALU_DEP_4)
	v_cndmask_b32_e32 v17, v38, v33, vcc_lo
	v_cndmask_b32_e32 v30, v34, v31, vcc_lo
	v_cmp_ne_u32_e32 vcc_lo, 0, v16
	v_xor_b32_e32 v16, v37, v25
	s_delay_alu instid0(VALU_DEP_3) | instskip(NEXT) | instid1(VALU_DEP_1)
	v_dual_cndmask_b32 v17, v21, v17 :: v_dual_cndmask_b32 v20, v20, v30
	v_xor_b32_e32 v17, v17, v16
	s_delay_alu instid0(VALU_DEP_2) | instskip(NEXT) | instid1(VALU_DEP_1)
	v_xor_b32_e32 v20, v20, v16
	v_sub_co_u32 v30, vcc_lo, v20, v16
	s_delay_alu instid0(VALU_DEP_3)
	v_sub_co_ci_u32_e32 v31, vcc_lo, v17, v16, vcc_lo
.LBB124_51:                             ;   in Loop: Header=BB124_49 Depth=1
	s_and_not1_saveexec_b32 s0, s4
	s_cbranch_execz .LBB124_53
; %bb.52:                               ;   in Loop: Header=BB124_49 Depth=1
	v_cvt_f32_u32_e32 v17, v20
	v_sub_nc_u32_e32 v21, 0, v20
	v_mov_b32_e32 v31, v24
	s_delay_alu instid0(VALU_DEP_3) | instskip(SKIP_2) | instid1(VALU_DEP_1)
	v_rcp_iflag_f32_e32 v17, v17
	s_waitcnt_depctr 0xfff
	v_mul_f32_e32 v17, 0x4f7ffffe, v17
	v_cvt_u32_f32_e32 v17, v17
	s_delay_alu instid0(VALU_DEP_1) | instskip(NEXT) | instid1(VALU_DEP_1)
	v_mul_lo_u32 v21, v21, v17
	v_mul_hi_u32 v21, v17, v21
	s_delay_alu instid0(VALU_DEP_1) | instskip(NEXT) | instid1(VALU_DEP_1)
	v_add_nc_u32_e32 v17, v17, v21
	v_mul_hi_u32 v17, v16, v17
	s_delay_alu instid0(VALU_DEP_1) | instskip(NEXT) | instid1(VALU_DEP_1)
	v_mul_lo_u32 v21, v17, v20
	v_sub_nc_u32_e32 v16, v16, v21
	v_add_nc_u32_e32 v21, 1, v17
	s_delay_alu instid0(VALU_DEP_2) | instskip(SKIP_1) | instid1(VALU_DEP_2)
	v_sub_nc_u32_e32 v25, v16, v20
	v_cmp_ge_u32_e32 vcc_lo, v16, v20
	v_cndmask_b32_e32 v16, v16, v25, vcc_lo
	s_delay_alu instid0(VALU_DEP_4) | instskip(NEXT) | instid1(VALU_DEP_2)
	v_cndmask_b32_e32 v17, v17, v21, vcc_lo
	v_cmp_ge_u32_e32 vcc_lo, v16, v20
	s_delay_alu instid0(VALU_DEP_2) | instskip(NEXT) | instid1(VALU_DEP_1)
	v_add_nc_u32_e32 v21, 1, v17
	v_cndmask_b32_e32 v30, v17, v21, vcc_lo
.LBB124_53:                             ;   in Loop: Header=BB124_49 Depth=1
	s_or_b32 exec_lo, exec_lo, s0
	v_or_b32_e32 v25, v19, v23
                                        ; implicit-def: $vgpr16_vgpr17
	s_mov_b32 s0, exec_lo
	s_delay_alu instid0(VALU_DEP_1)
	v_cmpx_ne_u64_e32 0, v[24:25]
	s_xor_b32 s4, exec_lo, s0
	s_cbranch_execz .LBB124_55
; %bb.54:                               ;   in Loop: Header=BB124_49 Depth=1
	v_ashrrev_i32_e32 v25, 31, v23
	s_delay_alu instid0(VALU_DEP_1) | instskip(SKIP_1) | instid1(VALU_DEP_2)
	v_add_co_u32 v16, vcc_lo, v22, v25
	v_add_co_ci_u32_e32 v17, vcc_lo, v23, v25, vcc_lo
	v_xor_b32_e32 v33, v16, v25
	s_delay_alu instid0(VALU_DEP_2) | instskip(NEXT) | instid1(VALU_DEP_2)
	v_xor_b32_e32 v34, v17, v25
	v_cvt_f32_u32_e32 v16, v33
	v_sub_co_u32 v35, vcc_lo, 0, v33
	s_delay_alu instid0(VALU_DEP_3) | instskip(SKIP_1) | instid1(VALU_DEP_2)
	v_cvt_f32_u32_e32 v17, v34
	v_sub_co_ci_u32_e32 v36, vcc_lo, 0, v34, vcc_lo
	v_fmac_f32_e32 v16, 0x4f800000, v17
	s_delay_alu instid0(VALU_DEP_1) | instskip(SKIP_2) | instid1(VALU_DEP_1)
	v_rcp_f32_e32 v16, v16
	s_waitcnt_depctr 0xfff
	v_mul_f32_e32 v16, 0x5f7ffffc, v16
	v_mul_f32_e32 v17, 0x2f800000, v16
	s_delay_alu instid0(VALU_DEP_1) | instskip(NEXT) | instid1(VALU_DEP_1)
	v_trunc_f32_e32 v17, v17
	v_fmac_f32_e32 v16, 0xcf800000, v17
	v_cvt_u32_f32_e32 v37, v17
	s_delay_alu instid0(VALU_DEP_2) | instskip(NEXT) | instid1(VALU_DEP_2)
	v_cvt_u32_f32_e32 v38, v16
	v_mul_lo_u32 v20, v35, v37
	s_delay_alu instid0(VALU_DEP_2) | instskip(SKIP_1) | instid1(VALU_DEP_1)
	v_mul_lo_u32 v21, v36, v38
	v_mad_u64_u32 v[16:17], null, v35, v38, 0
	v_add3_u32 v39, v17, v20, v21
	s_delay_alu instid0(VALU_DEP_2) | instskip(SKIP_1) | instid1(VALU_DEP_3)
	v_mul_hi_u32 v40, v38, v16
	v_mad_u64_u32 v[22:23], null, v37, v16, 0
	v_mad_u64_u32 v[20:21], null, v38, v39, 0
	;; [unrolled: 1-line block ×3, first 2 shown]
	s_delay_alu instid0(VALU_DEP_2) | instskip(NEXT) | instid1(VALU_DEP_3)
	v_add_co_u32 v20, vcc_lo, v40, v20
	v_add_co_ci_u32_e32 v21, vcc_lo, 0, v21, vcc_lo
	s_delay_alu instid0(VALU_DEP_2) | instskip(NEXT) | instid1(VALU_DEP_2)
	v_add_co_u32 v20, vcc_lo, v20, v22
	v_add_co_ci_u32_e32 v20, vcc_lo, v21, v23, vcc_lo
	v_add_co_ci_u32_e32 v17, vcc_lo, 0, v17, vcc_lo
	s_delay_alu instid0(VALU_DEP_2) | instskip(NEXT) | instid1(VALU_DEP_2)
	v_add_co_u32 v16, vcc_lo, v20, v16
	v_add_co_ci_u32_e32 v17, vcc_lo, 0, v17, vcc_lo
	s_delay_alu instid0(VALU_DEP_2) | instskip(NEXT) | instid1(VALU_DEP_2)
	v_add_co_u32 v38, vcc_lo, v38, v16
	v_add_co_ci_u32_e32 v37, vcc_lo, v37, v17, vcc_lo
	s_delay_alu instid0(VALU_DEP_2) | instskip(SKIP_1) | instid1(VALU_DEP_3)
	v_mul_lo_u32 v20, v36, v38
	v_mad_u64_u32 v[16:17], null, v35, v38, 0
	v_mul_lo_u32 v21, v35, v37
	s_delay_alu instid0(VALU_DEP_2) | instskip(SKIP_1) | instid1(VALU_DEP_3)
	v_mul_hi_u32 v36, v38, v16
	v_mad_u64_u32 v[22:23], null, v37, v16, 0
	v_add3_u32 v35, v17, v21, v20
	s_delay_alu instid0(VALU_DEP_1) | instskip(SKIP_2) | instid1(VALU_DEP_3)
	v_mad_u64_u32 v[20:21], null, v38, v35, 0
	v_mad_u64_u32 v[16:17], null, v37, v35, 0
	v_ashrrev_i32_e32 v35, 31, v19
	v_add_co_u32 v20, vcc_lo, v36, v20
	s_delay_alu instid0(VALU_DEP_4) | instskip(NEXT) | instid1(VALU_DEP_2)
	v_add_co_ci_u32_e32 v21, vcc_lo, 0, v21, vcc_lo
	v_add_co_u32 v20, vcc_lo, v20, v22
	s_delay_alu instid0(VALU_DEP_2) | instskip(SKIP_3) | instid1(VALU_DEP_4)
	v_add_co_ci_u32_e32 v20, vcc_lo, v21, v23, vcc_lo
	v_add_co_ci_u32_e32 v17, vcc_lo, 0, v17, vcc_lo
	v_add_co_u32 v18, vcc_lo, v18, v35
	v_add_co_ci_u32_e32 v19, vcc_lo, v19, v35, vcc_lo
	v_add_co_u32 v16, vcc_lo, v20, v16
	s_delay_alu instid0(VALU_DEP_4) | instskip(NEXT) | instid1(VALU_DEP_4)
	v_add_co_ci_u32_e32 v17, vcc_lo, 0, v17, vcc_lo
	v_xor_b32_e32 v22, v18, v35
	s_delay_alu instid0(VALU_DEP_3) | instskip(NEXT) | instid1(VALU_DEP_3)
	v_add_co_u32 v20, vcc_lo, v38, v16
	v_add_co_ci_u32_e32 v23, vcc_lo, v37, v17, vcc_lo
	v_xor_b32_e32 v36, v19, v35
	s_delay_alu instid0(VALU_DEP_3) | instskip(NEXT) | instid1(VALU_DEP_3)
	v_mul_hi_u32 v37, v22, v20
	v_mad_u64_u32 v[16:17], null, v22, v23, 0
	s_delay_alu instid0(VALU_DEP_3) | instskip(SKIP_1) | instid1(VALU_DEP_3)
	v_mad_u64_u32 v[18:19], null, v36, v20, 0
	v_mad_u64_u32 v[20:21], null, v36, v23, 0
	v_add_co_u32 v16, vcc_lo, v37, v16
	s_delay_alu instid0(VALU_DEP_4) | instskip(NEXT) | instid1(VALU_DEP_2)
	v_add_co_ci_u32_e32 v17, vcc_lo, 0, v17, vcc_lo
	v_add_co_u32 v16, vcc_lo, v16, v18
	s_delay_alu instid0(VALU_DEP_2) | instskip(SKIP_1) | instid1(VALU_DEP_2)
	v_add_co_ci_u32_e32 v16, vcc_lo, v17, v19, vcc_lo
	v_add_co_ci_u32_e32 v17, vcc_lo, 0, v21, vcc_lo
	v_add_co_u32 v18, vcc_lo, v16, v20
	s_delay_alu instid0(VALU_DEP_2) | instskip(NEXT) | instid1(VALU_DEP_2)
	v_add_co_ci_u32_e32 v19, vcc_lo, 0, v17, vcc_lo
	v_mul_lo_u32 v20, v34, v18
	v_mad_u64_u32 v[16:17], null, v33, v18, 0
	s_delay_alu instid0(VALU_DEP_3) | instskip(NEXT) | instid1(VALU_DEP_2)
	v_mul_lo_u32 v21, v33, v19
	v_sub_co_u32 v16, vcc_lo, v22, v16
	s_delay_alu instid0(VALU_DEP_2) | instskip(NEXT) | instid1(VALU_DEP_1)
	v_add3_u32 v17, v17, v21, v20
	v_sub_nc_u32_e32 v20, v36, v17
	s_delay_alu instid0(VALU_DEP_1) | instskip(SKIP_1) | instid1(VALU_DEP_1)
	v_sub_co_ci_u32_e64 v20, s0, v20, v34, vcc_lo
	v_add_co_u32 v21, s0, v18, 2
	v_add_co_ci_u32_e64 v22, s0, 0, v19, s0
	v_sub_co_u32 v23, s0, v16, v33
	v_sub_co_ci_u32_e32 v17, vcc_lo, v36, v17, vcc_lo
	v_subrev_co_ci_u32_e64 v20, s0, 0, v20, s0
	s_delay_alu instid0(VALU_DEP_3) | instskip(NEXT) | instid1(VALU_DEP_3)
	v_cmp_ge_u32_e32 vcc_lo, v23, v33
	v_cmp_eq_u32_e64 s0, v17, v34
	v_cndmask_b32_e64 v23, 0, -1, vcc_lo
	s_delay_alu instid0(VALU_DEP_4)
	v_cmp_ge_u32_e32 vcc_lo, v20, v34
	v_cndmask_b32_e64 v36, 0, -1, vcc_lo
	v_cmp_ge_u32_e32 vcc_lo, v16, v33
	v_cndmask_b32_e64 v16, 0, -1, vcc_lo
	;; [unrolled: 2-line block ×3, first 2 shown]
	v_cmp_eq_u32_e32 vcc_lo, v20, v34
	s_delay_alu instid0(VALU_DEP_2) | instskip(SKIP_3) | instid1(VALU_DEP_3)
	v_cndmask_b32_e64 v16, v33, v16, s0
	v_cndmask_b32_e32 v20, v36, v23, vcc_lo
	v_add_co_u32 v23, vcc_lo, v18, 1
	v_add_co_ci_u32_e32 v36, vcc_lo, 0, v19, vcc_lo
	v_cmp_ne_u32_e32 vcc_lo, 0, v20
	s_delay_alu instid0(VALU_DEP_2) | instskip(SKIP_2) | instid1(VALU_DEP_3)
	v_dual_cndmask_b32 v17, v36, v22 :: v_dual_cndmask_b32 v20, v23, v21
	v_cmp_ne_u32_e32 vcc_lo, 0, v16
	v_xor_b32_e32 v21, v35, v25
                                        ; implicit-def: $vgpr22_vgpr23
	v_dual_cndmask_b32 v16, v19, v17 :: v_dual_cndmask_b32 v17, v18, v20
	s_delay_alu instid0(VALU_DEP_1) | instskip(NEXT) | instid1(VALU_DEP_2)
	v_xor_b32_e32 v18, v16, v21
	v_xor_b32_e32 v17, v17, v21
	s_delay_alu instid0(VALU_DEP_1) | instskip(NEXT) | instid1(VALU_DEP_3)
	v_sub_co_u32 v16, vcc_lo, v17, v21
	v_sub_co_ci_u32_e32 v17, vcc_lo, v18, v21, vcc_lo
                                        ; implicit-def: $vgpr18_vgpr19
.LBB124_55:                             ;   in Loop: Header=BB124_49 Depth=1
	s_and_not1_saveexec_b32 s0, s4
	s_cbranch_execz .LBB124_57
; %bb.56:                               ;   in Loop: Header=BB124_49 Depth=1
	v_cvt_f32_u32_e32 v16, v22
	v_sub_nc_u32_e32 v17, 0, v22
	s_delay_alu instid0(VALU_DEP_2) | instskip(SKIP_2) | instid1(VALU_DEP_1)
	v_rcp_iflag_f32_e32 v16, v16
	s_waitcnt_depctr 0xfff
	v_mul_f32_e32 v16, 0x4f7ffffe, v16
	v_cvt_u32_f32_e32 v16, v16
	s_delay_alu instid0(VALU_DEP_1) | instskip(NEXT) | instid1(VALU_DEP_1)
	v_mul_lo_u32 v17, v17, v16
	v_mul_hi_u32 v17, v16, v17
	s_delay_alu instid0(VALU_DEP_1) | instskip(NEXT) | instid1(VALU_DEP_1)
	v_add_nc_u32_e32 v16, v16, v17
	v_mul_hi_u32 v16, v18, v16
	s_delay_alu instid0(VALU_DEP_1) | instskip(NEXT) | instid1(VALU_DEP_1)
	v_mul_lo_u32 v17, v16, v22
	v_sub_nc_u32_e32 v17, v18, v17
	v_add_nc_u32_e32 v18, 1, v16
	s_delay_alu instid0(VALU_DEP_2) | instskip(SKIP_1) | instid1(VALU_DEP_2)
	v_sub_nc_u32_e32 v19, v17, v22
	v_cmp_ge_u32_e32 vcc_lo, v17, v22
	v_dual_cndmask_b32 v17, v17, v19 :: v_dual_cndmask_b32 v16, v16, v18
	s_delay_alu instid0(VALU_DEP_1) | instskip(NEXT) | instid1(VALU_DEP_2)
	v_cmp_ge_u32_e32 vcc_lo, v17, v22
	v_dual_mov_b32 v17, v24 :: v_dual_add_nc_u32 v18, 1, v16
	s_delay_alu instid0(VALU_DEP_1)
	v_cndmask_b32_e32 v16, v16, v18, vcc_lo
.LBB124_57:                             ;   in Loop: Header=BB124_49 Depth=1
	s_or_b32 exec_lo, exec_lo, s0
	s_waitcnt vmcnt(2)
	v_or_b32_e32 v25, v9, v13
                                        ; implicit-def: $vgpr18_vgpr19
	s_mov_b32 s0, exec_lo
	s_delay_alu instid0(VALU_DEP_1)
	v_cmpx_ne_u64_e32 0, v[24:25]
	s_xor_b32 s4, exec_lo, s0
	s_cbranch_execz .LBB124_59
; %bb.58:                               ;   in Loop: Header=BB124_49 Depth=1
	v_ashrrev_i32_e32 v22, 31, v13
	s_delay_alu instid0(VALU_DEP_1) | instskip(SKIP_1) | instid1(VALU_DEP_2)
	v_add_co_u32 v12, vcc_lo, v12, v22
	v_add_co_ci_u32_e32 v13, vcc_lo, v13, v22, vcc_lo
	v_xor_b32_e32 v23, v12, v22
	s_delay_alu instid0(VALU_DEP_2) | instskip(NEXT) | instid1(VALU_DEP_2)
	v_xor_b32_e32 v25, v13, v22
	v_cvt_f32_u32_e32 v12, v23
	v_sub_co_u32 v33, vcc_lo, 0, v23
	s_delay_alu instid0(VALU_DEP_3) | instskip(SKIP_1) | instid1(VALU_DEP_2)
	v_cvt_f32_u32_e32 v13, v25
	v_sub_co_ci_u32_e32 v34, vcc_lo, 0, v25, vcc_lo
	v_fmac_f32_e32 v12, 0x4f800000, v13
	s_delay_alu instid0(VALU_DEP_1) | instskip(SKIP_2) | instid1(VALU_DEP_1)
	v_rcp_f32_e32 v12, v12
	s_waitcnt_depctr 0xfff
	v_mul_f32_e32 v12, 0x5f7ffffc, v12
	v_mul_f32_e32 v13, 0x2f800000, v12
	s_delay_alu instid0(VALU_DEP_1) | instskip(NEXT) | instid1(VALU_DEP_1)
	v_trunc_f32_e32 v13, v13
	v_fmac_f32_e32 v12, 0xcf800000, v13
	v_cvt_u32_f32_e32 v35, v13
	s_delay_alu instid0(VALU_DEP_2) | instskip(NEXT) | instid1(VALU_DEP_2)
	v_cvt_u32_f32_e32 v36, v12
	v_mul_lo_u32 v18, v33, v35
	s_delay_alu instid0(VALU_DEP_2) | instskip(SKIP_1) | instid1(VALU_DEP_1)
	v_mul_lo_u32 v19, v34, v36
	v_mad_u64_u32 v[12:13], null, v33, v36, 0
	v_add3_u32 v37, v13, v18, v19
	s_delay_alu instid0(VALU_DEP_2) | instskip(SKIP_1) | instid1(VALU_DEP_3)
	v_mul_hi_u32 v38, v36, v12
	v_mad_u64_u32 v[20:21], null, v35, v12, 0
	v_mad_u64_u32 v[18:19], null, v36, v37, 0
	;; [unrolled: 1-line block ×3, first 2 shown]
	s_delay_alu instid0(VALU_DEP_2) | instskip(NEXT) | instid1(VALU_DEP_3)
	v_add_co_u32 v18, vcc_lo, v38, v18
	v_add_co_ci_u32_e32 v19, vcc_lo, 0, v19, vcc_lo
	s_delay_alu instid0(VALU_DEP_2) | instskip(NEXT) | instid1(VALU_DEP_2)
	v_add_co_u32 v18, vcc_lo, v18, v20
	v_add_co_ci_u32_e32 v18, vcc_lo, v19, v21, vcc_lo
	v_add_co_ci_u32_e32 v13, vcc_lo, 0, v13, vcc_lo
	s_delay_alu instid0(VALU_DEP_2) | instskip(NEXT) | instid1(VALU_DEP_2)
	v_add_co_u32 v12, vcc_lo, v18, v12
	v_add_co_ci_u32_e32 v13, vcc_lo, 0, v13, vcc_lo
	s_delay_alu instid0(VALU_DEP_2) | instskip(NEXT) | instid1(VALU_DEP_2)
	v_add_co_u32 v36, vcc_lo, v36, v12
	v_add_co_ci_u32_e32 v35, vcc_lo, v35, v13, vcc_lo
	s_delay_alu instid0(VALU_DEP_2) | instskip(SKIP_1) | instid1(VALU_DEP_3)
	v_mul_lo_u32 v18, v34, v36
	v_mad_u64_u32 v[12:13], null, v33, v36, 0
	v_mul_lo_u32 v19, v33, v35
	s_delay_alu instid0(VALU_DEP_2) | instskip(SKIP_1) | instid1(VALU_DEP_3)
	v_mul_hi_u32 v34, v36, v12
	v_mad_u64_u32 v[20:21], null, v35, v12, 0
	v_add3_u32 v33, v13, v19, v18
	s_delay_alu instid0(VALU_DEP_1) | instskip(SKIP_2) | instid1(VALU_DEP_3)
	v_mad_u64_u32 v[18:19], null, v36, v33, 0
	v_mad_u64_u32 v[12:13], null, v35, v33, 0
	v_ashrrev_i32_e32 v33, 31, v9
	v_add_co_u32 v18, vcc_lo, v34, v18
	s_delay_alu instid0(VALU_DEP_4) | instskip(NEXT) | instid1(VALU_DEP_2)
	v_add_co_ci_u32_e32 v19, vcc_lo, 0, v19, vcc_lo
	v_add_co_u32 v18, vcc_lo, v18, v20
	s_delay_alu instid0(VALU_DEP_2) | instskip(SKIP_3) | instid1(VALU_DEP_4)
	v_add_co_ci_u32_e32 v18, vcc_lo, v19, v21, vcc_lo
	v_add_co_ci_u32_e32 v13, vcc_lo, 0, v13, vcc_lo
	v_add_co_u32 v8, vcc_lo, v8, v33
	v_add_co_ci_u32_e32 v9, vcc_lo, v9, v33, vcc_lo
	v_add_co_u32 v12, vcc_lo, v18, v12
	s_delay_alu instid0(VALU_DEP_4) | instskip(NEXT) | instid1(VALU_DEP_4)
	v_add_co_ci_u32_e32 v13, vcc_lo, 0, v13, vcc_lo
	v_xor_b32_e32 v20, v8, v33
	s_delay_alu instid0(VALU_DEP_3) | instskip(NEXT) | instid1(VALU_DEP_3)
	v_add_co_u32 v18, vcc_lo, v36, v12
	v_add_co_ci_u32_e32 v21, vcc_lo, v35, v13, vcc_lo
	v_xor_b32_e32 v34, v9, v33
	s_delay_alu instid0(VALU_DEP_3) | instskip(NEXT) | instid1(VALU_DEP_3)
	v_mul_hi_u32 v35, v20, v18
	v_mad_u64_u32 v[8:9], null, v20, v21, 0
	s_delay_alu instid0(VALU_DEP_3) | instskip(SKIP_1) | instid1(VALU_DEP_3)
	v_mad_u64_u32 v[12:13], null, v34, v18, 0
	v_mad_u64_u32 v[18:19], null, v34, v21, 0
	v_add_co_u32 v8, vcc_lo, v35, v8
	s_delay_alu instid0(VALU_DEP_4) | instskip(NEXT) | instid1(VALU_DEP_2)
	v_add_co_ci_u32_e32 v9, vcc_lo, 0, v9, vcc_lo
	v_add_co_u32 v8, vcc_lo, v8, v12
	s_delay_alu instid0(VALU_DEP_2) | instskip(SKIP_1) | instid1(VALU_DEP_2)
	v_add_co_ci_u32_e32 v8, vcc_lo, v9, v13, vcc_lo
	v_add_co_ci_u32_e32 v9, vcc_lo, 0, v19, vcc_lo
	v_add_co_u32 v12, vcc_lo, v8, v18
	s_delay_alu instid0(VALU_DEP_2) | instskip(NEXT) | instid1(VALU_DEP_2)
	v_add_co_ci_u32_e32 v13, vcc_lo, 0, v9, vcc_lo
	v_mul_lo_u32 v18, v25, v12
	v_mad_u64_u32 v[8:9], null, v23, v12, 0
	s_delay_alu instid0(VALU_DEP_3) | instskip(NEXT) | instid1(VALU_DEP_2)
	v_mul_lo_u32 v19, v23, v13
	v_sub_co_u32 v8, vcc_lo, v20, v8
	s_delay_alu instid0(VALU_DEP_2) | instskip(NEXT) | instid1(VALU_DEP_1)
	v_add3_u32 v9, v9, v19, v18
	v_sub_nc_u32_e32 v18, v34, v9
	s_delay_alu instid0(VALU_DEP_1) | instskip(SKIP_1) | instid1(VALU_DEP_1)
	v_sub_co_ci_u32_e64 v18, s0, v18, v25, vcc_lo
	v_add_co_u32 v19, s0, v12, 2
	v_add_co_ci_u32_e64 v20, s0, 0, v13, s0
	v_sub_co_u32 v21, s0, v8, v23
	v_sub_co_ci_u32_e32 v9, vcc_lo, v34, v9, vcc_lo
	v_subrev_co_ci_u32_e64 v18, s0, 0, v18, s0
	s_delay_alu instid0(VALU_DEP_3) | instskip(NEXT) | instid1(VALU_DEP_3)
	v_cmp_ge_u32_e32 vcc_lo, v21, v23
	v_cmp_eq_u32_e64 s0, v9, v25
	v_cndmask_b32_e64 v21, 0, -1, vcc_lo
	s_delay_alu instid0(VALU_DEP_4)
	v_cmp_ge_u32_e32 vcc_lo, v18, v25
	v_cndmask_b32_e64 v34, 0, -1, vcc_lo
	v_cmp_ge_u32_e32 vcc_lo, v8, v23
	v_cndmask_b32_e64 v8, 0, -1, vcc_lo
	;; [unrolled: 2-line block ×3, first 2 shown]
	v_cmp_eq_u32_e32 vcc_lo, v18, v25
	s_delay_alu instid0(VALU_DEP_2) | instskip(SKIP_3) | instid1(VALU_DEP_3)
	v_cndmask_b32_e64 v8, v23, v8, s0
	v_cndmask_b32_e32 v18, v34, v21, vcc_lo
	v_add_co_u32 v21, vcc_lo, v12, 1
	v_add_co_ci_u32_e32 v34, vcc_lo, 0, v13, vcc_lo
	v_cmp_ne_u32_e32 vcc_lo, 0, v18
	s_delay_alu instid0(VALU_DEP_2) | instskip(SKIP_2) | instid1(VALU_DEP_3)
	v_dual_cndmask_b32 v9, v34, v20 :: v_dual_cndmask_b32 v18, v21, v19
	v_cmp_ne_u32_e32 vcc_lo, 0, v8
	v_xor_b32_e32 v8, v33, v22
	v_dual_cndmask_b32 v12, v12, v18 :: v_dual_cndmask_b32 v9, v13, v9
	s_delay_alu instid0(VALU_DEP_1) | instskip(NEXT) | instid1(VALU_DEP_2)
	v_xor_b32_e32 v12, v12, v8
	v_xor_b32_e32 v9, v9, v8
	s_delay_alu instid0(VALU_DEP_2) | instskip(NEXT) | instid1(VALU_DEP_2)
	v_sub_co_u32 v18, vcc_lo, v12, v8
	v_sub_co_ci_u32_e32 v19, vcc_lo, v9, v8, vcc_lo
.LBB124_59:                             ;   in Loop: Header=BB124_49 Depth=1
	s_and_not1_saveexec_b32 s0, s4
	s_cbranch_execz .LBB124_61
; %bb.60:                               ;   in Loop: Header=BB124_49 Depth=1
	v_cvt_f32_u32_e32 v9, v12
	v_sub_nc_u32_e32 v13, 0, v12
	v_mov_b32_e32 v19, v24
	s_delay_alu instid0(VALU_DEP_3) | instskip(SKIP_2) | instid1(VALU_DEP_1)
	v_rcp_iflag_f32_e32 v9, v9
	s_waitcnt_depctr 0xfff
	v_mul_f32_e32 v9, 0x4f7ffffe, v9
	v_cvt_u32_f32_e32 v9, v9
	s_delay_alu instid0(VALU_DEP_1) | instskip(NEXT) | instid1(VALU_DEP_1)
	v_mul_lo_u32 v13, v13, v9
	v_mul_hi_u32 v13, v9, v13
	s_delay_alu instid0(VALU_DEP_1) | instskip(NEXT) | instid1(VALU_DEP_1)
	v_add_nc_u32_e32 v9, v9, v13
	v_mul_hi_u32 v9, v8, v9
	s_delay_alu instid0(VALU_DEP_1) | instskip(NEXT) | instid1(VALU_DEP_1)
	v_mul_lo_u32 v13, v9, v12
	v_sub_nc_u32_e32 v8, v8, v13
	v_add_nc_u32_e32 v13, 1, v9
	s_delay_alu instid0(VALU_DEP_2) | instskip(SKIP_1) | instid1(VALU_DEP_2)
	v_sub_nc_u32_e32 v18, v8, v12
	v_cmp_ge_u32_e32 vcc_lo, v8, v12
	v_dual_cndmask_b32 v8, v8, v18 :: v_dual_cndmask_b32 v9, v9, v13
	s_delay_alu instid0(VALU_DEP_1) | instskip(NEXT) | instid1(VALU_DEP_2)
	v_cmp_ge_u32_e32 vcc_lo, v8, v12
	v_add_nc_u32_e32 v13, 1, v9
	s_delay_alu instid0(VALU_DEP_1)
	v_cndmask_b32_e32 v18, v9, v13, vcc_lo
.LBB124_61:                             ;   in Loop: Header=BB124_49 Depth=1
	s_or_b32 exec_lo, exec_lo, s0
	v_or_b32_e32 v25, v11, v15
                                        ; implicit-def: $vgpr8_vgpr9
	s_mov_b32 s0, exec_lo
	s_delay_alu instid0(VALU_DEP_1)
	v_cmpx_ne_u64_e32 0, v[24:25]
	s_xor_b32 s4, exec_lo, s0
	s_cbranch_execz .LBB124_63
; %bb.62:                               ;   in Loop: Header=BB124_49 Depth=1
	v_ashrrev_i32_e32 v20, 31, v15
	s_delay_alu instid0(VALU_DEP_1) | instskip(SKIP_1) | instid1(VALU_DEP_2)
	v_add_co_u32 v8, vcc_lo, v14, v20
	v_add_co_ci_u32_e32 v9, vcc_lo, v15, v20, vcc_lo
	v_xor_b32_e32 v21, v8, v20
	s_delay_alu instid0(VALU_DEP_2) | instskip(NEXT) | instid1(VALU_DEP_2)
	v_xor_b32_e32 v22, v9, v20
	v_cvt_f32_u32_e32 v8, v21
	v_sub_co_u32 v23, vcc_lo, 0, v21
	s_delay_alu instid0(VALU_DEP_3) | instskip(SKIP_1) | instid1(VALU_DEP_2)
	v_cvt_f32_u32_e32 v9, v22
	v_sub_co_ci_u32_e32 v25, vcc_lo, 0, v22, vcc_lo
	v_fmac_f32_e32 v8, 0x4f800000, v9
	s_delay_alu instid0(VALU_DEP_1) | instskip(SKIP_2) | instid1(VALU_DEP_1)
	v_rcp_f32_e32 v8, v8
	s_waitcnt_depctr 0xfff
	v_mul_f32_e32 v8, 0x5f7ffffc, v8
	v_mul_f32_e32 v9, 0x2f800000, v8
	s_delay_alu instid0(VALU_DEP_1) | instskip(NEXT) | instid1(VALU_DEP_1)
	v_trunc_f32_e32 v9, v9
	v_fmac_f32_e32 v8, 0xcf800000, v9
	v_cvt_u32_f32_e32 v33, v9
	s_delay_alu instid0(VALU_DEP_2) | instskip(NEXT) | instid1(VALU_DEP_2)
	v_cvt_u32_f32_e32 v34, v8
	v_mul_lo_u32 v12, v23, v33
	s_delay_alu instid0(VALU_DEP_2) | instskip(SKIP_1) | instid1(VALU_DEP_1)
	v_mul_lo_u32 v13, v25, v34
	v_mad_u64_u32 v[8:9], null, v23, v34, 0
	v_add3_u32 v35, v9, v12, v13
	s_delay_alu instid0(VALU_DEP_2) | instskip(SKIP_1) | instid1(VALU_DEP_3)
	v_mul_hi_u32 v36, v34, v8
	v_mad_u64_u32 v[14:15], null, v33, v8, 0
	v_mad_u64_u32 v[12:13], null, v34, v35, 0
	;; [unrolled: 1-line block ×3, first 2 shown]
	s_delay_alu instid0(VALU_DEP_2) | instskip(NEXT) | instid1(VALU_DEP_3)
	v_add_co_u32 v12, vcc_lo, v36, v12
	v_add_co_ci_u32_e32 v13, vcc_lo, 0, v13, vcc_lo
	s_delay_alu instid0(VALU_DEP_2) | instskip(NEXT) | instid1(VALU_DEP_2)
	v_add_co_u32 v12, vcc_lo, v12, v14
	v_add_co_ci_u32_e32 v12, vcc_lo, v13, v15, vcc_lo
	v_add_co_ci_u32_e32 v9, vcc_lo, 0, v9, vcc_lo
	s_delay_alu instid0(VALU_DEP_2) | instskip(NEXT) | instid1(VALU_DEP_2)
	v_add_co_u32 v8, vcc_lo, v12, v8
	v_add_co_ci_u32_e32 v9, vcc_lo, 0, v9, vcc_lo
	s_delay_alu instid0(VALU_DEP_2) | instskip(NEXT) | instid1(VALU_DEP_2)
	v_add_co_u32 v34, vcc_lo, v34, v8
	v_add_co_ci_u32_e32 v33, vcc_lo, v33, v9, vcc_lo
	s_delay_alu instid0(VALU_DEP_2) | instskip(SKIP_1) | instid1(VALU_DEP_3)
	v_mul_lo_u32 v12, v25, v34
	v_mad_u64_u32 v[8:9], null, v23, v34, 0
	v_mul_lo_u32 v13, v23, v33
	s_delay_alu instid0(VALU_DEP_2) | instskip(SKIP_1) | instid1(VALU_DEP_3)
	v_mul_hi_u32 v25, v34, v8
	v_mad_u64_u32 v[14:15], null, v33, v8, 0
	v_add3_u32 v23, v9, v13, v12
	s_delay_alu instid0(VALU_DEP_1) | instskip(SKIP_2) | instid1(VALU_DEP_3)
	v_mad_u64_u32 v[12:13], null, v34, v23, 0
	v_mad_u64_u32 v[8:9], null, v33, v23, 0
	v_ashrrev_i32_e32 v23, 31, v11
	v_add_co_u32 v12, vcc_lo, v25, v12
	s_delay_alu instid0(VALU_DEP_4) | instskip(NEXT) | instid1(VALU_DEP_2)
	v_add_co_ci_u32_e32 v13, vcc_lo, 0, v13, vcc_lo
	v_add_co_u32 v12, vcc_lo, v12, v14
	s_delay_alu instid0(VALU_DEP_2) | instskip(SKIP_3) | instid1(VALU_DEP_4)
	v_add_co_ci_u32_e32 v12, vcc_lo, v13, v15, vcc_lo
	v_add_co_ci_u32_e32 v9, vcc_lo, 0, v9, vcc_lo
	v_add_co_u32 v10, vcc_lo, v10, v23
	v_add_co_ci_u32_e32 v11, vcc_lo, v11, v23, vcc_lo
	v_add_co_u32 v8, vcc_lo, v12, v8
	s_delay_alu instid0(VALU_DEP_4) | instskip(NEXT) | instid1(VALU_DEP_4)
	v_add_co_ci_u32_e32 v9, vcc_lo, 0, v9, vcc_lo
	v_xor_b32_e32 v14, v10, v23
	s_delay_alu instid0(VALU_DEP_3) | instskip(NEXT) | instid1(VALU_DEP_3)
	v_add_co_u32 v12, vcc_lo, v34, v8
	v_add_co_ci_u32_e32 v15, vcc_lo, v33, v9, vcc_lo
	v_xor_b32_e32 v25, v11, v23
	s_delay_alu instid0(VALU_DEP_3) | instskip(NEXT) | instid1(VALU_DEP_3)
	v_mul_hi_u32 v33, v14, v12
	v_mad_u64_u32 v[8:9], null, v14, v15, 0
	s_delay_alu instid0(VALU_DEP_3) | instskip(SKIP_1) | instid1(VALU_DEP_3)
	v_mad_u64_u32 v[10:11], null, v25, v12, 0
	v_mad_u64_u32 v[12:13], null, v25, v15, 0
	v_add_co_u32 v8, vcc_lo, v33, v8
	s_delay_alu instid0(VALU_DEP_4) | instskip(NEXT) | instid1(VALU_DEP_2)
	v_add_co_ci_u32_e32 v9, vcc_lo, 0, v9, vcc_lo
	v_add_co_u32 v8, vcc_lo, v8, v10
	s_delay_alu instid0(VALU_DEP_2) | instskip(SKIP_1) | instid1(VALU_DEP_2)
	v_add_co_ci_u32_e32 v8, vcc_lo, v9, v11, vcc_lo
	v_add_co_ci_u32_e32 v9, vcc_lo, 0, v13, vcc_lo
	v_add_co_u32 v10, vcc_lo, v8, v12
	s_delay_alu instid0(VALU_DEP_2) | instskip(NEXT) | instid1(VALU_DEP_2)
	v_add_co_ci_u32_e32 v11, vcc_lo, 0, v9, vcc_lo
	v_mul_lo_u32 v12, v22, v10
	v_mad_u64_u32 v[8:9], null, v21, v10, 0
	s_delay_alu instid0(VALU_DEP_3) | instskip(NEXT) | instid1(VALU_DEP_2)
	v_mul_lo_u32 v13, v21, v11
	v_sub_co_u32 v8, vcc_lo, v14, v8
	s_delay_alu instid0(VALU_DEP_2) | instskip(NEXT) | instid1(VALU_DEP_1)
	v_add3_u32 v9, v9, v13, v12
	v_sub_nc_u32_e32 v12, v25, v9
	s_delay_alu instid0(VALU_DEP_1) | instskip(SKIP_1) | instid1(VALU_DEP_1)
	v_sub_co_ci_u32_e64 v12, s0, v12, v22, vcc_lo
	v_add_co_u32 v13, s0, v10, 2
	v_add_co_ci_u32_e64 v14, s0, 0, v11, s0
	v_sub_co_u32 v15, s0, v8, v21
	v_sub_co_ci_u32_e32 v9, vcc_lo, v25, v9, vcc_lo
	v_subrev_co_ci_u32_e64 v12, s0, 0, v12, s0
	s_delay_alu instid0(VALU_DEP_3) | instskip(NEXT) | instid1(VALU_DEP_3)
	v_cmp_ge_u32_e32 vcc_lo, v15, v21
	v_cmp_eq_u32_e64 s0, v9, v22
	v_cndmask_b32_e64 v15, 0, -1, vcc_lo
	s_delay_alu instid0(VALU_DEP_4)
	v_cmp_ge_u32_e32 vcc_lo, v12, v22
	v_cndmask_b32_e64 v25, 0, -1, vcc_lo
	v_cmp_ge_u32_e32 vcc_lo, v8, v21
	v_cndmask_b32_e64 v8, 0, -1, vcc_lo
	;; [unrolled: 2-line block ×3, first 2 shown]
	v_cmp_eq_u32_e32 vcc_lo, v12, v22
	s_delay_alu instid0(VALU_DEP_2) | instskip(SKIP_3) | instid1(VALU_DEP_3)
	v_cndmask_b32_e64 v8, v21, v8, s0
	v_cndmask_b32_e32 v12, v25, v15, vcc_lo
	v_add_co_u32 v15, vcc_lo, v10, 1
	v_add_co_ci_u32_e32 v25, vcc_lo, 0, v11, vcc_lo
	v_cmp_ne_u32_e32 vcc_lo, 0, v12
	s_delay_alu instid0(VALU_DEP_2) | instskip(SKIP_2) | instid1(VALU_DEP_3)
	v_dual_cndmask_b32 v9, v25, v14 :: v_dual_cndmask_b32 v12, v15, v13
	v_cmp_ne_u32_e32 vcc_lo, 0, v8
	v_xor_b32_e32 v13, v23, v20
                                        ; implicit-def: $vgpr14_vgpr15
	v_dual_cndmask_b32 v8, v11, v9 :: v_dual_cndmask_b32 v9, v10, v12
	s_delay_alu instid0(VALU_DEP_1) | instskip(NEXT) | instid1(VALU_DEP_2)
	v_xor_b32_e32 v10, v8, v13
	v_xor_b32_e32 v9, v9, v13
	s_delay_alu instid0(VALU_DEP_1) | instskip(NEXT) | instid1(VALU_DEP_3)
	v_sub_co_u32 v8, vcc_lo, v9, v13
	v_sub_co_ci_u32_e32 v9, vcc_lo, v10, v13, vcc_lo
                                        ; implicit-def: $vgpr10_vgpr11
.LBB124_63:                             ;   in Loop: Header=BB124_49 Depth=1
	s_and_not1_saveexec_b32 s0, s4
	s_cbranch_execz .LBB124_48
; %bb.64:                               ;   in Loop: Header=BB124_49 Depth=1
	v_cvt_f32_u32_e32 v8, v14
	v_sub_nc_u32_e32 v9, 0, v14
	s_delay_alu instid0(VALU_DEP_2) | instskip(SKIP_2) | instid1(VALU_DEP_1)
	v_rcp_iflag_f32_e32 v8, v8
	s_waitcnt_depctr 0xfff
	v_mul_f32_e32 v8, 0x4f7ffffe, v8
	v_cvt_u32_f32_e32 v8, v8
	s_delay_alu instid0(VALU_DEP_1) | instskip(NEXT) | instid1(VALU_DEP_1)
	v_mul_lo_u32 v9, v9, v8
	v_mul_hi_u32 v9, v8, v9
	s_delay_alu instid0(VALU_DEP_1) | instskip(NEXT) | instid1(VALU_DEP_1)
	v_add_nc_u32_e32 v8, v8, v9
	v_mul_hi_u32 v8, v10, v8
	s_delay_alu instid0(VALU_DEP_1) | instskip(NEXT) | instid1(VALU_DEP_1)
	v_mul_lo_u32 v9, v8, v14
	v_sub_nc_u32_e32 v9, v10, v9
	v_add_nc_u32_e32 v10, 1, v8
	s_delay_alu instid0(VALU_DEP_2) | instskip(SKIP_1) | instid1(VALU_DEP_2)
	v_sub_nc_u32_e32 v11, v9, v14
	v_cmp_ge_u32_e32 vcc_lo, v9, v14
	v_dual_cndmask_b32 v9, v9, v11 :: v_dual_cndmask_b32 v8, v8, v10
	s_delay_alu instid0(VALU_DEP_1) | instskip(NEXT) | instid1(VALU_DEP_2)
	v_cmp_ge_u32_e32 vcc_lo, v9, v14
	v_dual_mov_b32 v9, v24 :: v_dual_add_nc_u32 v10, 1, v8
	s_delay_alu instid0(VALU_DEP_1)
	v_cndmask_b32_e32 v8, v8, v10, vcc_lo
	s_branch .LBB124_48
.LBB124_65:
	s_nop 0
	s_sendmsg sendmsg(MSG_DEALLOC_VGPRS)
	s_endpgm
	.section	.rodata,"a",@progbits
	.p2align	6, 0x0
	.amdhsa_kernel _ZN2at6native12_GLOBAL__N_125multi_tensor_apply_kernelINS1_28TensorListScalarListMetadataIlLi3EEENS1_28PointwiseOpScalarListFunctorIlLi3ELi3ELi0EEEJSt7dividesIlEEEEvT_T0_DpT1_
		.amdhsa_group_segment_fixed_size 0
		.amdhsa_private_segment_fixed_size 0
		.amdhsa_kernarg_size 3784
		.amdhsa_user_sgpr_count 15
		.amdhsa_user_sgpr_dispatch_ptr 0
		.amdhsa_user_sgpr_queue_ptr 0
		.amdhsa_user_sgpr_kernarg_segment_ptr 1
		.amdhsa_user_sgpr_dispatch_id 0
		.amdhsa_user_sgpr_private_segment_size 0
		.amdhsa_wavefront_size32 1
		.amdhsa_uses_dynamic_stack 0
		.amdhsa_enable_private_segment 0
		.amdhsa_system_sgpr_workgroup_id_x 1
		.amdhsa_system_sgpr_workgroup_id_y 0
		.amdhsa_system_sgpr_workgroup_id_z 0
		.amdhsa_system_sgpr_workgroup_info 0
		.amdhsa_system_vgpr_workitem_id 0
		.amdhsa_next_free_vgpr 69
		.amdhsa_next_free_sgpr 26
		.amdhsa_reserve_vcc 1
		.amdhsa_float_round_mode_32 0
		.amdhsa_float_round_mode_16_64 0
		.amdhsa_float_denorm_mode_32 3
		.amdhsa_float_denorm_mode_16_64 3
		.amdhsa_dx10_clamp 1
		.amdhsa_ieee_mode 1
		.amdhsa_fp16_overflow 0
		.amdhsa_workgroup_processor_mode 1
		.amdhsa_memory_ordered 1
		.amdhsa_forward_progress 0
		.amdhsa_shared_vgpr_count 0
		.amdhsa_exception_fp_ieee_invalid_op 0
		.amdhsa_exception_fp_denorm_src 0
		.amdhsa_exception_fp_ieee_div_zero 0
		.amdhsa_exception_fp_ieee_overflow 0
		.amdhsa_exception_fp_ieee_underflow 0
		.amdhsa_exception_fp_ieee_inexact 0
		.amdhsa_exception_int_div_zero 0
	.end_amdhsa_kernel
	.section	.text._ZN2at6native12_GLOBAL__N_125multi_tensor_apply_kernelINS1_28TensorListScalarListMetadataIlLi3EEENS1_28PointwiseOpScalarListFunctorIlLi3ELi3ELi0EEEJSt7dividesIlEEEEvT_T0_DpT1_,"axG",@progbits,_ZN2at6native12_GLOBAL__N_125multi_tensor_apply_kernelINS1_28TensorListScalarListMetadataIlLi3EEENS1_28PointwiseOpScalarListFunctorIlLi3ELi3ELi0EEEJSt7dividesIlEEEEvT_T0_DpT1_,comdat
.Lfunc_end124:
	.size	_ZN2at6native12_GLOBAL__N_125multi_tensor_apply_kernelINS1_28TensorListScalarListMetadataIlLi3EEENS1_28PointwiseOpScalarListFunctorIlLi3ELi3ELi0EEEJSt7dividesIlEEEEvT_T0_DpT1_, .Lfunc_end124-_ZN2at6native12_GLOBAL__N_125multi_tensor_apply_kernelINS1_28TensorListScalarListMetadataIlLi3EEENS1_28PointwiseOpScalarListFunctorIlLi3ELi3ELi0EEEJSt7dividesIlEEEEvT_T0_DpT1_
                                        ; -- End function
	.section	.AMDGPU.csdata,"",@progbits
; Kernel info:
; codeLenInByte = 9716
; NumSgprs: 28
; NumVgprs: 69
; ScratchSize: 0
; MemoryBound: 1
; FloatMode: 240
; IeeeMode: 1
; LDSByteSize: 0 bytes/workgroup (compile time only)
; SGPRBlocks: 3
; VGPRBlocks: 8
; NumSGPRsForWavesPerEU: 28
; NumVGPRsForWavesPerEU: 69
; Occupancy: 16
; WaveLimiterHint : 1
; COMPUTE_PGM_RSRC2:SCRATCH_EN: 0
; COMPUTE_PGM_RSRC2:USER_SGPR: 15
; COMPUTE_PGM_RSRC2:TRAP_HANDLER: 0
; COMPUTE_PGM_RSRC2:TGID_X_EN: 1
; COMPUTE_PGM_RSRC2:TGID_Y_EN: 0
; COMPUTE_PGM_RSRC2:TGID_Z_EN: 0
; COMPUTE_PGM_RSRC2:TIDIG_COMP_CNT: 0
	.section	.text._ZN2at6native12_GLOBAL__N_125multi_tensor_apply_kernelINS1_28TensorListScalarListMetadataIsLi3EEENS1_28PointwiseOpScalarListFunctorIsLi3ELi3ELi0EEEJSt7dividesIsEEEEvT_T0_DpT1_,"axG",@progbits,_ZN2at6native12_GLOBAL__N_125multi_tensor_apply_kernelINS1_28TensorListScalarListMetadataIsLi3EEENS1_28PointwiseOpScalarListFunctorIsLi3ELi3ELi0EEEJSt7dividesIsEEEEvT_T0_DpT1_,comdat
	.globl	_ZN2at6native12_GLOBAL__N_125multi_tensor_apply_kernelINS1_28TensorListScalarListMetadataIsLi3EEENS1_28PointwiseOpScalarListFunctorIsLi3ELi3ELi0EEEJSt7dividesIsEEEEvT_T0_DpT1_ ; -- Begin function _ZN2at6native12_GLOBAL__N_125multi_tensor_apply_kernelINS1_28TensorListScalarListMetadataIsLi3EEENS1_28PointwiseOpScalarListFunctorIsLi3ELi3ELi0EEEJSt7dividesIsEEEEvT_T0_DpT1_
	.p2align	8
	.type	_ZN2at6native12_GLOBAL__N_125multi_tensor_apply_kernelINS1_28TensorListScalarListMetadataIsLi3EEENS1_28PointwiseOpScalarListFunctorIsLi3ELi3ELi0EEEJSt7dividesIsEEEEvT_T0_DpT1_,@function
_ZN2at6native12_GLOBAL__N_125multi_tensor_apply_kernelINS1_28TensorListScalarListMetadataIsLi3EEENS1_28PointwiseOpScalarListFunctorIsLi3ELi3ELi0EEEJSt7dividesIsEEEEvT_T0_DpT1_: ; @_ZN2at6native12_GLOBAL__N_125multi_tensor_apply_kernelINS1_28TensorListScalarListMetadataIsLi3EEENS1_28PointwiseOpScalarListFunctorIsLi3ELi3ELi0EEEJSt7dividesIsEEEEvT_T0_DpT1_
; %bb.0:
	v_mov_b32_e32 v1, s15
	s_add_u32 s2, s0, s15
	s_mul_i32 s3, s15, 3
	s_mul_hi_u32 s4, s15, 3
	s_addc_u32 s5, s1, 0
	global_load_u8 v1, v1, s[0:1] offset:1632
	s_add_u32 s2, s2, s3
	s_addc_u32 s3, s5, s4
	s_load_b32 s2, s[2:3], 0x7a0
	s_waitcnt vmcnt(0)
	v_readfirstlane_b32 s3, v1
	v_mul_lo_u32 v2, v1, -6
	v_mul_hi_i32 v3, v1, -6
	s_delay_alu instid0(VALU_DEP_3) | instskip(SKIP_4) | instid1(VALU_DEP_2)
	s_lshl_b32 s4, s3, 3
	s_waitcnt lgkmcnt(0)
	s_ashr_i32 s3, s2, 31
	s_add_u32 s5, s0, s4
	s_addc_u32 s6, s1, 0
	v_add_co_u32 v1, vcc_lo, s5, v2
	s_delay_alu instid0(VALU_DEP_2)
	v_add_co_ci_u32_e32 v2, vcc_lo, s6, v3, vcc_lo
	s_lshl_b64 s[14:15], s[2:3], 17
	global_load_u16 v3, v[1:2], off offset:1536
	s_clause 0x3
	s_load_b64 s[6:7], s[0:1], s4 offset:0x180
	s_load_b64 s[8:9], s[0:1], s4 offset:0x300
	s_load_b64 s[10:11], s[0:1], s4 offset:0x0
	s_load_b64 s[4:5], s[0:1], s4 offset:0x480
	s_waitcnt lgkmcnt(0)
	s_add_u32 s12, s6, s14
	s_delay_alu instid0(SALU_CYCLE_1) | instskip(SKIP_2) | instid1(SALU_CYCLE_1)
	s_or_b32 s12, s8, s12
	s_and_b32 s16, s10, 7
	s_and_b32 s12, s12, 7
	s_cmp_eq_u32 s12, 0
	s_cselect_b32 s17, -1, 0
	s_lshl_b64 s[2:3], s[2:3], 16
	s_delay_alu instid0(SALU_CYCLE_1) | instskip(SKIP_4) | instid1(SALU_CYCLE_1)
	s_sub_u32 s12, s4, s2
	s_subb_u32 s13, s5, s3
	s_and_b32 s2, s4, 3
	s_mov_b32 s3, 0
	s_or_b32 s2, s16, s2
	s_cmp_eq_u64 s[2:3], 0
	s_cselect_b32 s2, -1, 0
	s_delay_alu instid0(SALU_CYCLE_1) | instskip(NEXT) | instid1(SALU_CYCLE_1)
	s_and_b32 s2, s17, s2
	s_and_b32 vcc_lo, exec_lo, s2
	s_mov_b32 s2, -1
	s_cbranch_vccnz .LBB125_29
; %bb.1:
	v_cmp_lt_i64_e64 s2, s[12:13], 1
	s_delay_alu instid0(VALU_DEP_1)
	s_and_b32 vcc_lo, exec_lo, s2
	s_cbranch_vccnz .LBB125_28
; %bb.2:
	s_load_b32 s2, s[0:1], 0xcb4
	v_dual_mov_b32 v15, 0 :: v_dual_lshlrev_b32 v14, 1, v0
	v_cmp_gt_u64_e64 s3, 0x10000, s[12:13]
	s_mov_b64 s[18:19], 0
	s_delay_alu instid0(VALU_DEP_2) | instskip(NEXT) | instid1(VALU_DEP_1)
	v_add_co_u32 v1, s4, s10, v14
	v_add_co_ci_u32_e64 v2, null, s11, 0, s4
	v_add_co_u32 v4, s4, s6, v14
	s_delay_alu instid0(VALU_DEP_1) | instskip(SKIP_1) | instid1(VALU_DEP_1)
	v_add_co_ci_u32_e64 v5, null, s7, 0, s4
	v_add_co_u32 v6, s4, s8, v14
	v_add_co_ci_u32_e64 v7, null, s9, 0, s4
	s_waitcnt lgkmcnt(0)
	s_and_b32 s2, s2, 0xffff
	s_and_b32 s3, s3, exec_lo
	v_mad_u64_u32 v[12:13], null, s2, 6, v[14:15]
	s_cselect_b32 s17, s13, 0
	s_cselect_b32 s16, s12, 0x10000
	s_mul_i32 s4, s2, 3
	s_lshl_b32 s20, s2, 2
	s_lshl_b32 s3, s2, 1
	v_add_co_u32 v21, s5, s20, v14
	v_add_co_u32 v14, s4, s4, v0
	v_add_co_u32 v8, vcc_lo, s10, v12
	v_add_co_ci_u32_e64 v15, null, 0, 0, s4
	v_add_co_u32 v20, s4, v0, s2
	v_add_co_ci_u32_e32 v9, vcc_lo, s11, v13, vcc_lo
	v_add_co_u32 v10, vcc_lo, s6, v12
	v_add_co_ci_u32_e32 v11, vcc_lo, s7, v13, vcc_lo
	v_add_co_u32 v12, vcc_lo, s8, v12
	v_add_co_ci_u32_e64 v22, null, 0, 0, s5
	v_lshlrev_b32_e32 v30, 1, v20
	v_add_co_ci_u32_e32 v13, vcc_lo, s9, v13, vcc_lo
	v_add_co_u32 v16, vcc_lo, s10, v21
	v_add_co_u32 v24, s3, s3, v0
	v_add_co_ci_u32_e32 v17, vcc_lo, s11, v22, vcc_lo
	v_add_co_ci_u32_e64 v25, null, 0, 0, s3
	v_add_co_u32 v26, s3, s10, v30
	v_add_co_u32 v18, vcc_lo, s6, v21
	v_add_co_ci_u32_e64 v27, null, s11, 0, s3
	v_add_co_u32 v28, s3, s6, v30
	v_add_co_ci_u32_e32 v19, vcc_lo, s7, v22, vcc_lo
	v_add_co_u32 v21, vcc_lo, s8, v21
	v_add_co_ci_u32_e64 v29, null, s7, 0, s3
	v_add_co_u32 v30, s3, s8, v30
	v_add_co_ci_u32_e32 v22, vcc_lo, s9, v22, vcc_lo
	v_add_co_ci_u32_e64 v23, null, 0, 0, s4
	v_add_co_ci_u32_e64 v31, null, s9, 0, s3
	s_lshl_b32 s21, s2, 3
	s_branch .LBB125_4
.LBB125_3:                              ;   in Loop: Header=BB125_4 Depth=1
	s_or_b32 exec_lo, exec_lo, s2
	v_add_co_u32 v1, vcc_lo, v1, s21
	v_add_co_ci_u32_e32 v2, vcc_lo, 0, v2, vcc_lo
	v_add_co_u32 v4, vcc_lo, v4, s21
	v_add_co_ci_u32_e32 v5, vcc_lo, 0, v5, vcc_lo
	;; [unrolled: 2-line block ×9, first 2 shown]
	s_add_u32 s18, s18, s20
	v_add_co_u32 v26, vcc_lo, v26, s21
	s_addc_u32 s19, s19, 0
	v_add_co_ci_u32_e32 v27, vcc_lo, 0, v27, vcc_lo
	v_cmp_lt_i64_e64 s2, s[18:19], s[12:13]
	v_cmp_gt_u64_e64 s3, 0x10000, s[18:19]
	v_add_co_u32 v28, vcc_lo, v28, s21
	v_add_co_ci_u32_e32 v29, vcc_lo, 0, v29, vcc_lo
	v_add_co_u32 v30, vcc_lo, v30, s21
	v_add_co_ci_u32_e32 v31, vcc_lo, 0, v31, vcc_lo
	s_and_b32 s2, s2, s3
	s_delay_alu instid0(SALU_CYCLE_1)
	s_and_b32 vcc_lo, exec_lo, s2
	s_cbranch_vccz .LBB125_28
.LBB125_4:                              ; =>This Inner Loop Header: Depth=1
	s_waitcnt vmcnt(1)
	v_add_co_u32 v32, s2, v0, s18
	s_delay_alu instid0(VALU_DEP_1) | instskip(SKIP_2) | instid1(VALU_DEP_2)
	v_add_co_ci_u32_e64 v33, null, 0, s19, s2
	s_waitcnt vmcnt(0)
	v_mov_b32_e32 v35, 0
	v_cmp_gt_u64_e32 vcc_lo, s[16:17], v[32:33]
	v_mov_b32_e32 v33, 0
	s_and_saveexec_b32 s3, vcc_lo
	s_cbranch_execz .LBB125_6
; %bb.5:                                ;   in Loop: Header=BB125_4 Depth=1
	v_add_co_u32 v32, s2, v1, s14
	s_delay_alu instid0(VALU_DEP_1) | instskip(SKIP_1) | instid1(VALU_DEP_1)
	v_add_co_ci_u32_e64 v33, s2, s15, v2, s2
	v_add_co_u32 v34, s2, v4, s14
	v_add_co_ci_u32_e64 v35, s2, s15, v5, s2
	global_load_u16 v33, v[32:33], off
	global_load_u16 v35, v[34:35], off
.LBB125_6:                              ;   in Loop: Header=BB125_4 Depth=1
	s_or_b32 exec_lo, exec_lo, s3
	v_mov_b32_e32 v32, 0
	v_mov_b32_e32 v38, 0
	s_and_saveexec_b32 s3, vcc_lo
	s_cbranch_execz .LBB125_8
; %bb.7:                                ;   in Loop: Header=BB125_4 Depth=1
	v_add_co_u32 v36, s2, v6, s14
	s_delay_alu instid0(VALU_DEP_1)
	v_add_co_ci_u32_e64 v37, s2, s15, v7, s2
	global_load_u16 v38, v[36:37], off
.LBB125_8:                              ;   in Loop: Header=BB125_4 Depth=1
	s_or_b32 exec_lo, exec_lo, s3
	v_add_co_u32 v36, s2, v20, s18
	s_delay_alu instid0(VALU_DEP_1) | instskip(NEXT) | instid1(VALU_DEP_1)
	v_add_co_ci_u32_e64 v37, s2, s19, v23, s2
	v_cmp_gt_u64_e64 s2, s[16:17], v[36:37]
	v_mov_b32_e32 v37, 0
	s_delay_alu instid0(VALU_DEP_2)
	s_and_saveexec_b32 s4, s2
	s_cbranch_execz .LBB125_10
; %bb.9:                                ;   in Loop: Header=BB125_4 Depth=1
	v_add_co_u32 v36, s3, v26, s14
	s_delay_alu instid0(VALU_DEP_1) | instskip(SKIP_1) | instid1(VALU_DEP_1)
	v_add_co_ci_u32_e64 v37, s3, s15, v27, s3
	v_add_co_u32 v39, s3, v28, s14
	v_add_co_ci_u32_e64 v40, s3, s15, v29, s3
	global_load_u16 v32, v[36:37], off
	global_load_u16 v37, v[39:40], off
.LBB125_10:                             ;   in Loop: Header=BB125_4 Depth=1
	s_or_b32 exec_lo, exec_lo, s4
	v_mov_b32_e32 v34, 0
	v_mov_b32_e32 v40, 0
	s_and_saveexec_b32 s4, s2
	s_cbranch_execz .LBB125_12
; %bb.11:                               ;   in Loop: Header=BB125_4 Depth=1
	v_add_co_u32 v39, s3, v30, s14
	s_delay_alu instid0(VALU_DEP_1)
	v_add_co_ci_u32_e64 v40, s3, s15, v31, s3
	global_load_u16 v40, v[39:40], off
.LBB125_12:                             ;   in Loop: Header=BB125_4 Depth=1
	s_or_b32 exec_lo, exec_lo, s4
	v_add_co_u32 v41, s3, v24, s18
	s_delay_alu instid0(VALU_DEP_1) | instskip(SKIP_1) | instid1(VALU_DEP_2)
	v_add_co_ci_u32_e64 v42, s3, s19, v25, s3
	v_mov_b32_e32 v39, 0
	v_cmp_gt_u64_e64 s3, s[16:17], v[41:42]
	s_delay_alu instid0(VALU_DEP_1)
	s_and_saveexec_b32 s5, s3
	s_cbranch_execz .LBB125_14
; %bb.13:                               ;   in Loop: Header=BB125_4 Depth=1
	v_add_co_u32 v41, s4, v16, s14
	s_delay_alu instid0(VALU_DEP_1) | instskip(SKIP_1) | instid1(VALU_DEP_1)
	v_add_co_ci_u32_e64 v42, s4, s15, v17, s4
	v_add_co_u32 v43, s4, v18, s14
	v_add_co_ci_u32_e64 v44, s4, s15, v19, s4
	global_load_u16 v34, v[41:42], off
	global_load_u16 v39, v[43:44], off
.LBB125_14:                             ;   in Loop: Header=BB125_4 Depth=1
	s_or_b32 exec_lo, exec_lo, s5
	v_mov_b32_e32 v36, 0
	v_mov_b32_e32 v42, 0
	s_and_saveexec_b32 s5, s3
	s_cbranch_execz .LBB125_16
; %bb.15:                               ;   in Loop: Header=BB125_4 Depth=1
	v_add_co_u32 v41, s4, v21, s14
	s_delay_alu instid0(VALU_DEP_1)
	v_add_co_ci_u32_e64 v42, s4, s15, v22, s4
	global_load_u16 v42, v[41:42], off
.LBB125_16:                             ;   in Loop: Header=BB125_4 Depth=1
	s_or_b32 exec_lo, exec_lo, s5
	v_add_co_u32 v43, s4, v14, s18
	s_delay_alu instid0(VALU_DEP_1) | instskip(SKIP_1) | instid1(VALU_DEP_2)
	v_add_co_ci_u32_e64 v44, s4, s19, v15, s4
	v_mov_b32_e32 v41, 0
	v_cmp_gt_u64_e64 s4, s[16:17], v[43:44]
	s_delay_alu instid0(VALU_DEP_1)
	s_and_saveexec_b32 s22, s4
	s_cbranch_execnz .LBB125_22
; %bb.17:                               ;   in Loop: Header=BB125_4 Depth=1
	s_or_b32 exec_lo, exec_lo, s22
	v_mov_b32_e32 v43, 0
	s_and_saveexec_b32 s22, s4
	s_cbranch_execnz .LBB125_23
.LBB125_18:                             ;   in Loop: Header=BB125_4 Depth=1
	s_or_b32 exec_lo, exec_lo, s22
	s_and_saveexec_b32 s5, vcc_lo
	s_cbranch_execnz .LBB125_24
.LBB125_19:                             ;   in Loop: Header=BB125_4 Depth=1
	s_or_b32 exec_lo, exec_lo, s5
	s_and_saveexec_b32 s5, s2
	s_cbranch_execnz .LBB125_25
.LBB125_20:                             ;   in Loop: Header=BB125_4 Depth=1
	s_or_b32 exec_lo, exec_lo, s5
	s_and_saveexec_b32 s2, s3
	s_cbranch_execnz .LBB125_26
.LBB125_21:                             ;   in Loop: Header=BB125_4 Depth=1
	s_or_b32 exec_lo, exec_lo, s2
	s_and_saveexec_b32 s2, s4
	s_cbranch_execz .LBB125_3
	s_branch .LBB125_27
.LBB125_22:                             ;   in Loop: Header=BB125_4 Depth=1
	v_add_co_u32 v43, s5, v8, s14
	s_delay_alu instid0(VALU_DEP_1) | instskip(SKIP_1) | instid1(VALU_DEP_1)
	v_add_co_ci_u32_e64 v44, s5, s15, v9, s5
	v_add_co_u32 v45, s5, v10, s14
	v_add_co_ci_u32_e64 v46, s5, s15, v11, s5
	global_load_u16 v36, v[43:44], off
	global_load_u16 v41, v[45:46], off
	s_or_b32 exec_lo, exec_lo, s22
	v_mov_b32_e32 v43, 0
	s_and_saveexec_b32 s22, s4
	s_cbranch_execz .LBB125_18
.LBB125_23:                             ;   in Loop: Header=BB125_4 Depth=1
	v_add_co_u32 v43, s5, v12, s14
	s_delay_alu instid0(VALU_DEP_1)
	v_add_co_ci_u32_e64 v44, s5, s15, v13, s5
	global_load_u16 v43, v[43:44], off
	s_or_b32 exec_lo, exec_lo, s22
	s_and_saveexec_b32 s5, vcc_lo
	s_cbranch_execz .LBB125_19
.LBB125_24:                             ;   in Loop: Header=BB125_4 Depth=1
	s_waitcnt vmcnt(0)
	v_bfe_i32 v38, v38, 0, 16
	v_bfe_i32 v35, v35, 0, 16
	s_delay_alu instid0(VALU_DEP_2) | instskip(NEXT) | instid1(VALU_DEP_2)
	v_cvt_f32_i32_e32 v44, v38
	v_cvt_f32_i32_e32 v46, v35
	v_xor_b32_e32 v35, v35, v38
	s_delay_alu instid0(VALU_DEP_3) | instskip(NEXT) | instid1(VALU_DEP_1)
	v_rcp_iflag_f32_e32 v45, v44
	v_ashrrev_i32_e32 v35, 30, v35
	s_delay_alu instid0(VALU_DEP_1) | instskip(SKIP_2) | instid1(VALU_DEP_1)
	v_or_b32_e32 v35, 1, v35
	s_waitcnt_depctr 0xfff
	v_mul_f32_e32 v45, v46, v45
	v_trunc_f32_e32 v38, v45
	s_delay_alu instid0(VALU_DEP_1) | instskip(SKIP_1) | instid1(VALU_DEP_2)
	v_fma_f32 v45, -v38, v44, v46
	v_cvt_i32_f32_e32 v38, v38
	v_cmp_ge_f32_e64 vcc_lo, |v45|, |v44|
	v_cndmask_b32_e32 v35, 0, v35, vcc_lo
	v_add_co_u32 v44, vcc_lo, v1, s14
	v_add_co_ci_u32_e32 v45, vcc_lo, s15, v2, vcc_lo
	s_delay_alu instid0(VALU_DEP_3) | instskip(NEXT) | instid1(VALU_DEP_1)
	v_add_nc_u32_e32 v35, v38, v35
	v_mad_u16 v33, v3, v35, v33
	global_store_b16 v[44:45], v33, off
	s_or_b32 exec_lo, exec_lo, s5
	s_and_saveexec_b32 s5, s2
	s_cbranch_execz .LBB125_20
.LBB125_25:                             ;   in Loop: Header=BB125_4 Depth=1
	s_waitcnt vmcnt(0)
	v_bfe_i32 v33, v40, 0, 16
	v_bfe_i32 v37, v37, 0, 16
	s_delay_alu instid0(VALU_DEP_2) | instskip(NEXT) | instid1(VALU_DEP_2)
	v_cvt_f32_i32_e32 v35, v33
	v_xor_b32_e32 v33, v37, v33
	v_cvt_f32_i32_e32 v40, v37
	s_delay_alu instid0(VALU_DEP_3) | instskip(NEXT) | instid1(VALU_DEP_2)
	v_rcp_iflag_f32_e32 v38, v35
	v_ashrrev_i32_e32 v33, 30, v33
	s_delay_alu instid0(VALU_DEP_1) | instskip(SKIP_2) | instid1(VALU_DEP_1)
	v_or_b32_e32 v33, 1, v33
	s_waitcnt_depctr 0xfff
	v_mul_f32_e32 v38, v40, v38
	v_trunc_f32_e32 v37, v38
	s_delay_alu instid0(VALU_DEP_1) | instskip(SKIP_1) | instid1(VALU_DEP_2)
	v_fma_f32 v38, -v37, v35, v40
	v_cvt_i32_f32_e32 v37, v37
	v_cmp_ge_f32_e64 vcc_lo, |v38|, |v35|
	v_cndmask_b32_e32 v33, 0, v33, vcc_lo
	s_delay_alu instid0(VALU_DEP_1) | instskip(NEXT) | instid1(VALU_DEP_1)
	v_add_nc_u32_e32 v33, v37, v33
	v_mad_u16 v35, v3, v33, v32
	v_add_co_u32 v32, vcc_lo, v26, s14
	v_add_co_ci_u32_e32 v33, vcc_lo, s15, v27, vcc_lo
	global_store_b16 v[32:33], v35, off
	s_or_b32 exec_lo, exec_lo, s5
	s_and_saveexec_b32 s2, s3
	s_cbranch_execz .LBB125_21
.LBB125_26:                             ;   in Loop: Header=BB125_4 Depth=1
	s_waitcnt vmcnt(0)
	v_bfe_i32 v32, v42, 0, 16
	v_bfe_i32 v35, v39, 0, 16
	s_delay_alu instid0(VALU_DEP_2) | instskip(NEXT) | instid1(VALU_DEP_2)
	v_cvt_f32_i32_e32 v33, v32
	v_xor_b32_e32 v32, v35, v32
	v_cvt_f32_i32_e32 v38, v35
	s_delay_alu instid0(VALU_DEP_3) | instskip(NEXT) | instid1(VALU_DEP_2)
	v_rcp_iflag_f32_e32 v37, v33
	v_ashrrev_i32_e32 v32, 30, v32
	s_delay_alu instid0(VALU_DEP_1) | instskip(SKIP_2) | instid1(VALU_DEP_1)
	v_or_b32_e32 v32, 1, v32
	s_waitcnt_depctr 0xfff
	v_mul_f32_e32 v37, v38, v37
	v_trunc_f32_e32 v35, v37
	s_delay_alu instid0(VALU_DEP_1) | instskip(SKIP_1) | instid1(VALU_DEP_2)
	v_fma_f32 v37, -v35, v33, v38
	v_cvt_i32_f32_e32 v35, v35
	v_cmp_ge_f32_e64 vcc_lo, |v37|, |v33|
	v_cndmask_b32_e32 v32, 0, v32, vcc_lo
	s_delay_alu instid0(VALU_DEP_1) | instskip(NEXT) | instid1(VALU_DEP_1)
	v_add_nc_u32_e32 v32, v35, v32
	v_mad_u16 v34, v3, v32, v34
	v_add_co_u32 v32, vcc_lo, v16, s14
	v_add_co_ci_u32_e32 v33, vcc_lo, s15, v17, vcc_lo
	global_store_b16 v[32:33], v34, off
	s_or_b32 exec_lo, exec_lo, s2
	s_and_saveexec_b32 s2, s4
	s_cbranch_execz .LBB125_3
.LBB125_27:                             ;   in Loop: Header=BB125_4 Depth=1
	s_waitcnt vmcnt(0)
	v_bfe_i32 v32, v43, 0, 16
	v_bfe_i32 v34, v41, 0, 16
	s_delay_alu instid0(VALU_DEP_2) | instskip(NEXT) | instid1(VALU_DEP_2)
	v_cvt_f32_i32_e32 v33, v32
	v_xor_b32_e32 v32, v34, v32
	v_cvt_f32_i32_e32 v37, v34
	s_delay_alu instid0(VALU_DEP_3) | instskip(NEXT) | instid1(VALU_DEP_2)
	v_rcp_iflag_f32_e32 v35, v33
	v_ashrrev_i32_e32 v32, 30, v32
	s_delay_alu instid0(VALU_DEP_1) | instskip(SKIP_2) | instid1(VALU_DEP_1)
	v_or_b32_e32 v32, 1, v32
	s_waitcnt_depctr 0xfff
	v_mul_f32_e32 v35, v37, v35
	v_trunc_f32_e32 v34, v35
	s_delay_alu instid0(VALU_DEP_1) | instskip(SKIP_1) | instid1(VALU_DEP_2)
	v_fma_f32 v35, -v34, v33, v37
	v_cvt_i32_f32_e32 v34, v34
	v_cmp_ge_f32_e64 vcc_lo, |v35|, |v33|
	v_cndmask_b32_e32 v32, 0, v32, vcc_lo
	s_delay_alu instid0(VALU_DEP_1) | instskip(NEXT) | instid1(VALU_DEP_1)
	v_add_nc_u32_e32 v32, v34, v32
	v_mad_u16 v34, v3, v32, v36
	v_add_co_u32 v32, vcc_lo, v8, s14
	v_add_co_ci_u32_e32 v33, vcc_lo, s15, v9, vcc_lo
	global_store_b16 v[32:33], v34, off
	s_branch .LBB125_3
.LBB125_28:
	s_mov_b32 s2, 0
.LBB125_29:
	s_delay_alu instid0(SALU_CYCLE_1)
	s_and_not1_b32 vcc_lo, exec_lo, s2
	s_cbranch_vccnz .LBB125_33
; %bb.30:
	v_dual_mov_b32 v2, 0 :: v_dual_lshlrev_b32 v1, 2, v0
	s_mov_b32 s3, 0
	s_mov_b32 s2, exec_lo
	s_delay_alu instid0(VALU_DEP_1)
	v_cmpx_gt_i64_e64 s[12:13], v[1:2]
	s_cbranch_execz .LBB125_33
; %bb.31:
	s_load_b32 s0, s[0:1], 0xcb4
	v_lshlrev_b32_e32 v1, 3, v0
	s_delay_alu instid0(VALU_DEP_1) | instskip(NEXT) | instid1(VALU_DEP_1)
	v_add_co_u32 v4, s1, s14, v1
	v_add_co_ci_u32_e64 v5, null, s15, 0, s1
	s_waitcnt lgkmcnt(0)
	s_and_b32 s0, s0, 0xffff
	s_delay_alu instid0(SALU_CYCLE_1)
	v_add_lshl_u32 v1, v0, s0, 2
	s_lshl_b32 s4, s0, 3
	s_lshl_b32 s5, s0, 2
.LBB125_32:                             ; =>This Inner Loop Header: Depth=1
	v_add_co_u32 v6, vcc_lo, s6, v4
	v_add_co_ci_u32_e32 v7, vcc_lo, s7, v5, vcc_lo
	v_add_co_u32 v8, vcc_lo, s8, v4
	v_add_co_ci_u32_e32 v9, vcc_lo, s9, v5, vcc_lo
	;; [unrolled: 2-line block ×3, first 2 shown]
	global_load_b64 v[6:7], v[6:7], off
	global_load_b64 v[8:9], v[8:9], off
	;; [unrolled: 1-line block ×3, first 2 shown]
	v_cmp_le_i64_e32 vcc_lo, s[12:13], v[1:2]
	v_cmp_lt_u64_e64 s0, 0xffff, v[1:2]
	v_add_co_u32 v4, s1, v4, s4
	s_delay_alu instid0(VALU_DEP_1) | instskip(SKIP_1) | instid1(VALU_DEP_4)
	v_add_co_ci_u32_e64 v5, s1, 0, v5, s1
	v_add_co_u32 v1, s1, v1, s5
	s_or_b32 s0, vcc_lo, s0
	v_add_co_ci_u32_e64 v2, s1, 0, v2, s1
	s_and_b32 s0, exec_lo, s0
	s_delay_alu instid0(SALU_CYCLE_1)
	s_or_b32 s3, s0, s3
	s_waitcnt vmcnt(2)
	v_bfe_i32 v0, v6, 0, 16
	s_waitcnt vmcnt(1)
	v_bfe_i32 v14, v8, 0, 16
	v_ashrrev_i32_e32 v16, 16, v6
	v_ashrrev_i32_e32 v17, 16, v8
	v_alignbit_b32 v6, v7, v6, 16
	v_alignbit_b32 v8, v9, v8, 16
	v_ashrrev_i32_e32 v7, 16, v7
	v_ashrrev_i32_e32 v9, 16, v9
	v_xor_b32_e32 v19, v0, v14
	v_cvt_f32_i32_e32 v14, v14
	v_xor_b32_e32 v20, v16, v17
	v_cvt_f32_i32_e32 v17, v17
	v_ashrrev_i32_e32 v6, 16, v6
	v_ashrrev_i32_e32 v8, 16, v8
	v_xor_b32_e32 v21, v7, v9
	v_cvt_f32_i32_e32 v9, v9
	v_rcp_iflag_f32_e32 v22, v14
	v_cvt_f32_i32_e32 v0, v0
	v_rcp_iflag_f32_e32 v23, v17
	v_xor_b32_e32 v24, v6, v8
	v_cvt_f32_i32_e32 v8, v8
	v_rcp_iflag_f32_e32 v25, v9
	v_cvt_f32_i32_e32 v16, v16
	v_cvt_f32_i32_e32 v7, v7
	;; [unrolled: 1-line block ×3, first 2 shown]
	v_rcp_iflag_f32_e32 v26, v8
	v_mul_f32_e32 v22, v0, v22
	v_ashrrev_i32_e32 v19, 30, v19
	v_mul_f32_e32 v23, v16, v23
	v_ashrrev_i32_e32 v20, 30, v20
	v_ashrrev_i32_e32 v21, 30, v21
	v_mul_f32_e32 v25, v7, v25
	v_trunc_f32_e32 v22, v22
	v_or_b32_e32 v19, 1, v19
	v_or_b32_e32 v20, 1, v20
	v_mul_f32_e32 v26, v6, v26
	v_trunc_f32_e32 v23, v23
	v_fma_f32 v0, -v22, v14, v0
	v_trunc_f32_e32 v25, v25
	v_ashrrev_i32_e32 v24, 30, v24
	v_trunc_f32_e32 v26, v26
	v_fma_f32 v16, -v23, v17, v16
	v_cmp_ge_f32_e64 s2, |v0|, |v14|
	v_fma_f32 v7, -v25, v9, v7
	v_or_b32_e32 v21, 1, v21
	v_fma_f32 v6, -v26, v8, v6
	v_or_b32_e32 v24, 1, v24
	v_cndmask_b32_e64 v0, 0, v19, s2
	v_cmp_ge_f32_e64 s2, |v16|, |v17|
	v_cvt_i32_f32_e32 v22, v22
	v_cvt_i32_f32_e32 v23, v23
	s_waitcnt vmcnt(0)
	v_lshrrev_b32_e32 v15, 16, v12
	v_cvt_i32_f32_e32 v25, v25
	v_cndmask_b32_e64 v14, 0, v20, s2
	v_cmp_ge_f32_e64 s2, |v7|, |v9|
	v_cvt_i32_f32_e32 v16, v26
	v_add_nc_u32_e32 v0, v22, v0
	v_lshrrev_b32_e32 v18, 16, v13
	v_add_nc_u32_e32 v9, v23, v14
	v_cndmask_b32_e64 v7, 0, v21, s2
	v_cmp_ge_f32_e64 s2, |v6|, |v8|
	v_mad_u16 v0, v3, v0, v12
	s_delay_alu instid0(VALU_DEP_4) | instskip(NEXT) | instid1(VALU_DEP_4)
	v_mad_u16 v8, v3, v9, v15
	v_add_nc_u32_e32 v7, v25, v7
	s_delay_alu instid0(VALU_DEP_4) | instskip(NEXT) | instid1(VALU_DEP_4)
	v_cndmask_b32_e64 v6, 0, v24, s2
	v_and_b32_e32 v0, 0xffff, v0
	s_delay_alu instid0(VALU_DEP_4) | instskip(NEXT) | instid1(VALU_DEP_4)
	v_lshlrev_b32_e32 v8, 16, v8
	v_mad_u16 v7, v3, v7, v18
	s_delay_alu instid0(VALU_DEP_4) | instskip(NEXT) | instid1(VALU_DEP_3)
	v_add_nc_u32_e32 v6, v16, v6
	v_or_b32_e32 v0, v8, v0
	s_delay_alu instid0(VALU_DEP_3) | instskip(NEXT) | instid1(VALU_DEP_3)
	v_lshlrev_b32_e32 v7, 16, v7
	v_mad_u16 v6, v3, v6, v13
	s_delay_alu instid0(VALU_DEP_1) | instskip(NEXT) | instid1(VALU_DEP_1)
	v_and_b32_e32 v6, 0xffff, v6
	v_or3_b32 v7, 0, v6, v7
	v_or3_b32 v6, v0, 0, 0
	global_store_b64 v[10:11], v[6:7], off
	s_and_not1_b32 exec_lo, exec_lo, s3
	s_cbranch_execnz .LBB125_32
.LBB125_33:
	s_nop 0
	s_sendmsg sendmsg(MSG_DEALLOC_VGPRS)
	s_endpgm
	.section	.rodata,"a",@progbits
	.p2align	6, 0x0
	.amdhsa_kernel _ZN2at6native12_GLOBAL__N_125multi_tensor_apply_kernelINS1_28TensorListScalarListMetadataIsLi3EEENS1_28PointwiseOpScalarListFunctorIsLi3ELi3ELi0EEEJSt7dividesIsEEEEvT_T0_DpT1_
		.amdhsa_group_segment_fixed_size 0
		.amdhsa_private_segment_fixed_size 0
		.amdhsa_kernarg_size 3496
		.amdhsa_user_sgpr_count 15
		.amdhsa_user_sgpr_dispatch_ptr 0
		.amdhsa_user_sgpr_queue_ptr 0
		.amdhsa_user_sgpr_kernarg_segment_ptr 1
		.amdhsa_user_sgpr_dispatch_id 0
		.amdhsa_user_sgpr_private_segment_size 0
		.amdhsa_wavefront_size32 1
		.amdhsa_uses_dynamic_stack 0
		.amdhsa_enable_private_segment 0
		.amdhsa_system_sgpr_workgroup_id_x 1
		.amdhsa_system_sgpr_workgroup_id_y 0
		.amdhsa_system_sgpr_workgroup_id_z 0
		.amdhsa_system_sgpr_workgroup_info 0
		.amdhsa_system_vgpr_workitem_id 0
		.amdhsa_next_free_vgpr 47
		.amdhsa_next_free_sgpr 23
		.amdhsa_reserve_vcc 1
		.amdhsa_float_round_mode_32 0
		.amdhsa_float_round_mode_16_64 0
		.amdhsa_float_denorm_mode_32 3
		.amdhsa_float_denorm_mode_16_64 3
		.amdhsa_dx10_clamp 1
		.amdhsa_ieee_mode 1
		.amdhsa_fp16_overflow 0
		.amdhsa_workgroup_processor_mode 1
		.amdhsa_memory_ordered 1
		.amdhsa_forward_progress 0
		.amdhsa_shared_vgpr_count 0
		.amdhsa_exception_fp_ieee_invalid_op 0
		.amdhsa_exception_fp_denorm_src 0
		.amdhsa_exception_fp_ieee_div_zero 0
		.amdhsa_exception_fp_ieee_overflow 0
		.amdhsa_exception_fp_ieee_underflow 0
		.amdhsa_exception_fp_ieee_inexact 0
		.amdhsa_exception_int_div_zero 0
	.end_amdhsa_kernel
	.section	.text._ZN2at6native12_GLOBAL__N_125multi_tensor_apply_kernelINS1_28TensorListScalarListMetadataIsLi3EEENS1_28PointwiseOpScalarListFunctorIsLi3ELi3ELi0EEEJSt7dividesIsEEEEvT_T0_DpT1_,"axG",@progbits,_ZN2at6native12_GLOBAL__N_125multi_tensor_apply_kernelINS1_28TensorListScalarListMetadataIsLi3EEENS1_28PointwiseOpScalarListFunctorIsLi3ELi3ELi0EEEJSt7dividesIsEEEEvT_T0_DpT1_,comdat
.Lfunc_end125:
	.size	_ZN2at6native12_GLOBAL__N_125multi_tensor_apply_kernelINS1_28TensorListScalarListMetadataIsLi3EEENS1_28PointwiseOpScalarListFunctorIsLi3ELi3ELi0EEEJSt7dividesIsEEEEvT_T0_DpT1_, .Lfunc_end125-_ZN2at6native12_GLOBAL__N_125multi_tensor_apply_kernelINS1_28TensorListScalarListMetadataIsLi3EEENS1_28PointwiseOpScalarListFunctorIsLi3ELi3ELi0EEEJSt7dividesIsEEEEvT_T0_DpT1_
                                        ; -- End function
	.section	.AMDGPU.csdata,"",@progbits
; Kernel info:
; codeLenInByte = 2724
; NumSgprs: 25
; NumVgprs: 47
; ScratchSize: 0
; MemoryBound: 0
; FloatMode: 240
; IeeeMode: 1
; LDSByteSize: 0 bytes/workgroup (compile time only)
; SGPRBlocks: 3
; VGPRBlocks: 5
; NumSGPRsForWavesPerEU: 25
; NumVGPRsForWavesPerEU: 47
; Occupancy: 16
; WaveLimiterHint : 0
; COMPUTE_PGM_RSRC2:SCRATCH_EN: 0
; COMPUTE_PGM_RSRC2:USER_SGPR: 15
; COMPUTE_PGM_RSRC2:TRAP_HANDLER: 0
; COMPUTE_PGM_RSRC2:TGID_X_EN: 1
; COMPUTE_PGM_RSRC2:TGID_Y_EN: 0
; COMPUTE_PGM_RSRC2:TGID_Z_EN: 0
; COMPUTE_PGM_RSRC2:TIDIG_COMP_CNT: 0
	.section	.text._ZN2at6native12_GLOBAL__N_125multi_tensor_apply_kernelINS1_28TensorListScalarListMetadataIdLi3EEENS1_28PointwiseOpScalarListFunctorIdLi3ELi3ELi0EEEJSt7dividesIdEEEEvT_T0_DpT1_,"axG",@progbits,_ZN2at6native12_GLOBAL__N_125multi_tensor_apply_kernelINS1_28TensorListScalarListMetadataIdLi3EEENS1_28PointwiseOpScalarListFunctorIdLi3ELi3ELi0EEEJSt7dividesIdEEEEvT_T0_DpT1_,comdat
	.globl	_ZN2at6native12_GLOBAL__N_125multi_tensor_apply_kernelINS1_28TensorListScalarListMetadataIdLi3EEENS1_28PointwiseOpScalarListFunctorIdLi3ELi3ELi0EEEJSt7dividesIdEEEEvT_T0_DpT1_ ; -- Begin function _ZN2at6native12_GLOBAL__N_125multi_tensor_apply_kernelINS1_28TensorListScalarListMetadataIdLi3EEENS1_28PointwiseOpScalarListFunctorIdLi3ELi3ELi0EEEJSt7dividesIdEEEEvT_T0_DpT1_
	.p2align	8
	.type	_ZN2at6native12_GLOBAL__N_125multi_tensor_apply_kernelINS1_28TensorListScalarListMetadataIdLi3EEENS1_28PointwiseOpScalarListFunctorIdLi3ELi3ELi0EEEJSt7dividesIdEEEEvT_T0_DpT1_,@function
_ZN2at6native12_GLOBAL__N_125multi_tensor_apply_kernelINS1_28TensorListScalarListMetadataIdLi3EEENS1_28PointwiseOpScalarListFunctorIdLi3ELi3ELi0EEEJSt7dividesIdEEEEvT_T0_DpT1_: ; @_ZN2at6native12_GLOBAL__N_125multi_tensor_apply_kernelINS1_28TensorListScalarListMetadataIdLi3EEENS1_28PointwiseOpScalarListFunctorIdLi3ELi3ELi0EEEJSt7dividesIdEEEEvT_T0_DpT1_
; %bb.0:
	v_mov_b32_e32 v1, s15
	s_add_u32 s2, s0, s15
	s_mul_hi_u32 s3, s15, 3
	s_mul_i32 s15, s15, 3
	s_addc_u32 s4, s1, 0
	global_load_u8 v1, v1, s[0:1] offset:1920
	s_add_u32 s2, s2, s15
	s_addc_u32 s3, s4, s3
	s_load_b32 s8, s[2:3], 0x8c0
	s_waitcnt lgkmcnt(0)
	s_ashr_i32 s9, s8, 31
	s_delay_alu instid0(SALU_CYCLE_1) | instskip(SKIP_2) | instid1(VALU_DEP_1)
	s_lshl_b64 s[10:11], s[8:9], 19
	s_waitcnt vmcnt(0)
	v_readfirstlane_b32 s5, v1
	s_lshl_b32 s6, s5, 3
	s_clause 0x4
	s_load_b64 s[2:3], s[0:1], s6 offset:0x0
	s_load_b64 s[4:5], s[0:1], s6 offset:0x180
	s_load_b64 s[14:15], s[0:1], s6 offset:0x300
	s_load_b64 s[12:13], s[0:1], s6 offset:0x480
	s_load_b64 s[6:7], s[0:1], s6 offset:0x600
	s_waitcnt lgkmcnt(0)
	s_add_u32 s16, s2, s10
	s_addc_u32 s17, s3, s11
	s_and_b32 s22, s16, 31
	s_add_u32 s18, s4, s10
	s_addc_u32 s19, s5, s11
	s_add_u32 s20, s14, s10
	s_addc_u32 s21, s15, s11
	s_or_b32 s23, s20, s18
	s_delay_alu instid0(SALU_CYCLE_1) | instskip(NEXT) | instid1(SALU_CYCLE_1)
	s_and_b32 s23, s23, 31
	s_cmp_eq_u32 s23, 0
	s_mov_b32 s23, 0
	s_cselect_b32 s24, -1, 0
	s_lshl_b64 s[8:9], s[8:9], 16
	s_delay_alu instid0(SALU_CYCLE_1) | instskip(SKIP_3) | instid1(SALU_CYCLE_1)
	s_sub_u32 s8, s12, s8
	s_subb_u32 s9, s13, s9
	s_and_b32 s12, s12, 3
	s_mov_b32 s13, s23
	s_or_b64 s[12:13], s[22:23], s[12:13]
	s_delay_alu instid0(SALU_CYCLE_1) | instskip(SKIP_1) | instid1(SALU_CYCLE_1)
	s_cmp_eq_u64 s[12:13], 0
	s_cselect_b32 s12, -1, 0
	s_and_b32 s12, s24, s12
	s_delay_alu instid0(SALU_CYCLE_1)
	s_and_b32 vcc_lo, exec_lo, s12
	s_mov_b32 s12, -1
	s_cbranch_vccnz .LBB126_45
; %bb.1:
	v_cmp_lt_i64_e64 s12, s[8:9], 1
	s_delay_alu instid0(VALU_DEP_1)
	s_and_b32 vcc_lo, exec_lo, s12
	s_cbranch_vccnz .LBB126_44
; %bb.2:
	s_load_b32 s12, s[0:1], 0xdd4
	v_dual_mov_b32 v2, 0 :: v_dual_lshlrev_b32 v1, 3, v0
	v_cmp_neq_f64_e64 s22, s[6:7], 1.0
	v_cmp_gt_u64_e64 s13, 0x10000, s[8:9]
	s_delay_alu instid0(VALU_DEP_3) | instskip(NEXT) | instid1(VALU_DEP_1)
	v_add_co_u32 v25, s23, s2, v1
	v_add_co_ci_u32_e64 v26, null, s3, 0, s23
	v_add_co_u32 v27, s23, s4, v1
	s_delay_alu instid0(VALU_DEP_1)
	v_add_co_ci_u32_e64 v28, null, s5, 0, s23
	s_waitcnt lgkmcnt(0)
	s_and_b32 s24, s12, 0xffff
	v_add_co_u32 v29, s12, s14, v1
	v_mad_u64_u32 v[3:4], null, s24, 24, v[1:2]
	v_add_co_ci_u32_e64 v30, null, s15, 0, s12
	s_and_b32 s12, s13, exec_lo
	s_cselect_b32 s13, s9, 0
	s_cselect_b32 s12, s8, 0x10000
	s_lshl_b32 s26, s24, 4
	s_delay_alu instid0(VALU_DEP_2) | instskip(NEXT) | instid1(VALU_DEP_3)
	v_add_co_u32 v31, vcc_lo, s2, v3
	v_add_co_ci_u32_e32 v32, vcc_lo, s3, v4, vcc_lo
	v_add_co_u32 v33, vcc_lo, s4, v3
	v_add_co_u32 v1, s26, s26, v1
	v_add_co_ci_u32_e32 v34, vcc_lo, s5, v4, vcc_lo
	s_mul_i32 s25, s24, 3
	v_add_co_u32 v35, vcc_lo, s14, v3
	v_add_co_ci_u32_e64 v2, null, 0, 0, s26
	v_add_co_ci_u32_e32 v36, vcc_lo, s15, v4, vcc_lo
	v_add_co_u32 v37, s25, s25, v0
	v_add_co_u32 v39, vcc_lo, s2, v1
	v_add_co_ci_u32_e64 v38, null, 0, 0, s25
	v_add_co_u32 v43, s25, v0, s24
	v_add_co_ci_u32_e32 v40, vcc_lo, s3, v2, vcc_lo
	v_add_co_u32 v41, vcc_lo, s4, v1
	v_add_co_ci_u32_e32 v42, vcc_lo, s5, v2, vcc_lo
	v_add_co_u32 v44, vcc_lo, s14, v1
	v_lshlrev_b32_e32 v1, 3, v43
	s_lshl_b32 s23, s24, 1
	v_add_co_ci_u32_e32 v45, vcc_lo, s15, v2, vcc_lo
	v_add_co_u32 v47, s23, s23, v0
	s_delay_alu instid0(VALU_DEP_3) | instskip(NEXT) | instid1(VALU_DEP_1)
	v_add_co_u32 v49, s2, s2, v1
	v_add_co_ci_u32_e64 v50, null, s3, 0, s2
	v_add_co_u32 v51, s2, s4, v1
	s_delay_alu instid0(VALU_DEP_1)
	v_add_co_ci_u32_e64 v52, null, s5, 0, s2
	v_add_co_u32 v53, s2, s14, v1
	v_add_co_ci_u32_e64 v46, null, 0, 0, s25
	v_add_co_ci_u32_e64 v48, null, 0, 0, s23
	;; [unrolled: 1-line block ×3, first 2 shown]
	s_lshl_b32 s23, s24, 2
	s_lshl_b32 s24, s24, 5
	s_mov_b64 s[14:15], 0
	s_branch .LBB126_4
.LBB126_3:                              ;   in Loop: Header=BB126_4 Depth=1
	s_or_b32 exec_lo, exec_lo, s2
	v_add_co_u32 v25, vcc_lo, v25, s24
	v_add_co_ci_u32_e32 v26, vcc_lo, 0, v26, vcc_lo
	v_add_co_u32 v27, vcc_lo, v27, s24
	v_add_co_ci_u32_e32 v28, vcc_lo, 0, v28, vcc_lo
	;; [unrolled: 2-line block ×9, first 2 shown]
	s_add_u32 s14, s14, s23
	v_add_co_u32 v49, vcc_lo, v49, s24
	s_addc_u32 s15, s15, 0
	v_add_co_ci_u32_e32 v50, vcc_lo, 0, v50, vcc_lo
	v_cmp_ge_i64_e64 s2, s[14:15], s[8:9]
	v_cmp_lt_u64_e64 s3, 0xffff, s[14:15]
	v_add_co_u32 v51, vcc_lo, v51, s24
	v_add_co_ci_u32_e32 v52, vcc_lo, 0, v52, vcc_lo
	v_add_co_u32 v53, vcc_lo, v53, s24
	v_add_co_ci_u32_e32 v54, vcc_lo, 0, v54, vcc_lo
	s_or_b32 s2, s2, s3
	s_delay_alu instid0(SALU_CYCLE_1)
	s_and_b32 vcc_lo, exec_lo, s2
	s_cbranch_vccnz .LBB126_44
.LBB126_4:                              ; =>This Inner Loop Header: Depth=1
	v_add_co_u32 v1, s2, v0, s14
	s_delay_alu instid0(VALU_DEP_1) | instskip(SKIP_2) | instid1(VALU_DEP_3)
	v_add_co_ci_u32_e64 v2, null, 0, s15, s2
	v_mov_b32_e32 v7, 0
	v_mov_b32_e32 v8, 0
	v_cmp_gt_u64_e64 s2, s[12:13], v[1:2]
	s_delay_alu instid0(VALU_DEP_2) | instskip(SKIP_1) | instid1(VALU_DEP_3)
	v_dual_mov_b32 v1, v7 :: v_dual_mov_b32 v2, v8
	v_dual_mov_b32 v14, v8 :: v_dual_mov_b32 v13, v7
	s_and_saveexec_b32 s3, s2
	s_cbranch_execz .LBB126_6
; %bb.5:                                ;   in Loop: Header=BB126_4 Depth=1
	v_add_co_u32 v1, vcc_lo, v25, s10
	v_add_co_ci_u32_e32 v2, vcc_lo, s11, v26, vcc_lo
	v_add_co_u32 v3, vcc_lo, v27, s10
	v_add_co_ci_u32_e32 v4, vcc_lo, s11, v28, vcc_lo
	global_load_b64 v[1:2], v[1:2], off
	global_load_b64 v[13:14], v[3:4], off
.LBB126_6:                              ;   in Loop: Header=BB126_4 Depth=1
	s_or_b32 exec_lo, exec_lo, s3
	s_and_saveexec_b32 s3, s2
	s_cbranch_execz .LBB126_8
; %bb.7:                                ;   in Loop: Header=BB126_4 Depth=1
	v_add_co_u32 v3, vcc_lo, v29, s10
	v_add_co_ci_u32_e32 v4, vcc_lo, s11, v30, vcc_lo
	global_load_b64 v[7:8], v[3:4], off
.LBB126_8:                              ;   in Loop: Header=BB126_4 Depth=1
	s_or_b32 exec_lo, exec_lo, s3
	v_add_co_u32 v3, vcc_lo, v43, s14
	v_add_co_ci_u32_e32 v4, vcc_lo, s15, v46, vcc_lo
	v_mov_b32_e32 v11, 0
	v_mov_b32_e32 v12, 0
	s_delay_alu instid0(VALU_DEP_3) | instskip(NEXT) | instid1(VALU_DEP_2)
	v_cmp_gt_u64_e64 s3, s[12:13], v[3:4]
	v_dual_mov_b32 v3, v11 :: v_dual_mov_b32 v4, v12
	v_dual_mov_b32 v18, v12 :: v_dual_mov_b32 v17, v11
	s_delay_alu instid0(VALU_DEP_3)
	s_and_saveexec_b32 s4, s3
	s_cbranch_execz .LBB126_10
; %bb.9:                                ;   in Loop: Header=BB126_4 Depth=1
	v_add_co_u32 v3, vcc_lo, v49, s10
	v_add_co_ci_u32_e32 v4, vcc_lo, s11, v50, vcc_lo
	v_add_co_u32 v5, vcc_lo, v51, s10
	v_add_co_ci_u32_e32 v6, vcc_lo, s11, v52, vcc_lo
	global_load_b64 v[3:4], v[3:4], off
	global_load_b64 v[17:18], v[5:6], off
.LBB126_10:                             ;   in Loop: Header=BB126_4 Depth=1
	s_or_b32 exec_lo, exec_lo, s4
	s_and_saveexec_b32 s4, s3
	s_cbranch_execz .LBB126_12
; %bb.11:                               ;   in Loop: Header=BB126_4 Depth=1
	v_add_co_u32 v5, vcc_lo, v53, s10
	v_add_co_ci_u32_e32 v6, vcc_lo, s11, v54, vcc_lo
	global_load_b64 v[11:12], v[5:6], off
.LBB126_12:                             ;   in Loop: Header=BB126_4 Depth=1
	s_or_b32 exec_lo, exec_lo, s4
	v_add_co_u32 v5, vcc_lo, v47, s14
	v_add_co_ci_u32_e32 v6, vcc_lo, s15, v48, vcc_lo
	v_mov_b32_e32 v15, 0
	v_mov_b32_e32 v16, 0
	s_delay_alu instid0(VALU_DEP_3) | instskip(NEXT) | instid1(VALU_DEP_2)
	v_cmp_gt_u64_e64 s4, s[12:13], v[5:6]
	v_dual_mov_b32 v5, v15 :: v_dual_mov_b32 v6, v16
	v_dual_mov_b32 v20, v16 :: v_dual_mov_b32 v19, v15
	s_delay_alu instid0(VALU_DEP_3)
	s_and_saveexec_b32 s5, s4
	s_cbranch_execz .LBB126_14
; %bb.13:                               ;   in Loop: Header=BB126_4 Depth=1
	v_add_co_u32 v5, vcc_lo, v39, s10
	v_add_co_ci_u32_e32 v6, vcc_lo, s11, v40, vcc_lo
	v_add_co_u32 v9, vcc_lo, v41, s10
	v_add_co_ci_u32_e32 v10, vcc_lo, s11, v42, vcc_lo
	global_load_b64 v[5:6], v[5:6], off
	global_load_b64 v[19:20], v[9:10], off
.LBB126_14:                             ;   in Loop: Header=BB126_4 Depth=1
	s_or_b32 exec_lo, exec_lo, s5
	s_and_saveexec_b32 s5, s4
	s_cbranch_execz .LBB126_16
; %bb.15:                               ;   in Loop: Header=BB126_4 Depth=1
	v_add_co_u32 v9, vcc_lo, v44, s10
	v_add_co_ci_u32_e32 v10, vcc_lo, s11, v45, vcc_lo
	global_load_b64 v[15:16], v[9:10], off
.LBB126_16:                             ;   in Loop: Header=BB126_4 Depth=1
	s_or_b32 exec_lo, exec_lo, s5
	v_add_co_u32 v9, vcc_lo, v37, s14
	v_add_co_ci_u32_e32 v10, vcc_lo, s15, v38, vcc_lo
	v_mov_b32_e32 v21, 0
	v_mov_b32_e32 v22, 0
	s_delay_alu instid0(VALU_DEP_3) | instskip(NEXT) | instid1(VALU_DEP_2)
	v_cmp_gt_u64_e64 s5, s[12:13], v[9:10]
	v_dual_mov_b32 v9, v21 :: v_dual_mov_b32 v10, v22
	v_dual_mov_b32 v24, v22 :: v_dual_mov_b32 v23, v21
	s_delay_alu instid0(VALU_DEP_3)
	s_and_saveexec_b32 s25, s5
	s_cbranch_execz .LBB126_18
; %bb.17:                               ;   in Loop: Header=BB126_4 Depth=1
	v_add_co_u32 v9, vcc_lo, v31, s10
	v_add_co_ci_u32_e32 v10, vcc_lo, s11, v32, vcc_lo
	v_add_co_u32 v23, vcc_lo, v33, s10
	v_add_co_ci_u32_e32 v24, vcc_lo, s11, v34, vcc_lo
	global_load_b64 v[9:10], v[9:10], off
	global_load_b64 v[23:24], v[23:24], off
.LBB126_18:                             ;   in Loop: Header=BB126_4 Depth=1
	s_or_b32 exec_lo, exec_lo, s25
	s_and_saveexec_b32 s25, s5
	s_cbranch_execz .LBB126_20
; %bb.19:                               ;   in Loop: Header=BB126_4 Depth=1
	v_add_co_u32 v21, vcc_lo, v35, s10
	v_add_co_ci_u32_e32 v22, vcc_lo, s11, v36, vcc_lo
	global_load_b64 v[21:22], v[21:22], off
.LBB126_20:                             ;   in Loop: Header=BB126_4 Depth=1
	s_or_b32 exec_lo, exec_lo, s25
	s_waitcnt vmcnt(0)
	v_div_scale_f64 v[55:56], null, v[7:8], v[7:8], v[13:14]
	s_delay_alu instid0(VALU_DEP_1) | instskip(SKIP_2) | instid1(VALU_DEP_1)
	v_rcp_f64_e32 v[57:58], v[55:56]
	s_waitcnt_depctr 0xfff
	v_fma_f64 v[59:60], -v[55:56], v[57:58], 1.0
	v_fma_f64 v[57:58], v[57:58], v[59:60], v[57:58]
	s_delay_alu instid0(VALU_DEP_1) | instskip(NEXT) | instid1(VALU_DEP_1)
	v_fma_f64 v[59:60], -v[55:56], v[57:58], 1.0
	v_fma_f64 v[57:58], v[57:58], v[59:60], v[57:58]
	v_div_scale_f64 v[59:60], vcc_lo, v[13:14], v[7:8], v[13:14]
	s_delay_alu instid0(VALU_DEP_1) | instskip(NEXT) | instid1(VALU_DEP_1)
	v_mul_f64 v[61:62], v[59:60], v[57:58]
	v_fma_f64 v[55:56], -v[55:56], v[61:62], v[59:60]
	s_delay_alu instid0(VALU_DEP_1) | instskip(SKIP_1) | instid1(VALU_DEP_1)
	v_div_fmas_f64 v[55:56], v[55:56], v[57:58], v[61:62]
	s_and_b32 vcc_lo, exec_lo, s22
	v_div_fixup_f64 v[13:14], v[55:56], v[7:8], v[13:14]
	s_cbranch_vccz .LBB126_40
; %bb.21:                               ;   in Loop: Header=BB126_4 Depth=1
	s_delay_alu instid0(VALU_DEP_1)
	v_fma_f64 v[7:8], s[6:7], v[13:14], v[1:2]
	s_cbranch_execnz .LBB126_23
.LBB126_22:                             ;   in Loop: Header=BB126_4 Depth=1
	s_delay_alu instid0(VALU_DEP_1)
	v_add_f64 v[7:8], v[1:2], v[13:14]
.LBB126_23:                             ;   in Loop: Header=BB126_4 Depth=1
	v_div_scale_f64 v[1:2], null, v[11:12], v[11:12], v[17:18]
	s_delay_alu instid0(VALU_DEP_1) | instskip(SKIP_2) | instid1(VALU_DEP_1)
	v_rcp_f64_e32 v[13:14], v[1:2]
	s_waitcnt_depctr 0xfff
	v_fma_f64 v[55:56], -v[1:2], v[13:14], 1.0
	v_fma_f64 v[13:14], v[13:14], v[55:56], v[13:14]
	s_delay_alu instid0(VALU_DEP_1) | instskip(NEXT) | instid1(VALU_DEP_1)
	v_fma_f64 v[55:56], -v[1:2], v[13:14], 1.0
	v_fma_f64 v[13:14], v[13:14], v[55:56], v[13:14]
	v_div_scale_f64 v[55:56], vcc_lo, v[17:18], v[11:12], v[17:18]
	s_delay_alu instid0(VALU_DEP_1) | instskip(NEXT) | instid1(VALU_DEP_1)
	v_mul_f64 v[57:58], v[55:56], v[13:14]
	v_fma_f64 v[1:2], -v[1:2], v[57:58], v[55:56]
	s_delay_alu instid0(VALU_DEP_1) | instskip(SKIP_1) | instid1(VALU_DEP_1)
	v_div_fmas_f64 v[1:2], v[1:2], v[13:14], v[57:58]
	s_and_not1_b32 vcc_lo, exec_lo, s22
	v_div_fixup_f64 v[11:12], v[1:2], v[11:12], v[17:18]
	s_cbranch_vccnz .LBB126_41
; %bb.24:                               ;   in Loop: Header=BB126_4 Depth=1
	s_delay_alu instid0(VALU_DEP_1)
	v_fma_f64 v[1:2], s[6:7], v[11:12], v[3:4]
	s_cbranch_execnz .LBB126_26
.LBB126_25:                             ;   in Loop: Header=BB126_4 Depth=1
	s_delay_alu instid0(VALU_DEP_1)
	v_add_f64 v[1:2], v[3:4], v[11:12]
.LBB126_26:                             ;   in Loop: Header=BB126_4 Depth=1
	v_div_scale_f64 v[3:4], null, v[15:16], v[15:16], v[19:20]
	s_delay_alu instid0(VALU_DEP_1) | instskip(SKIP_2) | instid1(VALU_DEP_1)
	v_rcp_f64_e32 v[11:12], v[3:4]
	s_waitcnt_depctr 0xfff
	v_fma_f64 v[13:14], -v[3:4], v[11:12], 1.0
	v_fma_f64 v[11:12], v[11:12], v[13:14], v[11:12]
	s_delay_alu instid0(VALU_DEP_1) | instskip(NEXT) | instid1(VALU_DEP_1)
	v_fma_f64 v[13:14], -v[3:4], v[11:12], 1.0
	v_fma_f64 v[11:12], v[11:12], v[13:14], v[11:12]
	v_div_scale_f64 v[13:14], vcc_lo, v[19:20], v[15:16], v[19:20]
	s_delay_alu instid0(VALU_DEP_1) | instskip(NEXT) | instid1(VALU_DEP_1)
	v_mul_f64 v[17:18], v[13:14], v[11:12]
	v_fma_f64 v[3:4], -v[3:4], v[17:18], v[13:14]
	s_delay_alu instid0(VALU_DEP_1) | instskip(SKIP_1) | instid1(VALU_DEP_1)
	v_div_fmas_f64 v[3:4], v[3:4], v[11:12], v[17:18]
	s_and_not1_b32 vcc_lo, exec_lo, s22
	v_div_fixup_f64 v[11:12], v[3:4], v[15:16], v[19:20]
	s_cbranch_vccnz .LBB126_42
; %bb.27:                               ;   in Loop: Header=BB126_4 Depth=1
	s_delay_alu instid0(VALU_DEP_1)
	v_fma_f64 v[3:4], s[6:7], v[11:12], v[5:6]
	s_cbranch_execnz .LBB126_29
.LBB126_28:                             ;   in Loop: Header=BB126_4 Depth=1
	s_delay_alu instid0(VALU_DEP_1)
	v_add_f64 v[3:4], v[5:6], v[11:12]
.LBB126_29:                             ;   in Loop: Header=BB126_4 Depth=1
	v_div_scale_f64 v[5:6], null, v[21:22], v[21:22], v[23:24]
	s_delay_alu instid0(VALU_DEP_1) | instskip(SKIP_2) | instid1(VALU_DEP_1)
	v_rcp_f64_e32 v[11:12], v[5:6]
	s_waitcnt_depctr 0xfff
	v_fma_f64 v[13:14], -v[5:6], v[11:12], 1.0
	v_fma_f64 v[11:12], v[11:12], v[13:14], v[11:12]
	s_delay_alu instid0(VALU_DEP_1) | instskip(NEXT) | instid1(VALU_DEP_1)
	v_fma_f64 v[13:14], -v[5:6], v[11:12], 1.0
	v_fma_f64 v[11:12], v[11:12], v[13:14], v[11:12]
	v_div_scale_f64 v[13:14], vcc_lo, v[23:24], v[21:22], v[23:24]
	s_delay_alu instid0(VALU_DEP_1) | instskip(NEXT) | instid1(VALU_DEP_1)
	v_mul_f64 v[15:16], v[13:14], v[11:12]
	v_fma_f64 v[5:6], -v[5:6], v[15:16], v[13:14]
	s_delay_alu instid0(VALU_DEP_1) | instskip(SKIP_1) | instid1(VALU_DEP_1)
	v_div_fmas_f64 v[5:6], v[5:6], v[11:12], v[15:16]
	s_and_not1_b32 vcc_lo, exec_lo, s22
	v_div_fixup_f64 v[11:12], v[5:6], v[21:22], v[23:24]
	s_cbranch_vccnz .LBB126_43
; %bb.30:                               ;   in Loop: Header=BB126_4 Depth=1
	s_delay_alu instid0(VALU_DEP_1)
	v_fma_f64 v[5:6], s[6:7], v[11:12], v[9:10]
	s_cbranch_execnz .LBB126_32
.LBB126_31:                             ;   in Loop: Header=BB126_4 Depth=1
	s_delay_alu instid0(VALU_DEP_1)
	v_add_f64 v[5:6], v[9:10], v[11:12]
.LBB126_32:                             ;   in Loop: Header=BB126_4 Depth=1
	s_and_saveexec_b32 s25, s2
	s_delay_alu instid0(SALU_CYCLE_1)
	s_xor_b32 s2, exec_lo, s25
	s_cbranch_execnz .LBB126_36
; %bb.33:                               ;   in Loop: Header=BB126_4 Depth=1
	s_or_b32 exec_lo, exec_lo, s2
	s_and_saveexec_b32 s2, s3
	s_cbranch_execnz .LBB126_37
.LBB126_34:                             ;   in Loop: Header=BB126_4 Depth=1
	s_or_b32 exec_lo, exec_lo, s2
	s_and_saveexec_b32 s2, s4
	s_cbranch_execnz .LBB126_38
.LBB126_35:                             ;   in Loop: Header=BB126_4 Depth=1
	s_or_b32 exec_lo, exec_lo, s2
	s_and_saveexec_b32 s2, s5
	s_cbranch_execz .LBB126_3
	s_branch .LBB126_39
.LBB126_36:                             ;   in Loop: Header=BB126_4 Depth=1
	v_add_co_u32 v9, vcc_lo, v25, s10
	v_add_co_ci_u32_e32 v10, vcc_lo, s11, v26, vcc_lo
	global_store_b64 v[9:10], v[7:8], off
	s_or_b32 exec_lo, exec_lo, s2
	s_and_saveexec_b32 s2, s3
	s_cbranch_execz .LBB126_34
.LBB126_37:                             ;   in Loop: Header=BB126_4 Depth=1
	v_add_co_u32 v7, vcc_lo, v49, s10
	v_add_co_ci_u32_e32 v8, vcc_lo, s11, v50, vcc_lo
	global_store_b64 v[7:8], v[1:2], off
	s_or_b32 exec_lo, exec_lo, s2
	s_and_saveexec_b32 s2, s4
	s_cbranch_execz .LBB126_35
.LBB126_38:                             ;   in Loop: Header=BB126_4 Depth=1
	v_add_co_u32 v1, vcc_lo, v39, s10
	v_add_co_ci_u32_e32 v2, vcc_lo, s11, v40, vcc_lo
	global_store_b64 v[1:2], v[3:4], off
	s_or_b32 exec_lo, exec_lo, s2
	s_and_saveexec_b32 s2, s5
	s_cbranch_execz .LBB126_3
.LBB126_39:                             ;   in Loop: Header=BB126_4 Depth=1
	v_add_co_u32 v1, vcc_lo, v31, s10
	v_add_co_ci_u32_e32 v2, vcc_lo, s11, v32, vcc_lo
	global_store_b64 v[1:2], v[5:6], off
	s_branch .LBB126_3
.LBB126_40:                             ;   in Loop: Header=BB126_4 Depth=1
                                        ; implicit-def: $vgpr7_vgpr8
	s_branch .LBB126_22
.LBB126_41:                             ;   in Loop: Header=BB126_4 Depth=1
                                        ; implicit-def: $vgpr1_vgpr2
	s_branch .LBB126_25
.LBB126_42:                             ;   in Loop: Header=BB126_4 Depth=1
                                        ; implicit-def: $vgpr3_vgpr4
	s_branch .LBB126_28
.LBB126_43:                             ;   in Loop: Header=BB126_4 Depth=1
                                        ; implicit-def: $vgpr5_vgpr6
	s_branch .LBB126_31
.LBB126_44:
	s_mov_b32 s12, 0
.LBB126_45:
	s_delay_alu instid0(SALU_CYCLE_1)
	s_and_not1_b32 vcc_lo, exec_lo, s12
	s_cbranch_vccnz .LBB126_65
; %bb.46:
	v_dual_mov_b32 v25, 0 :: v_dual_lshlrev_b32 v24, 2, v0
	s_mov_b32 s2, 0
	s_mov_b32 s3, exec_lo
	s_delay_alu instid0(VALU_DEP_1)
	v_cmpx_gt_i64_e64 s[8:9], v[24:25]
	s_cbranch_execz .LBB126_65
; %bb.47:
	s_load_b32 s0, s[0:1], 0xdd4
	v_cmp_neq_f64_e64 s1, s[6:7], 1.0
	v_lshlrev_b32_e32 v28, 5, v0
	s_waitcnt lgkmcnt(0)
	s_and_b32 s0, s0, 0xffff
	s_delay_alu instid0(SALU_CYCLE_1)
	v_add_lshl_u32 v24, v0, s0, 2
	s_lshl_b32 s3, s0, 2
	s_lshl_b32 s4, s0, 5
	s_branch .LBB126_49
.LBB126_48:                             ;   in Loop: Header=BB126_49 Depth=1
	v_cmp_le_i64_e32 vcc_lo, s[8:9], v[24:25]
	v_cmp_lt_u64_e64 s0, 0xffff, v[24:25]
	s_clause 0x1
	global_store_b128 v[26:27], v[0:3], off
	global_store_b128 v[26:27], v[8:11], off offset:16
	s_or_b32 s0, vcc_lo, s0
	s_add_u32 s16, s16, s4
	s_addc_u32 s17, s17, 0
	s_add_u32 s20, s20, s4
	v_add_co_u32 v24, vcc_lo, v24, s3
	s_addc_u32 s21, s21, 0
	s_add_u32 s18, s18, s4
	v_add_co_ci_u32_e32 v25, vcc_lo, 0, v25, vcc_lo
	s_addc_u32 s19, s19, 0
	s_and_b32 s0, exec_lo, s0
	s_delay_alu instid0(SALU_CYCLE_1) | instskip(NEXT) | instid1(SALU_CYCLE_1)
	s_or_b32 s2, s0, s2
	s_and_not1_b32 exec_lo, exec_lo, s2
	s_cbranch_execz .LBB126_65
.LBB126_49:                             ; =>This Inner Loop Header: Depth=1
	v_add_co_u32 v4, s0, s18, v28
	s_delay_alu instid0(VALU_DEP_1) | instskip(SKIP_1) | instid1(VALU_DEP_1)
	v_add_co_ci_u32_e64 v5, null, s19, 0, s0
	v_add_co_u32 v6, s0, s20, v28
	v_add_co_ci_u32_e64 v7, null, s21, 0, s0
	global_load_b128 v[0:3], v[4:5], off
	global_load_b128 v[20:23], v[6:7], off
	v_add_co_u32 v26, s0, s16, v28
	s_delay_alu instid0(VALU_DEP_1)
	v_add_co_ci_u32_e64 v27, null, s17, 0, s0
	global_load_b128 v[8:11], v[4:5], off offset:16
	global_load_b128 v[12:15], v[6:7], off offset:16
	s_clause 0x1
	global_load_b128 v[4:7], v[26:27], off offset:16
	global_load_b128 v[16:19], v[26:27], off
	s_waitcnt vmcnt(4)
	v_div_scale_f64 v[29:30], null, v[20:21], v[20:21], v[0:1]
	s_delay_alu instid0(VALU_DEP_1) | instskip(SKIP_2) | instid1(VALU_DEP_1)
	v_rcp_f64_e32 v[31:32], v[29:30]
	s_waitcnt_depctr 0xfff
	v_fma_f64 v[33:34], -v[29:30], v[31:32], 1.0
	v_fma_f64 v[31:32], v[31:32], v[33:34], v[31:32]
	s_delay_alu instid0(VALU_DEP_1) | instskip(NEXT) | instid1(VALU_DEP_1)
	v_fma_f64 v[33:34], -v[29:30], v[31:32], 1.0
	v_fma_f64 v[31:32], v[31:32], v[33:34], v[31:32]
	v_div_scale_f64 v[33:34], vcc_lo, v[0:1], v[20:21], v[0:1]
	s_delay_alu instid0(VALU_DEP_1) | instskip(NEXT) | instid1(VALU_DEP_1)
	v_mul_f64 v[35:36], v[33:34], v[31:32]
	v_fma_f64 v[29:30], -v[29:30], v[35:36], v[33:34]
	s_delay_alu instid0(VALU_DEP_1) | instskip(SKIP_1) | instid1(VALU_DEP_1)
	v_div_fmas_f64 v[29:30], v[29:30], v[31:32], v[35:36]
	s_and_b32 vcc_lo, exec_lo, s1
	v_div_fixup_f64 v[20:21], v[29:30], v[20:21], v[0:1]
	s_cbranch_vccz .LBB126_60
; %bb.50:                               ;   in Loop: Header=BB126_49 Depth=1
	s_waitcnt vmcnt(0)
	s_delay_alu instid0(VALU_DEP_1)
	v_fma_f64 v[0:1], s[6:7], v[20:21], v[16:17]
	s_cbranch_execnz .LBB126_52
.LBB126_51:                             ;   in Loop: Header=BB126_49 Depth=1
	s_waitcnt vmcnt(0)
	s_delay_alu instid0(VALU_DEP_1)
	v_add_f64 v[0:1], v[16:17], v[20:21]
.LBB126_52:                             ;   in Loop: Header=BB126_49 Depth=1
	s_waitcnt vmcnt(0)
	v_div_scale_f64 v[16:17], null, v[22:23], v[22:23], v[2:3]
	s_delay_alu instid0(VALU_DEP_1) | instskip(SKIP_2) | instid1(VALU_DEP_1)
	v_rcp_f64_e32 v[20:21], v[16:17]
	s_waitcnt_depctr 0xfff
	v_fma_f64 v[29:30], -v[16:17], v[20:21], 1.0
	v_fma_f64 v[20:21], v[20:21], v[29:30], v[20:21]
	s_delay_alu instid0(VALU_DEP_1) | instskip(NEXT) | instid1(VALU_DEP_1)
	v_fma_f64 v[29:30], -v[16:17], v[20:21], 1.0
	v_fma_f64 v[20:21], v[20:21], v[29:30], v[20:21]
	v_div_scale_f64 v[29:30], vcc_lo, v[2:3], v[22:23], v[2:3]
	s_delay_alu instid0(VALU_DEP_1) | instskip(NEXT) | instid1(VALU_DEP_1)
	v_mul_f64 v[31:32], v[29:30], v[20:21]
	v_fma_f64 v[16:17], -v[16:17], v[31:32], v[29:30]
	s_delay_alu instid0(VALU_DEP_1) | instskip(SKIP_1) | instid1(VALU_DEP_1)
	v_div_fmas_f64 v[16:17], v[16:17], v[20:21], v[31:32]
	s_and_not1_b32 vcc_lo, exec_lo, s1
	v_div_fixup_f64 v[16:17], v[16:17], v[22:23], v[2:3]
	s_cbranch_vccnz .LBB126_61
; %bb.53:                               ;   in Loop: Header=BB126_49 Depth=1
	s_delay_alu instid0(VALU_DEP_1)
	v_fma_f64 v[2:3], s[6:7], v[16:17], v[18:19]
	s_cbranch_execnz .LBB126_55
.LBB126_54:                             ;   in Loop: Header=BB126_49 Depth=1
	s_delay_alu instid0(VALU_DEP_1)
	v_add_f64 v[2:3], v[18:19], v[16:17]
.LBB126_55:                             ;   in Loop: Header=BB126_49 Depth=1
	v_div_scale_f64 v[16:17], null, v[12:13], v[12:13], v[8:9]
	s_delay_alu instid0(VALU_DEP_1) | instskip(SKIP_2) | instid1(VALU_DEP_1)
	v_rcp_f64_e32 v[18:19], v[16:17]
	s_waitcnt_depctr 0xfff
	v_fma_f64 v[20:21], -v[16:17], v[18:19], 1.0
	v_fma_f64 v[18:19], v[18:19], v[20:21], v[18:19]
	s_delay_alu instid0(VALU_DEP_1) | instskip(NEXT) | instid1(VALU_DEP_1)
	v_fma_f64 v[20:21], -v[16:17], v[18:19], 1.0
	v_fma_f64 v[18:19], v[18:19], v[20:21], v[18:19]
	v_div_scale_f64 v[20:21], vcc_lo, v[8:9], v[12:13], v[8:9]
	s_delay_alu instid0(VALU_DEP_1) | instskip(NEXT) | instid1(VALU_DEP_1)
	v_mul_f64 v[22:23], v[20:21], v[18:19]
	v_fma_f64 v[16:17], -v[16:17], v[22:23], v[20:21]
	s_delay_alu instid0(VALU_DEP_1) | instskip(SKIP_1) | instid1(VALU_DEP_1)
	v_div_fmas_f64 v[16:17], v[16:17], v[18:19], v[22:23]
	s_and_not1_b32 vcc_lo, exec_lo, s1
	v_div_fixup_f64 v[12:13], v[16:17], v[12:13], v[8:9]
	s_cbranch_vccnz .LBB126_62
; %bb.56:                               ;   in Loop: Header=BB126_49 Depth=1
	s_delay_alu instid0(VALU_DEP_1)
	v_fma_f64 v[8:9], s[6:7], v[12:13], v[4:5]
	s_cbranch_execnz .LBB126_58
.LBB126_57:                             ;   in Loop: Header=BB126_49 Depth=1
	s_delay_alu instid0(VALU_DEP_1)
	v_add_f64 v[8:9], v[4:5], v[12:13]
.LBB126_58:                             ;   in Loop: Header=BB126_49 Depth=1
	v_div_scale_f64 v[4:5], null, v[14:15], v[14:15], v[10:11]
	s_delay_alu instid0(VALU_DEP_1) | instskip(SKIP_2) | instid1(VALU_DEP_1)
	v_rcp_f64_e32 v[12:13], v[4:5]
	s_waitcnt_depctr 0xfff
	v_fma_f64 v[16:17], -v[4:5], v[12:13], 1.0
	v_fma_f64 v[12:13], v[12:13], v[16:17], v[12:13]
	s_delay_alu instid0(VALU_DEP_1) | instskip(NEXT) | instid1(VALU_DEP_1)
	v_fma_f64 v[16:17], -v[4:5], v[12:13], 1.0
	v_fma_f64 v[12:13], v[12:13], v[16:17], v[12:13]
	v_div_scale_f64 v[16:17], vcc_lo, v[10:11], v[14:15], v[10:11]
	s_delay_alu instid0(VALU_DEP_1) | instskip(NEXT) | instid1(VALU_DEP_1)
	v_mul_f64 v[18:19], v[16:17], v[12:13]
	v_fma_f64 v[4:5], -v[4:5], v[18:19], v[16:17]
	s_delay_alu instid0(VALU_DEP_1) | instskip(SKIP_1) | instid1(VALU_DEP_1)
	v_div_fmas_f64 v[4:5], v[4:5], v[12:13], v[18:19]
	s_and_not1_b32 vcc_lo, exec_lo, s1
	v_div_fixup_f64 v[4:5], v[4:5], v[14:15], v[10:11]
	s_cbranch_vccnz .LBB126_63
; %bb.59:                               ;   in Loop: Header=BB126_49 Depth=1
	s_delay_alu instid0(VALU_DEP_1)
	v_fma_f64 v[10:11], s[6:7], v[4:5], v[6:7]
	s_cbranch_execnz .LBB126_48
	s_branch .LBB126_64
.LBB126_60:                             ;   in Loop: Header=BB126_49 Depth=1
                                        ; implicit-def: $vgpr0_vgpr1
	s_branch .LBB126_51
.LBB126_61:                             ;   in Loop: Header=BB126_49 Depth=1
	s_branch .LBB126_54
.LBB126_62:                             ;   in Loop: Header=BB126_49 Depth=1
                                        ; implicit-def: $vgpr8_vgpr9
	s_branch .LBB126_57
.LBB126_63:                             ;   in Loop: Header=BB126_49 Depth=1
.LBB126_64:                             ;   in Loop: Header=BB126_49 Depth=1
	s_delay_alu instid0(VALU_DEP_1)
	v_add_f64 v[10:11], v[6:7], v[4:5]
	s_branch .LBB126_48
.LBB126_65:
	s_nop 0
	s_sendmsg sendmsg(MSG_DEALLOC_VGPRS)
	s_endpgm
	.section	.rodata,"a",@progbits
	.p2align	6, 0x0
	.amdhsa_kernel _ZN2at6native12_GLOBAL__N_125multi_tensor_apply_kernelINS1_28TensorListScalarListMetadataIdLi3EEENS1_28PointwiseOpScalarListFunctorIdLi3ELi3ELi0EEEJSt7dividesIdEEEEvT_T0_DpT1_
		.amdhsa_group_segment_fixed_size 0
		.amdhsa_private_segment_fixed_size 0
		.amdhsa_kernarg_size 3784
		.amdhsa_user_sgpr_count 15
		.amdhsa_user_sgpr_dispatch_ptr 0
		.amdhsa_user_sgpr_queue_ptr 0
		.amdhsa_user_sgpr_kernarg_segment_ptr 1
		.amdhsa_user_sgpr_dispatch_id 0
		.amdhsa_user_sgpr_private_segment_size 0
		.amdhsa_wavefront_size32 1
		.amdhsa_uses_dynamic_stack 0
		.amdhsa_enable_private_segment 0
		.amdhsa_system_sgpr_workgroup_id_x 1
		.amdhsa_system_sgpr_workgroup_id_y 0
		.amdhsa_system_sgpr_workgroup_id_z 0
		.amdhsa_system_sgpr_workgroup_info 0
		.amdhsa_system_vgpr_workitem_id 0
		.amdhsa_next_free_vgpr 63
		.amdhsa_next_free_sgpr 27
		.amdhsa_reserve_vcc 1
		.amdhsa_float_round_mode_32 0
		.amdhsa_float_round_mode_16_64 0
		.amdhsa_float_denorm_mode_32 3
		.amdhsa_float_denorm_mode_16_64 3
		.amdhsa_dx10_clamp 1
		.amdhsa_ieee_mode 1
		.amdhsa_fp16_overflow 0
		.amdhsa_workgroup_processor_mode 1
		.amdhsa_memory_ordered 1
		.amdhsa_forward_progress 0
		.amdhsa_shared_vgpr_count 0
		.amdhsa_exception_fp_ieee_invalid_op 0
		.amdhsa_exception_fp_denorm_src 0
		.amdhsa_exception_fp_ieee_div_zero 0
		.amdhsa_exception_fp_ieee_overflow 0
		.amdhsa_exception_fp_ieee_underflow 0
		.amdhsa_exception_fp_ieee_inexact 0
		.amdhsa_exception_int_div_zero 0
	.end_amdhsa_kernel
	.section	.text._ZN2at6native12_GLOBAL__N_125multi_tensor_apply_kernelINS1_28TensorListScalarListMetadataIdLi3EEENS1_28PointwiseOpScalarListFunctorIdLi3ELi3ELi0EEEJSt7dividesIdEEEEvT_T0_DpT1_,"axG",@progbits,_ZN2at6native12_GLOBAL__N_125multi_tensor_apply_kernelINS1_28TensorListScalarListMetadataIdLi3EEENS1_28PointwiseOpScalarListFunctorIdLi3ELi3ELi0EEEJSt7dividesIdEEEEvT_T0_DpT1_,comdat
.Lfunc_end126:
	.size	_ZN2at6native12_GLOBAL__N_125multi_tensor_apply_kernelINS1_28TensorListScalarListMetadataIdLi3EEENS1_28PointwiseOpScalarListFunctorIdLi3ELi3ELi0EEEJSt7dividesIdEEEEvT_T0_DpT1_, .Lfunc_end126-_ZN2at6native12_GLOBAL__N_125multi_tensor_apply_kernelINS1_28TensorListScalarListMetadataIdLi3EEENS1_28PointwiseOpScalarListFunctorIdLi3ELi3ELi0EEEJSt7dividesIdEEEEvT_T0_DpT1_
                                        ; -- End function
	.section	.AMDGPU.csdata,"",@progbits
; Kernel info:
; codeLenInByte = 3020
; NumSgprs: 29
; NumVgprs: 63
; ScratchSize: 0
; MemoryBound: 1
; FloatMode: 240
; IeeeMode: 1
; LDSByteSize: 0 bytes/workgroup (compile time only)
; SGPRBlocks: 3
; VGPRBlocks: 7
; NumSGPRsForWavesPerEU: 29
; NumVGPRsForWavesPerEU: 63
; Occupancy: 16
; WaveLimiterHint : 1
; COMPUTE_PGM_RSRC2:SCRATCH_EN: 0
; COMPUTE_PGM_RSRC2:USER_SGPR: 15
; COMPUTE_PGM_RSRC2:TRAP_HANDLER: 0
; COMPUTE_PGM_RSRC2:TGID_X_EN: 1
; COMPUTE_PGM_RSRC2:TGID_Y_EN: 0
; COMPUTE_PGM_RSRC2:TGID_Z_EN: 0
; COMPUTE_PGM_RSRC2:TIDIG_COMP_CNT: 0
	.section	.text._ZN2at6native12_GLOBAL__N_125multi_tensor_apply_kernelINS1_28TensorListScalarListMetadataIfLi3EEENS1_28PointwiseOpScalarListFunctorIfLi3ELi3ELi0EEEJSt7dividesIfEEEEvT_T0_DpT1_,"axG",@progbits,_ZN2at6native12_GLOBAL__N_125multi_tensor_apply_kernelINS1_28TensorListScalarListMetadataIfLi3EEENS1_28PointwiseOpScalarListFunctorIfLi3ELi3ELi0EEEJSt7dividesIfEEEEvT_T0_DpT1_,comdat
	.globl	_ZN2at6native12_GLOBAL__N_125multi_tensor_apply_kernelINS1_28TensorListScalarListMetadataIfLi3EEENS1_28PointwiseOpScalarListFunctorIfLi3ELi3ELi0EEEJSt7dividesIfEEEEvT_T0_DpT1_ ; -- Begin function _ZN2at6native12_GLOBAL__N_125multi_tensor_apply_kernelINS1_28TensorListScalarListMetadataIfLi3EEENS1_28PointwiseOpScalarListFunctorIfLi3ELi3ELi0EEEJSt7dividesIfEEEEvT_T0_DpT1_
	.p2align	8
	.type	_ZN2at6native12_GLOBAL__N_125multi_tensor_apply_kernelINS1_28TensorListScalarListMetadataIfLi3EEENS1_28PointwiseOpScalarListFunctorIfLi3ELi3ELi0EEEJSt7dividesIfEEEEvT_T0_DpT1_,@function
_ZN2at6native12_GLOBAL__N_125multi_tensor_apply_kernelINS1_28TensorListScalarListMetadataIfLi3EEENS1_28PointwiseOpScalarListFunctorIfLi3ELi3ELi0EEEJSt7dividesIfEEEEvT_T0_DpT1_: ; @_ZN2at6native12_GLOBAL__N_125multi_tensor_apply_kernelINS1_28TensorListScalarListMetadataIfLi3EEENS1_28PointwiseOpScalarListFunctorIfLi3ELi3ELi0EEEJSt7dividesIfEEEEvT_T0_DpT1_
; %bb.0:
	v_mov_b32_e32 v1, s15
	s_add_u32 s2, s0, s15
	s_mul_i32 s3, s15, 3
	s_mul_hi_u32 s4, s15, 3
	s_addc_u32 s5, s1, 0
	global_load_u8 v1, v1, s[0:1] offset:1728
	s_add_u32 s2, s2, s3
	s_addc_u32 s3, s5, s4
	s_load_b32 s2, s[2:3], 0x800
	s_waitcnt vmcnt(0)
	v_readfirstlane_b32 s3, v1
	v_lshlrev_b32_e32 v1, 2, v1
	s_delay_alu instid0(VALU_DEP_2)
	s_lshl_b32 s8, s3, 3
	s_waitcnt lgkmcnt(0)
	s_ashr_i32 s3, s2, 31
	s_clause 0x2
	s_load_b64 s[4:5], s[0:1], s8 offset:0x0
	s_load_b64 s[6:7], s[0:1], s8 offset:0x180
	;; [unrolled: 1-line block ×3, first 2 shown]
	s_add_u32 s9, s0, s8
	s_addc_u32 s10, s1, 0
	v_sub_co_u32 v1, s9, s9, v1
	s_delay_alu instid0(VALU_DEP_1) | instskip(SKIP_2) | instid1(VALU_DEP_2)
	v_sub_co_ci_u32_e64 v2, null, s10, 0, s9
	s_load_b64 s[12:13], s[0:1], s8 offset:0x480
	s_lshl_b64 s[10:11], s[2:3], 18
	v_readfirstlane_b32 s8, v1
	s_delay_alu instid0(VALU_DEP_2)
	v_readfirstlane_b32 s9, v2
	s_waitcnt lgkmcnt(0)
	s_add_u32 s16, s4, s10
	s_addc_u32 s17, s5, s11
	s_and_b32 s23, s16, 15
	s_add_u32 s18, s6, s10
	s_addc_u32 s19, s7, s11
	s_add_u32 s20, s14, s10
	s_addc_u32 s21, s15, s11
	s_or_b32 s22, s20, s18
	s_delay_alu instid0(SALU_CYCLE_1) | instskip(NEXT) | instid1(SALU_CYCLE_1)
	s_and_b32 s22, s22, 15
	s_cmp_eq_u32 s22, 0
	s_load_b32 s22, s[8:9], 0x600
	s_cselect_b32 s24, -1, 0
	s_lshl_b64 s[2:3], s[2:3], 16
	s_delay_alu instid0(SALU_CYCLE_1) | instskip(SKIP_4) | instid1(SALU_CYCLE_1)
	s_sub_u32 s8, s12, s2
	s_subb_u32 s9, s13, s3
	s_and_b32 s2, s12, 3
	s_mov_b32 s3, 0
	s_or_b32 s2, s23, s2
	s_cmp_eq_u64 s[2:3], 0
	s_cselect_b32 s2, -1, 0
	s_delay_alu instid0(SALU_CYCLE_1) | instskip(NEXT) | instid1(SALU_CYCLE_1)
	s_and_b32 s2, s24, s2
	s_and_b32 vcc_lo, exec_lo, s2
	s_mov_b32 s2, -1
	s_cbranch_vccnz .LBB127_29
; %bb.1:
	v_cmp_lt_i64_e64 s2, s[8:9], 1
	s_delay_alu instid0(VALU_DEP_1)
	s_and_b32 vcc_lo, exec_lo, s2
	s_cbranch_vccnz .LBB127_28
; %bb.2:
	s_load_b32 s3, s[0:1], 0xd14
	v_dual_mov_b32 v14, 0 :: v_dual_lshlrev_b32 v13, 2, v0
	v_cmp_gt_u64_e64 s12, 0x10000, s[8:9]
	s_waitcnt lgkmcnt(0)
	v_cmp_eq_f32_e64 s2, s22, 1.0
	s_delay_alu instid0(VALU_DEP_3) | instskip(NEXT) | instid1(VALU_DEP_1)
	v_add_co_u32 v1, s13, s4, v13
	v_add_co_ci_u32_e64 v2, null, s5, 0, s13
	v_add_co_u32 v3, s13, s6, v13
	s_delay_alu instid0(VALU_DEP_1) | instskip(SKIP_1) | instid1(VALU_DEP_1)
	v_add_co_ci_u32_e64 v4, null, s7, 0, s13
	v_add_co_u32 v5, s13, s14, v13
	v_add_co_ci_u32_e64 v6, null, s15, 0, s13
	s_and_b32 s3, s3, 0xffff
	s_and_b32 s12, s12, exec_lo
	v_mad_u64_u32 v[11:12], null, s3, 12, v[13:14]
	s_cselect_b32 s13, s9, 0
	s_cselect_b32 s12, s8, 0x10000
	s_mul_i32 s24, s3, 3
	s_lshl_b32 s25, s3, 3
	s_lshl_b32 s23, s3, 1
	v_add_co_u32 v20, s25, s25, v13
	v_add_co_u32 v13, s24, s24, v0
	v_add_co_u32 v7, vcc_lo, s4, v11
	v_add_co_ci_u32_e64 v14, null, 0, 0, s24
	v_add_co_u32 v19, s24, v0, s3
	v_add_co_ci_u32_e32 v8, vcc_lo, s5, v12, vcc_lo
	v_add_co_u32 v9, vcc_lo, s6, v11
	v_add_co_ci_u32_e32 v10, vcc_lo, s7, v12, vcc_lo
	v_add_co_u32 v11, vcc_lo, s14, v11
	v_add_co_ci_u32_e64 v21, null, 0, 0, s25
	v_lshlrev_b32_e32 v29, 2, v19
	v_add_co_ci_u32_e32 v12, vcc_lo, s15, v12, vcc_lo
	v_add_co_u32 v15, vcc_lo, s4, v20
	s_delay_alu instid0(VALU_DEP_4) | instskip(NEXT) | instid1(VALU_DEP_4)
	v_add_co_ci_u32_e32 v16, vcc_lo, s5, v21, vcc_lo
	v_add_co_u32 v25, s4, s4, v29
	v_add_co_u32 v17, vcc_lo, s6, v20
	v_add_co_ci_u32_e64 v26, null, s5, 0, s4
	v_add_co_u32 v27, s4, s6, v29
	v_add_co_ci_u32_e32 v18, vcc_lo, s7, v21, vcc_lo
	v_add_co_u32 v20, vcc_lo, s14, v20
	v_add_co_u32 v23, s23, s23, v0
	v_add_co_ci_u32_e64 v28, null, s7, 0, s4
	v_add_co_u32 v29, s4, s14, v29
	v_add_co_ci_u32_e32 v21, vcc_lo, s15, v21, vcc_lo
	v_add_co_ci_u32_e64 v22, null, 0, 0, s24
	v_add_co_ci_u32_e64 v24, null, 0, 0, s23
	;; [unrolled: 1-line block ×3, first 2 shown]
	s_lshl_b32 s7, s3, 2
	s_lshl_b32 s23, s3, 4
	s_mov_b64 s[14:15], 0
	s_branch .LBB127_4
.LBB127_3:                              ;   in Loop: Header=BB127_4 Depth=1
	s_or_b32 exec_lo, exec_lo, s3
	v_add_co_u32 v1, vcc_lo, v1, s23
	v_add_co_ci_u32_e32 v2, vcc_lo, 0, v2, vcc_lo
	v_add_co_u32 v3, vcc_lo, v3, s23
	v_add_co_ci_u32_e32 v4, vcc_lo, 0, v4, vcc_lo
	;; [unrolled: 2-line block ×9, first 2 shown]
	s_add_u32 s14, s14, s7
	v_add_co_u32 v25, vcc_lo, v25, s23
	s_addc_u32 s15, s15, 0
	v_add_co_ci_u32_e32 v26, vcc_lo, 0, v26, vcc_lo
	v_cmp_lt_i64_e64 s3, s[14:15], s[8:9]
	v_cmp_gt_u64_e64 s4, 0x10000, s[14:15]
	v_add_co_u32 v27, vcc_lo, v27, s23
	v_add_co_ci_u32_e32 v28, vcc_lo, 0, v28, vcc_lo
	v_add_co_u32 v29, vcc_lo, v29, s23
	v_add_co_ci_u32_e32 v30, vcc_lo, 0, v30, vcc_lo
	s_and_b32 s3, s3, s4
	s_delay_alu instid0(SALU_CYCLE_1)
	s_and_b32 vcc_lo, exec_lo, s3
	s_cbranch_vccz .LBB127_28
.LBB127_4:                              ; =>This Inner Loop Header: Depth=1
	s_waitcnt vmcnt(1)
	v_add_co_u32 v31, s3, v0, s14
	s_delay_alu instid0(VALU_DEP_1) | instskip(SKIP_2) | instid1(VALU_DEP_2)
	v_add_co_ci_u32_e64 v32, null, 0, s15, s3
	s_waitcnt vmcnt(0)
	v_mov_b32_e32 v33, 0
	v_cmp_gt_u64_e32 vcc_lo, s[12:13], v[31:32]
	v_mov_b32_e32 v32, 0
	s_and_saveexec_b32 s4, vcc_lo
	s_cbranch_execz .LBB127_6
; %bb.5:                                ;   in Loop: Header=BB127_4 Depth=1
	v_add_co_u32 v31, s3, v1, s10
	s_delay_alu instid0(VALU_DEP_1) | instskip(SKIP_1) | instid1(VALU_DEP_1)
	v_add_co_ci_u32_e64 v32, s3, s11, v2, s3
	v_add_co_u32 v33, s3, v3, s10
	v_add_co_ci_u32_e64 v34, s3, s11, v4, s3
	global_load_b32 v32, v[31:32], off
	global_load_b32 v33, v[33:34], off
.LBB127_6:                              ;   in Loop: Header=BB127_4 Depth=1
	s_or_b32 exec_lo, exec_lo, s4
	v_mov_b32_e32 v31, 0
	v_mov_b32_e32 v37, 0
	s_and_saveexec_b32 s4, vcc_lo
	s_cbranch_execz .LBB127_8
; %bb.7:                                ;   in Loop: Header=BB127_4 Depth=1
	v_add_co_u32 v34, s3, v5, s10
	s_delay_alu instid0(VALU_DEP_1)
	v_add_co_ci_u32_e64 v35, s3, s11, v6, s3
	global_load_b32 v37, v[34:35], off
.LBB127_8:                              ;   in Loop: Header=BB127_4 Depth=1
	s_or_b32 exec_lo, exec_lo, s4
	v_add_co_u32 v34, s3, v19, s14
	s_delay_alu instid0(VALU_DEP_1) | instskip(NEXT) | instid1(VALU_DEP_1)
	v_add_co_ci_u32_e64 v35, s3, s15, v22, s3
	v_cmp_gt_u64_e64 s3, s[12:13], v[34:35]
	v_mov_b32_e32 v35, 0
	s_delay_alu instid0(VALU_DEP_2)
	s_and_saveexec_b32 s5, s3
	s_cbranch_execz .LBB127_10
; %bb.9:                                ;   in Loop: Header=BB127_4 Depth=1
	v_add_co_u32 v34, s4, v25, s10
	s_delay_alu instid0(VALU_DEP_1) | instskip(SKIP_1) | instid1(VALU_DEP_1)
	v_add_co_ci_u32_e64 v35, s4, s11, v26, s4
	v_add_co_u32 v38, s4, v27, s10
	v_add_co_ci_u32_e64 v39, s4, s11, v28, s4
	global_load_b32 v31, v[34:35], off
	global_load_b32 v35, v[38:39], off
.LBB127_10:                             ;   in Loop: Header=BB127_4 Depth=1
	s_or_b32 exec_lo, exec_lo, s5
	v_dual_mov_b32 v34, 0 :: v_dual_mov_b32 v39, 0
	s_and_saveexec_b32 s5, s3
	s_cbranch_execz .LBB127_12
; %bb.11:                               ;   in Loop: Header=BB127_4 Depth=1
	v_add_co_u32 v38, s4, v29, s10
	s_delay_alu instid0(VALU_DEP_1)
	v_add_co_ci_u32_e64 v39, s4, s11, v30, s4
	global_load_b32 v39, v[38:39], off
.LBB127_12:                             ;   in Loop: Header=BB127_4 Depth=1
	s_or_b32 exec_lo, exec_lo, s5
	v_add_co_u32 v40, s4, v23, s14
	s_delay_alu instid0(VALU_DEP_1) | instskip(SKIP_1) | instid1(VALU_DEP_2)
	v_add_co_ci_u32_e64 v41, s4, s15, v24, s4
	v_mov_b32_e32 v38, 0
	v_cmp_gt_u64_e64 s4, s[12:13], v[40:41]
	s_delay_alu instid0(VALU_DEP_1)
	s_and_saveexec_b32 s6, s4
	s_cbranch_execz .LBB127_14
; %bb.13:                               ;   in Loop: Header=BB127_4 Depth=1
	v_add_co_u32 v40, s5, v15, s10
	s_delay_alu instid0(VALU_DEP_1) | instskip(SKIP_1) | instid1(VALU_DEP_1)
	v_add_co_ci_u32_e64 v41, s5, s11, v16, s5
	v_add_co_u32 v42, s5, v17, s10
	v_add_co_ci_u32_e64 v43, s5, s11, v18, s5
	global_load_b32 v34, v[40:41], off
	global_load_b32 v38, v[42:43], off
.LBB127_14:                             ;   in Loop: Header=BB127_4 Depth=1
	s_or_b32 exec_lo, exec_lo, s6
	v_dual_mov_b32 v36, 0 :: v_dual_mov_b32 v41, 0
	s_and_saveexec_b32 s6, s4
	s_cbranch_execz .LBB127_16
; %bb.15:                               ;   in Loop: Header=BB127_4 Depth=1
	v_add_co_u32 v40, s5, v20, s10
	s_delay_alu instid0(VALU_DEP_1)
	v_add_co_ci_u32_e64 v41, s5, s11, v21, s5
	global_load_b32 v41, v[40:41], off
.LBB127_16:                             ;   in Loop: Header=BB127_4 Depth=1
	s_or_b32 exec_lo, exec_lo, s6
	v_add_co_u32 v42, s5, v13, s14
	s_delay_alu instid0(VALU_DEP_1) | instskip(SKIP_1) | instid1(VALU_DEP_2)
	v_add_co_ci_u32_e64 v43, s5, s15, v14, s5
	v_mov_b32_e32 v40, 0
	v_cmp_gt_u64_e64 s5, s[12:13], v[42:43]
	s_delay_alu instid0(VALU_DEP_1)
	s_and_saveexec_b32 s24, s5
	s_cbranch_execnz .LBB127_22
; %bb.17:                               ;   in Loop: Header=BB127_4 Depth=1
	s_or_b32 exec_lo, exec_lo, s24
	v_mov_b32_e32 v42, 0
	s_and_saveexec_b32 s24, s5
	s_cbranch_execnz .LBB127_23
.LBB127_18:                             ;   in Loop: Header=BB127_4 Depth=1
	s_or_b32 exec_lo, exec_lo, s24
	s_and_saveexec_b32 s6, vcc_lo
	s_cbranch_execnz .LBB127_24
.LBB127_19:                             ;   in Loop: Header=BB127_4 Depth=1
	s_or_b32 exec_lo, exec_lo, s6
	s_and_saveexec_b32 s6, s3
	s_cbranch_execnz .LBB127_25
.LBB127_20:                             ;   in Loop: Header=BB127_4 Depth=1
	s_or_b32 exec_lo, exec_lo, s6
	s_and_saveexec_b32 s3, s4
	s_cbranch_execnz .LBB127_26
.LBB127_21:                             ;   in Loop: Header=BB127_4 Depth=1
	s_or_b32 exec_lo, exec_lo, s3
	s_and_saveexec_b32 s3, s5
	s_cbranch_execz .LBB127_3
	s_branch .LBB127_27
.LBB127_22:                             ;   in Loop: Header=BB127_4 Depth=1
	v_add_co_u32 v42, s6, v7, s10
	s_delay_alu instid0(VALU_DEP_1) | instskip(SKIP_1) | instid1(VALU_DEP_1)
	v_add_co_ci_u32_e64 v43, s6, s11, v8, s6
	v_add_co_u32 v44, s6, v9, s10
	v_add_co_ci_u32_e64 v45, s6, s11, v10, s6
	global_load_b32 v36, v[42:43], off
	global_load_b32 v40, v[44:45], off
	s_or_b32 exec_lo, exec_lo, s24
	v_mov_b32_e32 v42, 0
	s_and_saveexec_b32 s24, s5
	s_cbranch_execz .LBB127_18
.LBB127_23:                             ;   in Loop: Header=BB127_4 Depth=1
	v_add_co_u32 v42, s6, v11, s10
	s_delay_alu instid0(VALU_DEP_1)
	v_add_co_ci_u32_e64 v43, s6, s11, v12, s6
	global_load_b32 v42, v[42:43], off
	s_or_b32 exec_lo, exec_lo, s24
	s_and_saveexec_b32 s6, vcc_lo
	s_cbranch_execz .LBB127_19
.LBB127_24:                             ;   in Loop: Header=BB127_4 Depth=1
	s_waitcnt vmcnt(0)
	v_div_scale_f32 v43, null, v37, v37, v33
	v_div_scale_f32 v46, vcc_lo, v33, v37, v33
	s_delay_alu instid0(VALU_DEP_2) | instskip(SKIP_2) | instid1(VALU_DEP_1)
	v_rcp_f32_e32 v44, v43
	s_waitcnt_depctr 0xfff
	v_fma_f32 v45, -v43, v44, 1.0
	v_fmac_f32_e32 v44, v45, v44
	s_delay_alu instid0(VALU_DEP_1) | instskip(NEXT) | instid1(VALU_DEP_1)
	v_mul_f32_e32 v45, v46, v44
	v_fma_f32 v47, -v43, v45, v46
	s_delay_alu instid0(VALU_DEP_1) | instskip(NEXT) | instid1(VALU_DEP_1)
	v_fmac_f32_e32 v45, v47, v44
	v_fma_f32 v43, -v43, v45, v46
	s_delay_alu instid0(VALU_DEP_1) | instskip(NEXT) | instid1(VALU_DEP_1)
	v_div_fmas_f32 v43, v43, v44, v45
	v_div_fixup_f32 v33, v43, v37, v33
	v_add_co_u32 v43, vcc_lo, v1, s10
	v_add_co_ci_u32_e32 v44, vcc_lo, s11, v2, vcc_lo
	s_delay_alu instid0(VALU_DEP_3) | instskip(SKIP_1) | instid1(VALU_DEP_1)
	v_add_f32_e32 v37, v32, v33
	v_fmac_f32_e32 v32, s22, v33
	v_cndmask_b32_e64 v32, v32, v37, s2
	global_store_b32 v[43:44], v32, off
	s_or_b32 exec_lo, exec_lo, s6
	s_and_saveexec_b32 s6, s3
	s_cbranch_execz .LBB127_20
.LBB127_25:                             ;   in Loop: Header=BB127_4 Depth=1
	s_waitcnt vmcnt(0)
	v_div_scale_f32 v32, null, v39, v39, v35
	v_div_scale_f32 v43, vcc_lo, v35, v39, v35
	s_delay_alu instid0(VALU_DEP_2) | instskip(SKIP_2) | instid1(VALU_DEP_1)
	v_rcp_f32_e32 v33, v32
	s_waitcnt_depctr 0xfff
	v_fma_f32 v37, -v32, v33, 1.0
	v_fmac_f32_e32 v33, v37, v33
	s_delay_alu instid0(VALU_DEP_1) | instskip(NEXT) | instid1(VALU_DEP_1)
	v_mul_f32_e32 v37, v43, v33
	v_fma_f32 v44, -v32, v37, v43
	s_delay_alu instid0(VALU_DEP_1) | instskip(NEXT) | instid1(VALU_DEP_1)
	v_fmac_f32_e32 v37, v44, v33
	v_fma_f32 v32, -v32, v37, v43
	s_delay_alu instid0(VALU_DEP_1) | instskip(NEXT) | instid1(VALU_DEP_1)
	v_div_fmas_f32 v32, v32, v33, v37
	v_div_fixup_f32 v32, v32, v39, v35
	s_delay_alu instid0(VALU_DEP_1) | instskip(SKIP_1) | instid1(VALU_DEP_1)
	v_add_f32_e32 v33, v31, v32
	v_fmac_f32_e32 v31, s22, v32
	v_cndmask_b32_e64 v33, v31, v33, s2
	v_add_co_u32 v31, vcc_lo, v25, s10
	v_add_co_ci_u32_e32 v32, vcc_lo, s11, v26, vcc_lo
	global_store_b32 v[31:32], v33, off
	s_or_b32 exec_lo, exec_lo, s6
	s_and_saveexec_b32 s3, s4
	s_cbranch_execz .LBB127_21
.LBB127_26:                             ;   in Loop: Header=BB127_4 Depth=1
	s_waitcnt vmcnt(0)
	v_div_scale_f32 v31, null, v41, v41, v38
	v_div_scale_f32 v35, vcc_lo, v38, v41, v38
	s_delay_alu instid0(VALU_DEP_2) | instskip(SKIP_2) | instid1(VALU_DEP_1)
	v_rcp_f32_e32 v32, v31
	s_waitcnt_depctr 0xfff
	v_fma_f32 v33, -v31, v32, 1.0
	v_fmac_f32_e32 v32, v33, v32
	s_delay_alu instid0(VALU_DEP_1) | instskip(NEXT) | instid1(VALU_DEP_1)
	v_mul_f32_e32 v33, v35, v32
	v_fma_f32 v37, -v31, v33, v35
	s_delay_alu instid0(VALU_DEP_1) | instskip(NEXT) | instid1(VALU_DEP_1)
	v_fmac_f32_e32 v33, v37, v32
	v_fma_f32 v31, -v31, v33, v35
	s_delay_alu instid0(VALU_DEP_1) | instskip(NEXT) | instid1(VALU_DEP_1)
	v_div_fmas_f32 v31, v31, v32, v33
	v_div_fixup_f32 v31, v31, v41, v38
	s_delay_alu instid0(VALU_DEP_1) | instskip(SKIP_2) | instid1(VALU_DEP_2)
	v_add_f32_e32 v32, v34, v31
	v_fmac_f32_e32 v34, s22, v31
	v_add_co_u32 v31, vcc_lo, v15, s10
	v_cndmask_b32_e64 v33, v34, v32, s2
	v_add_co_ci_u32_e32 v32, vcc_lo, s11, v16, vcc_lo
	global_store_b32 v[31:32], v33, off
	s_or_b32 exec_lo, exec_lo, s3
	s_and_saveexec_b32 s3, s5
	s_cbranch_execz .LBB127_3
.LBB127_27:                             ;   in Loop: Header=BB127_4 Depth=1
	s_waitcnt vmcnt(0)
	v_div_scale_f32 v31, null, v42, v42, v40
	v_div_scale_f32 v34, vcc_lo, v40, v42, v40
	s_delay_alu instid0(VALU_DEP_2) | instskip(SKIP_2) | instid1(VALU_DEP_1)
	v_rcp_f32_e32 v32, v31
	s_waitcnt_depctr 0xfff
	v_fma_f32 v33, -v31, v32, 1.0
	v_fmac_f32_e32 v32, v33, v32
	s_delay_alu instid0(VALU_DEP_1) | instskip(NEXT) | instid1(VALU_DEP_1)
	v_mul_f32_e32 v33, v34, v32
	v_fma_f32 v35, -v31, v33, v34
	s_delay_alu instid0(VALU_DEP_1) | instskip(NEXT) | instid1(VALU_DEP_1)
	v_fmac_f32_e32 v33, v35, v32
	v_fma_f32 v31, -v31, v33, v34
	s_delay_alu instid0(VALU_DEP_1) | instskip(NEXT) | instid1(VALU_DEP_1)
	v_div_fmas_f32 v31, v31, v32, v33
	v_div_fixup_f32 v31, v31, v42, v40
	s_delay_alu instid0(VALU_DEP_1) | instskip(SKIP_2) | instid1(VALU_DEP_2)
	v_add_f32_e32 v32, v36, v31
	v_fmac_f32_e32 v36, s22, v31
	v_add_co_u32 v31, vcc_lo, v7, s10
	v_cndmask_b32_e64 v33, v36, v32, s2
	v_add_co_ci_u32_e32 v32, vcc_lo, s11, v8, vcc_lo
	global_store_b32 v[31:32], v33, off
	s_branch .LBB127_3
.LBB127_28:
	s_mov_b32 s2, 0
.LBB127_29:
	s_delay_alu instid0(SALU_CYCLE_1)
	s_and_not1_b32 vcc_lo, exec_lo, s2
	s_cbranch_vccnz .LBB127_33
; %bb.30:
	v_dual_mov_b32 v2, 0 :: v_dual_lshlrev_b32 v1, 2, v0
	s_mov_b32 s4, 0
	s_mov_b32 s2, exec_lo
	s_delay_alu instid0(VALU_DEP_1)
	v_cmpx_gt_i64_e64 s[8:9], v[1:2]
	s_cbranch_execz .LBB127_33
; %bb.31:
	s_load_b32 s0, s[0:1], 0xd14
	s_waitcnt lgkmcnt(0)
	s_and_b32 s1, s0, 0xffff
	v_cmp_eq_f32_e64 s0, s22, 1.0
	v_add_lshl_u32 v1, v0, s1, 2
	v_lshlrev_b32_e32 v0, 4, v0
	s_lshl_b32 s5, s1, 2
	s_lshl_b32 s6, s1, 4
.LBB127_32:                             ; =>This Inner Loop Header: Depth=1
	s_delay_alu instid0(VALU_DEP_1) | instskip(NEXT) | instid1(VALU_DEP_1)
	v_add_co_u32 v3, s1, s18, v0
	v_add_co_ci_u32_e64 v4, null, s19, 0, s1
	v_add_co_u32 v7, s1, s20, v0
	s_delay_alu instid0(VALU_DEP_1) | instskip(SKIP_3) | instid1(VALU_DEP_1)
	v_add_co_ci_u32_e64 v8, null, s21, 0, s1
	global_load_b128 v[3:6], v[3:4], off
	global_load_b128 v[7:10], v[7:8], off
	v_add_co_u32 v15, s1, s16, v0
	v_add_co_ci_u32_e64 v16, null, s17, 0, s1
	v_cmp_le_i64_e32 vcc_lo, s[8:9], v[1:2]
	v_cmp_lt_u64_e64 s1, 0xffff, v[1:2]
	v_add_co_u32 v1, s2, v1, s5
	global_load_b128 v[11:14], v[15:16], off
	v_add_co_ci_u32_e64 v2, s2, 0, v2, s2
	s_or_b32 s7, vcc_lo, s1
	s_add_u32 s16, s16, s6
	s_addc_u32 s17, s17, 0
	s_add_u32 s20, s20, s6
	s_addc_u32 s21, s21, 0
	;; [unrolled: 2-line block ×3, first 2 shown]
	s_waitcnt vmcnt(1)
	v_div_scale_f32 v17, null, v7, v7, v3
	v_div_scale_f32 v19, null, v8, v8, v4
	;; [unrolled: 1-line block ×3, first 2 shown]
	s_delay_alu instid0(VALU_DEP_3) | instskip(SKIP_1) | instid1(VALU_DEP_3)
	v_rcp_f32_e32 v25, v17
	v_div_scale_f32 v23, null, v10, v10, v6
	v_rcp_f32_e32 v26, v19
	s_delay_alu instid0(VALU_DEP_2) | instskip(SKIP_1) | instid1(VALU_DEP_2)
	v_rcp_f32_e32 v27, v21
	v_div_scale_f32 v18, vcc_lo, v3, v7, v3
	v_rcp_f32_e32 v28, v23
	v_div_scale_f32 v20, s1, v4, v8, v4
	v_fma_f32 v29, -v17, v25, 1.0
	v_div_scale_f32 v22, s2, v5, v9, v5
	s_delay_alu instid0(TRANS32_DEP_3) | instskip(NEXT) | instid1(TRANS32_DEP_2)
	v_fma_f32 v30, -v19, v26, 1.0
	v_fma_f32 v31, -v21, v27, 1.0
	s_delay_alu instid0(VALU_DEP_4) | instskip(SKIP_1) | instid1(VALU_DEP_4)
	v_fmac_f32_e32 v25, v29, v25
	v_div_scale_f32 v24, s3, v6, v10, v6
	v_fmac_f32_e32 v26, v30, v26
	s_delay_alu instid0(TRANS32_DEP_1) | instskip(SKIP_1) | instid1(VALU_DEP_3)
	v_fma_f32 v32, -v23, v28, 1.0
	v_fmac_f32_e32 v27, v31, v27
	v_dual_mul_f32 v29, v18, v25 :: v_dual_mul_f32 v30, v20, v26
	s_delay_alu instid0(VALU_DEP_2) | instskip(NEXT) | instid1(VALU_DEP_2)
	v_dual_fmac_f32 v28, v32, v28 :: v_dual_mul_f32 v31, v22, v27
	v_fma_f32 v33, -v17, v29, v18
	s_delay_alu instid0(VALU_DEP_3) | instskip(NEXT) | instid1(VALU_DEP_3)
	v_fma_f32 v34, -v19, v30, v20
	v_mul_f32_e32 v32, v24, v28
	s_delay_alu instid0(VALU_DEP_4) | instskip(NEXT) | instid1(VALU_DEP_3)
	v_fma_f32 v35, -v21, v31, v22
	v_dual_fmac_f32 v29, v33, v25 :: v_dual_fmac_f32 v30, v34, v26
	s_delay_alu instid0(VALU_DEP_3) | instskip(NEXT) | instid1(VALU_DEP_3)
	v_fma_f32 v36, -v23, v32, v24
	v_fmac_f32_e32 v31, v35, v27
	s_delay_alu instid0(VALU_DEP_3) | instskip(NEXT) | instid1(VALU_DEP_4)
	v_fma_f32 v17, -v17, v29, v18
	v_fma_f32 v18, -v19, v30, v20
	s_delay_alu instid0(VALU_DEP_4) | instskip(NEXT) | instid1(VALU_DEP_4)
	v_fmac_f32_e32 v32, v36, v28
	v_fma_f32 v19, -v21, v31, v22
	s_delay_alu instid0(VALU_DEP_4)
	v_div_fmas_f32 v17, v17, v25, v29
	s_mov_b32 vcc_lo, s1
	s_and_b32 s1, exec_lo, s7
	v_fma_f32 v20, -v23, v32, v24
	v_div_fmas_f32 v18, v18, v26, v30
	s_mov_b32 vcc_lo, s2
	v_div_fixup_f32 v3, v17, v7, v3
	v_div_fmas_f32 v19, v19, v27, v31
	s_mov_b32 vcc_lo, s3
	v_div_fixup_f32 v4, v18, v8, v4
	v_div_fmas_f32 v7, v20, v28, v32
	s_waitcnt vmcnt(0)
	v_add_f32_e32 v8, v11, v3
	v_div_fixup_f32 v5, v19, v9, v5
	v_fma_f32 v3, s22, v3, v11
	s_or_b32 s4, s1, s4
	v_div_fixup_f32 v6, v7, v10, v6
	v_add_f32_e32 v7, v12, v4
	v_fma_f32 v4, s22, v4, v12
	v_add_f32_e32 v9, v13, v5
	v_fma_f32 v5, s22, v5, v13
	v_add_f32_e32 v10, v14, v6
	v_fmac_f32_e32 v14, s22, v6
	v_cndmask_b32_e64 v3, v3, v8, s0
	v_cndmask_b32_e64 v4, v4, v7, s0
	v_cndmask_b32_e64 v5, v5, v9, s0
	s_delay_alu instid0(VALU_DEP_4)
	v_cndmask_b32_e64 v6, v14, v10, s0
	global_store_b128 v[15:16], v[3:6], off
	s_and_not1_b32 exec_lo, exec_lo, s4
	s_cbranch_execnz .LBB127_32
.LBB127_33:
	s_nop 0
	s_sendmsg sendmsg(MSG_DEALLOC_VGPRS)
	s_endpgm
	.section	.rodata,"a",@progbits
	.p2align	6, 0x0
	.amdhsa_kernel _ZN2at6native12_GLOBAL__N_125multi_tensor_apply_kernelINS1_28TensorListScalarListMetadataIfLi3EEENS1_28PointwiseOpScalarListFunctorIfLi3ELi3ELi0EEEJSt7dividesIfEEEEvT_T0_DpT1_
		.amdhsa_group_segment_fixed_size 0
		.amdhsa_private_segment_fixed_size 0
		.amdhsa_kernarg_size 3592
		.amdhsa_user_sgpr_count 15
		.amdhsa_user_sgpr_dispatch_ptr 0
		.amdhsa_user_sgpr_queue_ptr 0
		.amdhsa_user_sgpr_kernarg_segment_ptr 1
		.amdhsa_user_sgpr_dispatch_id 0
		.amdhsa_user_sgpr_private_segment_size 0
		.amdhsa_wavefront_size32 1
		.amdhsa_uses_dynamic_stack 0
		.amdhsa_enable_private_segment 0
		.amdhsa_system_sgpr_workgroup_id_x 1
		.amdhsa_system_sgpr_workgroup_id_y 0
		.amdhsa_system_sgpr_workgroup_id_z 0
		.amdhsa_system_sgpr_workgroup_info 0
		.amdhsa_system_vgpr_workitem_id 0
		.amdhsa_next_free_vgpr 48
		.amdhsa_next_free_sgpr 26
		.amdhsa_reserve_vcc 1
		.amdhsa_float_round_mode_32 0
		.amdhsa_float_round_mode_16_64 0
		.amdhsa_float_denorm_mode_32 3
		.amdhsa_float_denorm_mode_16_64 3
		.amdhsa_dx10_clamp 1
		.amdhsa_ieee_mode 1
		.amdhsa_fp16_overflow 0
		.amdhsa_workgroup_processor_mode 1
		.amdhsa_memory_ordered 1
		.amdhsa_forward_progress 0
		.amdhsa_shared_vgpr_count 0
		.amdhsa_exception_fp_ieee_invalid_op 0
		.amdhsa_exception_fp_denorm_src 0
		.amdhsa_exception_fp_ieee_div_zero 0
		.amdhsa_exception_fp_ieee_overflow 0
		.amdhsa_exception_fp_ieee_underflow 0
		.amdhsa_exception_fp_ieee_inexact 0
		.amdhsa_exception_int_div_zero 0
	.end_amdhsa_kernel
	.section	.text._ZN2at6native12_GLOBAL__N_125multi_tensor_apply_kernelINS1_28TensorListScalarListMetadataIfLi3EEENS1_28PointwiseOpScalarListFunctorIfLi3ELi3ELi0EEEJSt7dividesIfEEEEvT_T0_DpT1_,"axG",@progbits,_ZN2at6native12_GLOBAL__N_125multi_tensor_apply_kernelINS1_28TensorListScalarListMetadataIfLi3EEENS1_28PointwiseOpScalarListFunctorIfLi3ELi3ELi0EEEJSt7dividesIfEEEEvT_T0_DpT1_,comdat
.Lfunc_end127:
	.size	_ZN2at6native12_GLOBAL__N_125multi_tensor_apply_kernelINS1_28TensorListScalarListMetadataIfLi3EEENS1_28PointwiseOpScalarListFunctorIfLi3ELi3ELi0EEEJSt7dividesIfEEEEvT_T0_DpT1_, .Lfunc_end127-_ZN2at6native12_GLOBAL__N_125multi_tensor_apply_kernelINS1_28TensorListScalarListMetadataIfLi3EEENS1_28PointwiseOpScalarListFunctorIfLi3ELi3ELi0EEEJSt7dividesIfEEEEvT_T0_DpT1_
                                        ; -- End function
	.section	.AMDGPU.csdata,"",@progbits
; Kernel info:
; codeLenInByte = 2788
; NumSgprs: 28
; NumVgprs: 48
; ScratchSize: 0
; MemoryBound: 0
; FloatMode: 240
; IeeeMode: 1
; LDSByteSize: 0 bytes/workgroup (compile time only)
; SGPRBlocks: 3
; VGPRBlocks: 5
; NumSGPRsForWavesPerEU: 28
; NumVGPRsForWavesPerEU: 48
; Occupancy: 16
; WaveLimiterHint : 0
; COMPUTE_PGM_RSRC2:SCRATCH_EN: 0
; COMPUTE_PGM_RSRC2:USER_SGPR: 15
; COMPUTE_PGM_RSRC2:TRAP_HANDLER: 0
; COMPUTE_PGM_RSRC2:TGID_X_EN: 1
; COMPUTE_PGM_RSRC2:TGID_Y_EN: 0
; COMPUTE_PGM_RSRC2:TGID_Z_EN: 0
; COMPUTE_PGM_RSRC2:TIDIG_COMP_CNT: 0
	.section	.text._ZN2at6native12_GLOBAL__N_125multi_tensor_apply_kernelINS1_28TensorListScalarListMetadataIN3c107complexIdEELi3EEENS1_28PointwiseOpScalarListFunctorIS6_Li3ELi3ELi0EEEJSt7dividesIS6_EEEEvT_T0_DpT1_,"axG",@progbits,_ZN2at6native12_GLOBAL__N_125multi_tensor_apply_kernelINS1_28TensorListScalarListMetadataIN3c107complexIdEELi3EEENS1_28PointwiseOpScalarListFunctorIS6_Li3ELi3ELi0EEEJSt7dividesIS6_EEEEvT_T0_DpT1_,comdat
	.globl	_ZN2at6native12_GLOBAL__N_125multi_tensor_apply_kernelINS1_28TensorListScalarListMetadataIN3c107complexIdEELi3EEENS1_28PointwiseOpScalarListFunctorIS6_Li3ELi3ELi0EEEJSt7dividesIS6_EEEEvT_T0_DpT1_ ; -- Begin function _ZN2at6native12_GLOBAL__N_125multi_tensor_apply_kernelINS1_28TensorListScalarListMetadataIN3c107complexIdEELi3EEENS1_28PointwiseOpScalarListFunctorIS6_Li3ELi3ELi0EEEJSt7dividesIS6_EEEEvT_T0_DpT1_
	.p2align	8
	.type	_ZN2at6native12_GLOBAL__N_125multi_tensor_apply_kernelINS1_28TensorListScalarListMetadataIN3c107complexIdEELi3EEENS1_28PointwiseOpScalarListFunctorIS6_Li3ELi3ELi0EEEJSt7dividesIS6_EEEEvT_T0_DpT1_,@function
_ZN2at6native12_GLOBAL__N_125multi_tensor_apply_kernelINS1_28TensorListScalarListMetadataIN3c107complexIdEELi3EEENS1_28PointwiseOpScalarListFunctorIS6_Li3ELi3ELi0EEEJSt7dividesIS6_EEEEvT_T0_DpT1_: ; @_ZN2at6native12_GLOBAL__N_125multi_tensor_apply_kernelINS1_28TensorListScalarListMetadataIN3c107complexIdEELi3EEENS1_28PointwiseOpScalarListFunctorIS6_Li3ELi3ELi0EEEJSt7dividesIS6_EEEEvT_T0_DpT1_
; %bb.0:
	v_mov_b32_e32 v1, s15
	s_add_u32 s2, s0, s15
	s_mul_i32 s3, s15, 3
	s_mul_hi_u32 s4, s15, 3
	s_addc_u32 s5, s1, 0
	global_load_u8 v1, v1, s[0:1] offset:2304
	s_add_u32 s2, s2, s3
	s_addc_u32 s3, s5, s4
	s_load_b32 s12, s[2:3], 0xa40
	s_waitcnt lgkmcnt(0)
	s_ashr_i32 s13, s12, 31
	s_waitcnt vmcnt(0)
	v_readfirstlane_b32 s4, v1
	s_delay_alu instid0(VALU_DEP_1)
	s_lshl_b32 s10, s4, 3
	s_clause 0x3
	s_load_b64 s[2:3], s[0:1], s10 offset:0x0
	s_load_b64 s[4:5], s[0:1], s10 offset:0x180
	;; [unrolled: 1-line block ×4, first 2 shown]
	s_add_u32 s8, s0, s10
	s_addc_u32 s9, s1, 0
	s_lshl_b64 s[14:15], s[12:13], 20
	s_waitcnt lgkmcnt(0)
	s_add_u32 s22, s2, s14
	s_addc_u32 s23, s3, s15
	s_add_u32 s24, s4, s14
	s_addc_u32 s25, s5, s15
	;; [unrolled: 2-line block ×3, first 2 shown]
	s_or_b32 s11, s26, s24
	s_and_b32 s18, s22, 63
	s_and_b32 s11, s11, 63
	s_delay_alu instid0(SALU_CYCLE_1) | instskip(SKIP_3) | instid1(SALU_CYCLE_1)
	s_cmp_eq_u32 s11, 0
	s_load_b128 s[8:11], s[8:9], s10 offset:0x600
	s_cselect_b32 s19, -1, 0
	s_lshl_b64 s[12:13], s[12:13], 16
	s_sub_u32 s12, s16, s12
	s_subb_u32 s13, s17, s13
	s_and_b32 s16, s16, 3
	s_mov_b32 s17, 0
	s_or_b32 s16, s18, s16
	s_delay_alu instid0(SALU_CYCLE_1) | instskip(SKIP_1) | instid1(SALU_CYCLE_1)
	s_cmp_eq_u64 s[16:17], 0
	s_cselect_b32 s16, -1, 0
	s_and_b32 s16, s19, s16
	s_delay_alu instid0(SALU_CYCLE_1)
	s_and_b32 vcc_lo, exec_lo, s16
	s_mov_b32 s16, -1
	s_cbranch_vccnz .LBB128_109
; %bb.1:
	v_cmp_lt_i64_e64 s16, s[12:13], 1
	s_delay_alu instid0(VALU_DEP_1)
	s_and_b32 vcc_lo, exec_lo, s16
	s_cbranch_vccnz .LBB128_108
; %bb.2:
	s_waitcnt lgkmcnt(0)
	v_cmp_neq_f64_e64 s16, s[8:9], 1.0
	v_cmp_neq_f64_e64 s20, s[10:11], 0
	s_load_b32 s18, s[0:1], 0xf54
	v_dual_mov_b32 v1, 0 :: v_dual_lshlrev_b32 v6, 4, v0
	v_cmp_gt_u64_e64 s19, 0x10000, s[12:13]
	s_delay_alu instid0(VALU_DEP_2) | instskip(NEXT) | instid1(VALU_DEP_3)
	v_or_b32_e32 v2, 8, v6
	v_mov_b32_e32 v3, v1
	v_dual_mov_b32 v50, v1 :: v_dual_mov_b32 v49, v0
	s_delay_alu instid0(VALU_DEP_3) | instskip(NEXT) | instid1(VALU_DEP_1)
	v_add_co_u32 v59, s21, s4, v2
	v_add_co_ci_u32_e64 v60, null, s5, 0, s21
	v_add_co_u32 v61, s21, s2, v2
	s_delay_alu instid0(VALU_DEP_1)
	v_add_co_ci_u32_e64 v62, null, s3, 0, s21
	v_add_co_u32 v63, s21, s6, v2
	s_waitcnt lgkmcnt(0)
	s_and_b32 s28, s18, 0xffff
	s_and_b32 s18, s19, exec_lo
	v_mad_u64_u32 v[4:5], null, s28, 48, v[2:3]
	v_add_lshl_u32 v7, v0, s28, 4
	s_cselect_b32 s19, s13, 0
	s_cselect_b32 s18, s12, 0x10000
	v_add_co_ci_u32_e64 v64, null, s7, 0, s21
	s_delay_alu instid0(VALU_DEP_2) | instskip(NEXT) | instid1(VALU_DEP_4)
	v_add_co_u32 v65, s21, s6, v7
	v_add_co_u32 v69, vcc_lo, s4, v4
	v_add_co_ci_u32_e32 v70, vcc_lo, s5, v5, vcc_lo
	v_add_co_u32 v73, vcc_lo, s2, v4
	s_or_b32 s31, s16, s20
	v_add_co_u32 v71, s16, s4, v7
	s_delay_alu instid0(VALU_DEP_1)
	v_add_co_ci_u32_e64 v72, null, s5, 0, s16
	s_lshl_b32 s16, s28, 5
	v_add_co_ci_u32_e32 v74, vcc_lo, s3, v5, vcc_lo
	v_add_co_u32 v2, s16, s16, v6
	v_add_co_u32 v75, vcc_lo, s6, v4
	v_add_co_ci_u32_e64 v3, null, 0, 0, s16
	s_delay_alu instid0(VALU_DEP_3) | instskip(SKIP_2) | instid1(VALU_DEP_4)
	v_or_b32_e32 v4, 8, v2
	v_add_co_ci_u32_e32 v76, vcc_lo, s7, v5, vcc_lo
	v_add_co_u32 v77, vcc_lo, s6, v2
	v_add_co_ci_u32_e32 v78, vcc_lo, s7, v3, vcc_lo
	s_delay_alu instid0(VALU_DEP_4)
	v_add_co_u32 v79, vcc_lo, s4, v4
	v_add_co_ci_u32_e32 v80, vcc_lo, s5, v3, vcc_lo
	v_add_co_ci_u32_e64 v66, null, s7, 0, s21
	v_add_co_u32 v67, s21, s2, v7
	v_add_co_u32 v81, vcc_lo, s2, v4
	v_add_co_ci_u32_e64 v68, null, s3, 0, s21
	v_add_co_ci_u32_e32 v82, vcc_lo, s3, v3, vcc_lo
	s_lshl_b32 s16, s28, 2
	s_lshl_b32 s29, s28, 1
	s_mul_i32 s30, s28, 3
	s_lshl_b32 s33, s28, 6
	s_mov_b64 s[20:21], s[16:17]
	s_branch .LBB128_4
.LBB128_3:                              ;   in Loop: Header=BB128_4 Depth=1
	s_or_b32 exec_lo, exec_lo, s2
	v_add_co_u32 v49, vcc_lo, v49, s16
	v_add_co_ci_u32_e32 v50, vcc_lo, 0, v50, vcc_lo
	v_add_co_u32 v59, vcc_lo, v59, s33
	v_add_co_ci_u32_e32 v60, vcc_lo, 0, v60, vcc_lo
	;; [unrolled: 2-line block ×11, first 2 shown]
	v_cmp_ge_i64_e64 s2, s[20:21], s[12:13]
	v_cmp_lt_u64_e64 s3, 0xffff, s[20:21]
	v_add_co_u32 v79, vcc_lo, v79, s33
	v_add_co_ci_u32_e32 v80, vcc_lo, 0, v80, vcc_lo
	v_add_co_u32 v81, vcc_lo, v81, s33
	v_add_co_ci_u32_e32 v82, vcc_lo, 0, v82, vcc_lo
	s_or_b32 s2, s2, s3
	s_add_u32 s20, s20, s16
	s_addc_u32 s21, s21, 0
	s_and_b32 vcc_lo, exec_lo, s2
	s_cbranch_vccnz .LBB128_108
.LBB128_4:                              ; =>This Inner Loop Header: Depth=1
	v_mov_b32_e32 v47, 0
	v_mov_b32_e32 v48, 0
	v_cmp_gt_u64_e64 s2, s[18:19], v[49:50]
	s_delay_alu instid0(VALU_DEP_3) | instskip(SKIP_1) | instid1(VALU_DEP_4)
	v_mov_b32_e32 v43, v47
	v_mov_b32_e32 v41, v47
	v_dual_mov_b32 v3, v47 :: v_dual_mov_b32 v4, v48
	v_mov_b32_e32 v44, v48
	v_dual_mov_b32 v42, v48 :: v_dual_mov_b32 v1, v47
	v_mov_b32_e32 v2, v48
	s_and_saveexec_b32 s3, s2
	s_cbranch_execz .LBB128_6
; %bb.5:                                ;   in Loop: Header=BB128_4 Depth=1
	v_add_co_u32 v1, vcc_lo, v61, s14
	v_add_co_ci_u32_e32 v2, vcc_lo, s15, v62, vcc_lo
	v_add_co_u32 v5, vcc_lo, v59, s14
	v_add_co_ci_u32_e32 v6, vcc_lo, s15, v60, vcc_lo
	global_load_b128 v[1:4], v[1:2], off offset:-8
	global_load_b128 v[41:44], v[5:6], off offset:-8
.LBB128_6:                              ;   in Loop: Header=BB128_4 Depth=1
	s_or_b32 exec_lo, exec_lo, s3
	v_dual_mov_b32 v45, v47 :: v_dual_mov_b32 v46, v48
	s_and_saveexec_b32 s3, s2
	s_cbranch_execz .LBB128_8
; %bb.7:                                ;   in Loop: Header=BB128_4 Depth=1
	v_add_co_u32 v5, vcc_lo, v63, s14
	v_add_co_ci_u32_e32 v6, vcc_lo, s15, v64, vcc_lo
	global_load_b128 v[45:48], v[5:6], off offset:-8
.LBB128_8:                              ;   in Loop: Header=BB128_4 Depth=1
	s_or_b32 exec_lo, exec_lo, s3
	v_add_co_u32 v5, vcc_lo, s28, v49
	v_add_co_ci_u32_e32 v6, vcc_lo, 0, v50, vcc_lo
	v_mov_b32_e32 v39, 0
	v_mov_b32_e32 v40, 0
	s_delay_alu instid0(VALU_DEP_2) | instskip(NEXT) | instid1(VALU_DEP_4)
	v_mov_b32_e32 v35, v39
	v_cmp_gt_u64_e64 s3, s[18:19], v[5:6]
	v_mov_b32_e32 v33, v39
	s_delay_alu instid0(VALU_DEP_4)
	v_dual_mov_b32 v7, v39 :: v_dual_mov_b32 v8, v40
	v_mov_b32_e32 v36, v40
	v_dual_mov_b32 v34, v40 :: v_dual_mov_b32 v5, v39
	v_mov_b32_e32 v6, v40
	s_and_saveexec_b32 s4, s3
	s_cbranch_execz .LBB128_10
; %bb.9:                                ;   in Loop: Header=BB128_4 Depth=1
	v_add_co_u32 v5, vcc_lo, v67, s14
	v_add_co_ci_u32_e32 v6, vcc_lo, s15, v68, vcc_lo
	v_add_co_u32 v9, vcc_lo, v71, s14
	v_add_co_ci_u32_e32 v10, vcc_lo, s15, v72, vcc_lo
	global_load_b128 v[5:8], v[5:6], off
	global_load_b128 v[33:36], v[9:10], off
.LBB128_10:                             ;   in Loop: Header=BB128_4 Depth=1
	s_or_b32 exec_lo, exec_lo, s4
	v_dual_mov_b32 v37, v39 :: v_dual_mov_b32 v38, v40
	s_and_saveexec_b32 s4, s3
	s_cbranch_execz .LBB128_12
; %bb.11:                               ;   in Loop: Header=BB128_4 Depth=1
	v_add_co_u32 v9, vcc_lo, v65, s14
	v_add_co_ci_u32_e32 v10, vcc_lo, s15, v66, vcc_lo
	global_load_b128 v[37:40], v[9:10], off
.LBB128_12:                             ;   in Loop: Header=BB128_4 Depth=1
	s_or_b32 exec_lo, exec_lo, s4
	v_add_co_u32 v9, vcc_lo, s29, v49
	v_add_co_ci_u32_e32 v10, vcc_lo, 0, v50, vcc_lo
	v_mov_b32_e32 v31, 0
	v_mov_b32_e32 v32, 0
	s_delay_alu instid0(VALU_DEP_2) | instskip(NEXT) | instid1(VALU_DEP_4)
	v_mov_b32_e32 v27, v31
	v_cmp_gt_u64_e64 s4, s[18:19], v[9:10]
	v_mov_b32_e32 v25, v31
	s_delay_alu instid0(VALU_DEP_4)
	v_dual_mov_b32 v11, v31 :: v_dual_mov_b32 v12, v32
	v_mov_b32_e32 v28, v32
	v_dual_mov_b32 v26, v32 :: v_dual_mov_b32 v9, v31
	v_mov_b32_e32 v10, v32
	s_and_saveexec_b32 s5, s4
	s_cbranch_execz .LBB128_14
; %bb.13:                               ;   in Loop: Header=BB128_4 Depth=1
	v_add_co_u32 v9, vcc_lo, v81, s14
	v_add_co_ci_u32_e32 v10, vcc_lo, s15, v82, vcc_lo
	v_add_co_u32 v13, vcc_lo, v79, s14
	v_add_co_ci_u32_e32 v14, vcc_lo, s15, v80, vcc_lo
	global_load_b128 v[9:12], v[9:10], off offset:-8
	global_load_b128 v[25:28], v[13:14], off offset:-8
.LBB128_14:                             ;   in Loop: Header=BB128_4 Depth=1
	s_or_b32 exec_lo, exec_lo, s5
	v_dual_mov_b32 v29, v31 :: v_dual_mov_b32 v30, v32
	s_and_saveexec_b32 s5, s4
	s_cbranch_execz .LBB128_16
; %bb.15:                               ;   in Loop: Header=BB128_4 Depth=1
	v_add_co_u32 v13, vcc_lo, v77, s14
	v_add_co_ci_u32_e32 v14, vcc_lo, s15, v78, vcc_lo
	global_load_b128 v[29:32], v[13:14], off
.LBB128_16:                             ;   in Loop: Header=BB128_4 Depth=1
	s_or_b32 exec_lo, exec_lo, s5
	v_add_co_u32 v13, vcc_lo, s30, v49
	v_add_co_ci_u32_e32 v14, vcc_lo, 0, v50, vcc_lo
	v_mov_b32_e32 v23, 0
	v_mov_b32_e32 v24, 0
	s_delay_alu instid0(VALU_DEP_2) | instskip(NEXT) | instid1(VALU_DEP_4)
	v_mov_b32_e32 v19, v23
	v_cmp_gt_u64_e64 s5, s[18:19], v[13:14]
	v_mov_b32_e32 v17, v23
	s_delay_alu instid0(VALU_DEP_4)
	v_dual_mov_b32 v15, v23 :: v_dual_mov_b32 v16, v24
	v_mov_b32_e32 v20, v24
	v_dual_mov_b32 v18, v24 :: v_dual_mov_b32 v13, v23
	v_mov_b32_e32 v14, v24
	s_and_saveexec_b32 s6, s5
	s_cbranch_execz .LBB128_18
; %bb.17:                               ;   in Loop: Header=BB128_4 Depth=1
	v_add_co_u32 v13, vcc_lo, v73, s14
	v_add_co_ci_u32_e32 v14, vcc_lo, s15, v74, vcc_lo
	v_add_co_u32 v17, vcc_lo, v69, s14
	v_add_co_ci_u32_e32 v18, vcc_lo, s15, v70, vcc_lo
	global_load_b128 v[13:16], v[13:14], off offset:-8
	global_load_b128 v[17:20], v[17:18], off offset:-8
.LBB128_18:                             ;   in Loop: Header=BB128_4 Depth=1
	s_or_b32 exec_lo, exec_lo, s6
	v_dual_mov_b32 v21, v23 :: v_dual_mov_b32 v22, v24
	s_and_saveexec_b32 s6, s5
	s_cbranch_execz .LBB128_20
; %bb.19:                               ;   in Loop: Header=BB128_4 Depth=1
	v_add_co_u32 v21, vcc_lo, v75, s14
	v_add_co_ci_u32_e32 v22, vcc_lo, s15, v76, vcc_lo
	global_load_b128 v[21:24], v[21:22], off offset:-8
.LBB128_20:                             ;   in Loop: Header=BB128_4 Depth=1
	s_or_b32 exec_lo, exec_lo, s6
	s_waitcnt vmcnt(0)
	v_cmp_gt_f64_e32 vcc_lo, 0, v[45:46]
	v_cmp_gt_f64_e64 s6, 0, v[47:48]
	v_xor_b32_e32 v51, 0x80000000, v46
	v_xor_b32_e32 v52, 0x80000000, v48
	s_delay_alu instid0(VALU_DEP_2) | instskip(NEXT) | instid1(VALU_DEP_2)
	v_dual_cndmask_b32 v56, v46, v51 :: v_dual_cndmask_b32 v55, v45, v45
	v_cndmask_b32_e64 v58, v48, v52, s6
	v_cndmask_b32_e64 v57, v47, v47, s6
	s_and_b32 vcc_lo, exec_lo, s31
	s_delay_alu instid0(VALU_DEP_1)
	v_cmp_ge_f64_e64 s6, v[55:56], v[57:58]
	s_cbranch_vccz .LBB128_30
; %bb.21:                               ;   in Loop: Header=BB128_4 Depth=1
                                        ; implicit-def: $vgpr51_vgpr52
                                        ; implicit-def: $vgpr53_vgpr54
	s_delay_alu instid0(VALU_DEP_1) | instskip(NEXT) | instid1(SALU_CYCLE_1)
	s_and_saveexec_b32 s7, s6
	s_xor_b32 s17, exec_lo, s7
	s_cbranch_execz .LBB128_27
; %bb.22:                               ;   in Loop: Header=BB128_4 Depth=1
	v_cmp_neq_f64_e32 vcc_lo, 0, v[45:46]
	v_cmp_neq_f64_e64 s7, 0, v[47:48]
                                        ; implicit-def: $vgpr51_vgpr52
                                        ; implicit-def: $vgpr53_vgpr54
	s_delay_alu instid0(VALU_DEP_1) | instskip(NEXT) | instid1(SALU_CYCLE_1)
	s_or_b32 s7, s7, vcc_lo
	s_and_saveexec_b32 s34, s7
	s_delay_alu instid0(SALU_CYCLE_1)
	s_xor_b32 s7, exec_lo, s34
	s_cbranch_execz .LBB128_24
; %bb.23:                               ;   in Loop: Header=BB128_4 Depth=1
	v_div_scale_f64 v[51:52], null, v[45:46], v[45:46], v[47:48]
	v_div_scale_f64 v[85:86], vcc_lo, v[47:48], v[45:46], v[47:48]
	s_delay_alu instid0(VALU_DEP_2) | instskip(SKIP_2) | instid1(VALU_DEP_1)
	v_rcp_f64_e32 v[53:54], v[51:52]
	s_waitcnt_depctr 0xfff
	v_fma_f64 v[83:84], -v[51:52], v[53:54], 1.0
	v_fma_f64 v[53:54], v[53:54], v[83:84], v[53:54]
	s_delay_alu instid0(VALU_DEP_1) | instskip(NEXT) | instid1(VALU_DEP_1)
	v_fma_f64 v[83:84], -v[51:52], v[53:54], 1.0
	v_fma_f64 v[53:54], v[53:54], v[83:84], v[53:54]
	s_delay_alu instid0(VALU_DEP_1) | instskip(NEXT) | instid1(VALU_DEP_1)
	v_mul_f64 v[83:84], v[85:86], v[53:54]
	v_fma_f64 v[51:52], -v[51:52], v[83:84], v[85:86]
	s_delay_alu instid0(VALU_DEP_1) | instskip(NEXT) | instid1(VALU_DEP_1)
	v_div_fmas_f64 v[51:52], v[51:52], v[53:54], v[83:84]
	v_div_fixup_f64 v[51:52], v[51:52], v[45:46], v[47:48]
	s_delay_alu instid0(VALU_DEP_1) | instskip(NEXT) | instid1(VALU_DEP_1)
	v_fma_f64 v[53:54], v[47:48], v[51:52], v[45:46]
	v_div_scale_f64 v[83:84], null, v[53:54], v[53:54], 1.0
	v_div_scale_f64 v[89:90], vcc_lo, 1.0, v[53:54], 1.0
	s_delay_alu instid0(VALU_DEP_2) | instskip(SKIP_2) | instid1(VALU_DEP_1)
	v_rcp_f64_e32 v[85:86], v[83:84]
	s_waitcnt_depctr 0xfff
	v_fma_f64 v[87:88], -v[83:84], v[85:86], 1.0
	v_fma_f64 v[85:86], v[85:86], v[87:88], v[85:86]
	s_delay_alu instid0(VALU_DEP_1) | instskip(NEXT) | instid1(VALU_DEP_1)
	v_fma_f64 v[87:88], -v[83:84], v[85:86], 1.0
	v_fma_f64 v[85:86], v[85:86], v[87:88], v[85:86]
	s_delay_alu instid0(VALU_DEP_1) | instskip(NEXT) | instid1(VALU_DEP_1)
	v_mul_f64 v[87:88], v[89:90], v[85:86]
	v_fma_f64 v[83:84], -v[83:84], v[87:88], v[89:90]
	s_delay_alu instid0(VALU_DEP_1) | instskip(SKIP_2) | instid1(VALU_DEP_3)
	v_div_fmas_f64 v[83:84], v[83:84], v[85:86], v[87:88]
	v_fma_f64 v[85:86], v[43:44], v[51:52], v[41:42]
	v_fma_f64 v[51:52], -v[41:42], v[51:52], v[43:44]
	v_div_fixup_f64 v[83:84], v[83:84], v[53:54], 1.0
	s_delay_alu instid0(VALU_DEP_1) | instskip(NEXT) | instid1(VALU_DEP_3)
	v_mul_f64 v[53:54], v[85:86], v[83:84]
	v_mul_f64 v[51:52], v[51:52], v[83:84]
.LBB128_24:                             ;   in Loop: Header=BB128_4 Depth=1
	s_and_not1_saveexec_b32 s34, s7
	s_cbranch_execz .LBB128_26
; %bb.25:                               ;   in Loop: Header=BB128_4 Depth=1
	v_div_scale_f64 v[51:52], null, v[55:56], v[55:56], v[41:42]
	v_div_scale_f64 v[53:54], null, v[57:58], v[57:58], v[43:44]
	v_div_scale_f64 v[91:92], vcc_lo, v[41:42], v[55:56], v[41:42]
	s_delay_alu instid0(VALU_DEP_3) | instskip(NEXT) | instid1(VALU_DEP_2)
	v_rcp_f64_e32 v[83:84], v[51:52]
	v_rcp_f64_e32 v[85:86], v[53:54]
	s_waitcnt_depctr 0xfff
	v_fma_f64 v[87:88], -v[51:52], v[83:84], 1.0
	v_fma_f64 v[89:90], -v[53:54], v[85:86], 1.0
	s_delay_alu instid0(VALU_DEP_2) | instskip(NEXT) | instid1(VALU_DEP_2)
	v_fma_f64 v[83:84], v[83:84], v[87:88], v[83:84]
	v_fma_f64 v[85:86], v[85:86], v[89:90], v[85:86]
	s_delay_alu instid0(VALU_DEP_2) | instskip(NEXT) | instid1(VALU_DEP_2)
	v_fma_f64 v[87:88], -v[51:52], v[83:84], 1.0
	v_fma_f64 v[89:90], -v[53:54], v[85:86], 1.0
	s_delay_alu instid0(VALU_DEP_2) | instskip(SKIP_1) | instid1(VALU_DEP_3)
	v_fma_f64 v[83:84], v[83:84], v[87:88], v[83:84]
	v_div_scale_f64 v[87:88], s7, v[43:44], v[57:58], v[43:44]
	v_fma_f64 v[85:86], v[85:86], v[89:90], v[85:86]
	s_delay_alu instid0(VALU_DEP_3) | instskip(NEXT) | instid1(VALU_DEP_2)
	v_mul_f64 v[89:90], v[91:92], v[83:84]
	v_mul_f64 v[93:94], v[87:88], v[85:86]
	s_delay_alu instid0(VALU_DEP_2) | instskip(NEXT) | instid1(VALU_DEP_2)
	v_fma_f64 v[51:52], -v[51:52], v[89:90], v[91:92]
	v_fma_f64 v[53:54], -v[53:54], v[93:94], v[87:88]
	s_delay_alu instid0(VALU_DEP_2) | instskip(SKIP_1) | instid1(VALU_DEP_2)
	v_div_fmas_f64 v[51:52], v[51:52], v[83:84], v[89:90]
	s_mov_b32 vcc_lo, s7
	v_div_fmas_f64 v[83:84], v[53:54], v[85:86], v[93:94]
	s_delay_alu instid0(VALU_DEP_2) | instskip(NEXT) | instid1(VALU_DEP_2)
	v_div_fixup_f64 v[53:54], v[51:52], v[55:56], v[41:42]
	v_div_fixup_f64 v[51:52], v[83:84], v[57:58], v[43:44]
.LBB128_26:                             ;   in Loop: Header=BB128_4 Depth=1
	s_or_b32 exec_lo, exec_lo, s34
.LBB128_27:                             ;   in Loop: Header=BB128_4 Depth=1
	s_and_not1_saveexec_b32 s7, s17
	s_cbranch_execz .LBB128_29
; %bb.28:                               ;   in Loop: Header=BB128_4 Depth=1
	v_div_scale_f64 v[51:52], null, v[47:48], v[47:48], v[45:46]
	v_div_scale_f64 v[85:86], vcc_lo, v[45:46], v[47:48], v[45:46]
	s_delay_alu instid0(VALU_DEP_2) | instskip(SKIP_2) | instid1(VALU_DEP_1)
	v_rcp_f64_e32 v[53:54], v[51:52]
	s_waitcnt_depctr 0xfff
	v_fma_f64 v[83:84], -v[51:52], v[53:54], 1.0
	v_fma_f64 v[53:54], v[53:54], v[83:84], v[53:54]
	s_delay_alu instid0(VALU_DEP_1) | instskip(NEXT) | instid1(VALU_DEP_1)
	v_fma_f64 v[83:84], -v[51:52], v[53:54], 1.0
	v_fma_f64 v[53:54], v[53:54], v[83:84], v[53:54]
	s_delay_alu instid0(VALU_DEP_1) | instskip(NEXT) | instid1(VALU_DEP_1)
	v_mul_f64 v[83:84], v[85:86], v[53:54]
	v_fma_f64 v[51:52], -v[51:52], v[83:84], v[85:86]
	s_delay_alu instid0(VALU_DEP_1) | instskip(NEXT) | instid1(VALU_DEP_1)
	v_div_fmas_f64 v[51:52], v[51:52], v[53:54], v[83:84]
	v_div_fixup_f64 v[51:52], v[51:52], v[47:48], v[45:46]
	s_delay_alu instid0(VALU_DEP_1) | instskip(NEXT) | instid1(VALU_DEP_1)
	v_fma_f64 v[53:54], v[45:46], v[51:52], v[47:48]
	v_div_scale_f64 v[83:84], null, v[53:54], v[53:54], 1.0
	v_div_scale_f64 v[89:90], vcc_lo, 1.0, v[53:54], 1.0
	s_delay_alu instid0(VALU_DEP_2) | instskip(SKIP_2) | instid1(VALU_DEP_1)
	v_rcp_f64_e32 v[85:86], v[83:84]
	s_waitcnt_depctr 0xfff
	v_fma_f64 v[87:88], -v[83:84], v[85:86], 1.0
	v_fma_f64 v[85:86], v[85:86], v[87:88], v[85:86]
	s_delay_alu instid0(VALU_DEP_1) | instskip(NEXT) | instid1(VALU_DEP_1)
	v_fma_f64 v[87:88], -v[83:84], v[85:86], 1.0
	v_fma_f64 v[85:86], v[85:86], v[87:88], v[85:86]
	s_delay_alu instid0(VALU_DEP_1) | instskip(NEXT) | instid1(VALU_DEP_1)
	v_mul_f64 v[87:88], v[89:90], v[85:86]
	v_fma_f64 v[83:84], -v[83:84], v[87:88], v[89:90]
	s_delay_alu instid0(VALU_DEP_1) | instskip(SKIP_2) | instid1(VALU_DEP_3)
	v_div_fmas_f64 v[83:84], v[83:84], v[85:86], v[87:88]
	v_fma_f64 v[85:86], v[41:42], v[51:52], v[43:44]
	v_fma_f64 v[51:52], v[43:44], v[51:52], -v[41:42]
	v_div_fixup_f64 v[83:84], v[83:84], v[53:54], 1.0
	s_delay_alu instid0(VALU_DEP_1) | instskip(NEXT) | instid1(VALU_DEP_3)
	v_mul_f64 v[53:54], v[85:86], v[83:84]
	v_mul_f64 v[51:52], v[51:52], v[83:84]
.LBB128_29:                             ;   in Loop: Header=BB128_4 Depth=1
	s_or_b32 exec_lo, exec_lo, s7
	s_delay_alu instid0(VALU_DEP_1) | instskip(SKIP_1) | instid1(VALU_DEP_2)
	v_mul_f64 v[83:84], s[10:11], v[51:52]
	v_mul_f64 v[85:86], s[8:9], v[51:52]
	v_fma_f64 v[51:52], s[8:9], v[53:54], -v[83:84]
	s_delay_alu instid0(VALU_DEP_2)
	v_fma_f64 v[53:54], s[10:11], v[53:54], v[85:86]
	s_branch .LBB128_40
.LBB128_30:                             ;   in Loop: Header=BB128_4 Depth=1
                                        ; implicit-def: $vgpr53_vgpr54
                                        ; implicit-def: $vgpr51_vgpr52
	s_cbranch_execz .LBB128_40
; %bb.31:                               ;   in Loop: Header=BB128_4 Depth=1
                                        ; implicit-def: $vgpr53_vgpr54
                                        ; implicit-def: $vgpr51_vgpr52
	s_delay_alu instid0(VALU_DEP_1) | instskip(NEXT) | instid1(SALU_CYCLE_1)
	s_and_saveexec_b32 s7, s6
	s_xor_b32 s7, exec_lo, s7
	s_cbranch_execz .LBB128_37
; %bb.32:                               ;   in Loop: Header=BB128_4 Depth=1
	v_cmp_neq_f64_e32 vcc_lo, 0, v[45:46]
	v_cmp_neq_f64_e64 s6, 0, v[47:48]
                                        ; implicit-def: $vgpr53_vgpr54
                                        ; implicit-def: $vgpr51_vgpr52
	s_delay_alu instid0(VALU_DEP_1) | instskip(NEXT) | instid1(SALU_CYCLE_1)
	s_or_b32 s6, s6, vcc_lo
	s_and_saveexec_b32 s17, s6
	s_delay_alu instid0(SALU_CYCLE_1)
	s_xor_b32 s6, exec_lo, s17
	s_cbranch_execz .LBB128_34
; %bb.33:                               ;   in Loop: Header=BB128_4 Depth=1
	v_div_scale_f64 v[51:52], null, v[45:46], v[45:46], v[47:48]
	v_div_scale_f64 v[57:58], vcc_lo, v[47:48], v[45:46], v[47:48]
	s_delay_alu instid0(VALU_DEP_2) | instskip(SKIP_2) | instid1(VALU_DEP_1)
	v_rcp_f64_e32 v[53:54], v[51:52]
	s_waitcnt_depctr 0xfff
	v_fma_f64 v[55:56], -v[51:52], v[53:54], 1.0
	v_fma_f64 v[53:54], v[53:54], v[55:56], v[53:54]
	s_delay_alu instid0(VALU_DEP_1) | instskip(NEXT) | instid1(VALU_DEP_1)
	v_fma_f64 v[55:56], -v[51:52], v[53:54], 1.0
	v_fma_f64 v[53:54], v[53:54], v[55:56], v[53:54]
	s_delay_alu instid0(VALU_DEP_1) | instskip(NEXT) | instid1(VALU_DEP_1)
	v_mul_f64 v[55:56], v[57:58], v[53:54]
	v_fma_f64 v[51:52], -v[51:52], v[55:56], v[57:58]
	s_delay_alu instid0(VALU_DEP_1) | instskip(NEXT) | instid1(VALU_DEP_1)
	v_div_fmas_f64 v[51:52], v[51:52], v[53:54], v[55:56]
	v_div_fixup_f64 v[51:52], v[51:52], v[45:46], v[47:48]
	s_delay_alu instid0(VALU_DEP_1) | instskip(NEXT) | instid1(VALU_DEP_1)
	v_fma_f64 v[45:46], v[47:48], v[51:52], v[45:46]
	v_div_scale_f64 v[47:48], null, v[45:46], v[45:46], 1.0
	v_div_scale_f64 v[57:58], vcc_lo, 1.0, v[45:46], 1.0
	s_delay_alu instid0(VALU_DEP_2) | instskip(SKIP_2) | instid1(VALU_DEP_1)
	v_rcp_f64_e32 v[53:54], v[47:48]
	s_waitcnt_depctr 0xfff
	v_fma_f64 v[55:56], -v[47:48], v[53:54], 1.0
	v_fma_f64 v[53:54], v[53:54], v[55:56], v[53:54]
	s_delay_alu instid0(VALU_DEP_1) | instskip(NEXT) | instid1(VALU_DEP_1)
	v_fma_f64 v[55:56], -v[47:48], v[53:54], 1.0
	v_fma_f64 v[53:54], v[53:54], v[55:56], v[53:54]
	s_delay_alu instid0(VALU_DEP_1) | instskip(NEXT) | instid1(VALU_DEP_1)
	v_mul_f64 v[55:56], v[57:58], v[53:54]
	v_fma_f64 v[47:48], -v[47:48], v[55:56], v[57:58]
                                        ; implicit-def: $vgpr57_vgpr58
	s_delay_alu instid0(VALU_DEP_1) | instskip(SKIP_2) | instid1(VALU_DEP_3)
	v_div_fmas_f64 v[47:48], v[47:48], v[53:54], v[55:56]
	v_fma_f64 v[53:54], v[43:44], v[51:52], v[41:42]
	v_fma_f64 v[41:42], -v[41:42], v[51:52], v[43:44]
                                        ; implicit-def: $vgpr55_vgpr56
	v_div_fixup_f64 v[45:46], v[47:48], v[45:46], 1.0
	s_delay_alu instid0(VALU_DEP_1) | instskip(NEXT) | instid1(VALU_DEP_3)
	v_mul_f64 v[51:52], v[53:54], v[45:46]
	v_mul_f64 v[53:54], v[41:42], v[45:46]
                                        ; implicit-def: $vgpr41_vgpr42
.LBB128_34:                             ;   in Loop: Header=BB128_4 Depth=1
	s_and_not1_saveexec_b32 s17, s6
	s_cbranch_execz .LBB128_36
; %bb.35:                               ;   in Loop: Header=BB128_4 Depth=1
	v_div_scale_f64 v[45:46], null, v[55:56], v[55:56], v[41:42]
	v_div_scale_f64 v[47:48], null, v[57:58], v[57:58], v[43:44]
	v_div_scale_f64 v[87:88], vcc_lo, v[41:42], v[55:56], v[41:42]
	s_delay_alu instid0(VALU_DEP_3) | instskip(NEXT) | instid1(VALU_DEP_2)
	v_rcp_f64_e32 v[51:52], v[45:46]
	v_rcp_f64_e32 v[53:54], v[47:48]
	s_waitcnt_depctr 0xfff
	v_fma_f64 v[83:84], -v[45:46], v[51:52], 1.0
	v_fma_f64 v[85:86], -v[47:48], v[53:54], 1.0
	s_delay_alu instid0(VALU_DEP_2) | instskip(NEXT) | instid1(VALU_DEP_2)
	v_fma_f64 v[51:52], v[51:52], v[83:84], v[51:52]
	v_fma_f64 v[53:54], v[53:54], v[85:86], v[53:54]
	s_delay_alu instid0(VALU_DEP_2) | instskip(NEXT) | instid1(VALU_DEP_2)
	v_fma_f64 v[83:84], -v[45:46], v[51:52], 1.0
	v_fma_f64 v[85:86], -v[47:48], v[53:54], 1.0
	s_delay_alu instid0(VALU_DEP_2) | instskip(SKIP_1) | instid1(VALU_DEP_3)
	v_fma_f64 v[51:52], v[51:52], v[83:84], v[51:52]
	v_div_scale_f64 v[83:84], s6, v[43:44], v[57:58], v[43:44]
	v_fma_f64 v[53:54], v[53:54], v[85:86], v[53:54]
	s_delay_alu instid0(VALU_DEP_3) | instskip(NEXT) | instid1(VALU_DEP_2)
	v_mul_f64 v[85:86], v[87:88], v[51:52]
	v_mul_f64 v[89:90], v[83:84], v[53:54]
	s_delay_alu instid0(VALU_DEP_2) | instskip(NEXT) | instid1(VALU_DEP_2)
	v_fma_f64 v[45:46], -v[45:46], v[85:86], v[87:88]
	v_fma_f64 v[47:48], -v[47:48], v[89:90], v[83:84]
	s_delay_alu instid0(VALU_DEP_2) | instskip(SKIP_1) | instid1(VALU_DEP_2)
	v_div_fmas_f64 v[45:46], v[45:46], v[51:52], v[85:86]
	s_mov_b32 vcc_lo, s6
	v_div_fmas_f64 v[47:48], v[47:48], v[53:54], v[89:90]
	s_delay_alu instid0(VALU_DEP_2) | instskip(NEXT) | instid1(VALU_DEP_2)
	v_div_fixup_f64 v[51:52], v[45:46], v[55:56], v[41:42]
	v_div_fixup_f64 v[53:54], v[47:48], v[57:58], v[43:44]
.LBB128_36:                             ;   in Loop: Header=BB128_4 Depth=1
	s_or_b32 exec_lo, exec_lo, s17
                                        ; implicit-def: $vgpr47_vgpr48
                                        ; implicit-def: $vgpr41_vgpr42
.LBB128_37:                             ;   in Loop: Header=BB128_4 Depth=1
	s_and_not1_saveexec_b32 s6, s7
	s_cbranch_execz .LBB128_39
; %bb.38:                               ;   in Loop: Header=BB128_4 Depth=1
	v_div_scale_f64 v[51:52], null, v[47:48], v[47:48], v[45:46]
	v_div_scale_f64 v[57:58], vcc_lo, v[45:46], v[47:48], v[45:46]
	s_delay_alu instid0(VALU_DEP_2) | instskip(SKIP_2) | instid1(VALU_DEP_1)
	v_rcp_f64_e32 v[53:54], v[51:52]
	s_waitcnt_depctr 0xfff
	v_fma_f64 v[55:56], -v[51:52], v[53:54], 1.0
	v_fma_f64 v[53:54], v[53:54], v[55:56], v[53:54]
	s_delay_alu instid0(VALU_DEP_1) | instskip(NEXT) | instid1(VALU_DEP_1)
	v_fma_f64 v[55:56], -v[51:52], v[53:54], 1.0
	v_fma_f64 v[53:54], v[53:54], v[55:56], v[53:54]
	s_delay_alu instid0(VALU_DEP_1) | instskip(NEXT) | instid1(VALU_DEP_1)
	v_mul_f64 v[55:56], v[57:58], v[53:54]
	v_fma_f64 v[51:52], -v[51:52], v[55:56], v[57:58]
	s_delay_alu instid0(VALU_DEP_1) | instskip(NEXT) | instid1(VALU_DEP_1)
	v_div_fmas_f64 v[51:52], v[51:52], v[53:54], v[55:56]
	v_div_fixup_f64 v[51:52], v[51:52], v[47:48], v[45:46]
	s_delay_alu instid0(VALU_DEP_1) | instskip(NEXT) | instid1(VALU_DEP_1)
	v_fma_f64 v[45:46], v[45:46], v[51:52], v[47:48]
	v_div_scale_f64 v[47:48], null, v[45:46], v[45:46], 1.0
	v_div_scale_f64 v[57:58], vcc_lo, 1.0, v[45:46], 1.0
	s_delay_alu instid0(VALU_DEP_2) | instskip(SKIP_2) | instid1(VALU_DEP_1)
	v_rcp_f64_e32 v[53:54], v[47:48]
	s_waitcnt_depctr 0xfff
	v_fma_f64 v[55:56], -v[47:48], v[53:54], 1.0
	v_fma_f64 v[53:54], v[53:54], v[55:56], v[53:54]
	s_delay_alu instid0(VALU_DEP_1) | instskip(NEXT) | instid1(VALU_DEP_1)
	v_fma_f64 v[55:56], -v[47:48], v[53:54], 1.0
	v_fma_f64 v[53:54], v[53:54], v[55:56], v[53:54]
	s_delay_alu instid0(VALU_DEP_1) | instskip(NEXT) | instid1(VALU_DEP_1)
	v_mul_f64 v[55:56], v[57:58], v[53:54]
	v_fma_f64 v[47:48], -v[47:48], v[55:56], v[57:58]
	s_delay_alu instid0(VALU_DEP_1) | instskip(SKIP_2) | instid1(VALU_DEP_3)
	v_div_fmas_f64 v[47:48], v[47:48], v[53:54], v[55:56]
	v_fma_f64 v[53:54], v[41:42], v[51:52], v[43:44]
	v_fma_f64 v[41:42], v[43:44], v[51:52], -v[41:42]
	v_div_fixup_f64 v[45:46], v[47:48], v[45:46], 1.0
	s_delay_alu instid0(VALU_DEP_1) | instskip(NEXT) | instid1(VALU_DEP_3)
	v_mul_f64 v[51:52], v[53:54], v[45:46]
	v_mul_f64 v[53:54], v[41:42], v[45:46]
.LBB128_39:                             ;   in Loop: Header=BB128_4 Depth=1
	s_or_b32 exec_lo, exec_lo, s6
.LBB128_40:                             ;   in Loop: Header=BB128_4 Depth=1
	v_cmp_gt_f64_e32 vcc_lo, 0, v[37:38]
	v_cmp_gt_f64_e64 s6, 0, v[39:40]
	v_xor_b32_e32 v41, 0x80000000, v38
	v_xor_b32_e32 v42, 0x80000000, v40
	s_delay_alu instid0(VALU_DEP_2) | instskip(NEXT) | instid1(VALU_DEP_2)
	v_cndmask_b32_e32 v46, v38, v41, vcc_lo
	v_cndmask_b32_e64 v48, v40, v42, s6
	v_cndmask_b32_e32 v45, v37, v37, vcc_lo
	v_cndmask_b32_e64 v47, v39, v39, s6
	s_and_not1_b32 vcc_lo, exec_lo, s31
	s_delay_alu instid0(VALU_DEP_1)
	v_cmp_ge_f64_e64 s6, v[45:46], v[47:48]
	s_cbranch_vccnz .LBB128_50
; %bb.41:                               ;   in Loop: Header=BB128_4 Depth=1
                                        ; implicit-def: $vgpr41_vgpr42
                                        ; implicit-def: $vgpr43_vgpr44
	s_delay_alu instid0(VALU_DEP_1) | instskip(NEXT) | instid1(SALU_CYCLE_1)
	s_and_saveexec_b32 s7, s6
	s_xor_b32 s17, exec_lo, s7
	s_cbranch_execz .LBB128_47
; %bb.42:                               ;   in Loop: Header=BB128_4 Depth=1
	v_cmp_neq_f64_e32 vcc_lo, 0, v[37:38]
	v_cmp_neq_f64_e64 s7, 0, v[39:40]
                                        ; implicit-def: $vgpr41_vgpr42
                                        ; implicit-def: $vgpr43_vgpr44
	s_delay_alu instid0(VALU_DEP_1) | instskip(NEXT) | instid1(SALU_CYCLE_1)
	s_or_b32 s7, s7, vcc_lo
	s_and_saveexec_b32 s34, s7
	s_delay_alu instid0(SALU_CYCLE_1)
	s_xor_b32 s7, exec_lo, s34
	s_cbranch_execz .LBB128_44
; %bb.43:                               ;   in Loop: Header=BB128_4 Depth=1
	v_div_scale_f64 v[41:42], null, v[37:38], v[37:38], v[39:40]
	v_div_scale_f64 v[57:58], vcc_lo, v[39:40], v[37:38], v[39:40]
	s_delay_alu instid0(VALU_DEP_2) | instskip(SKIP_2) | instid1(VALU_DEP_1)
	v_rcp_f64_e32 v[43:44], v[41:42]
	s_waitcnt_depctr 0xfff
	v_fma_f64 v[55:56], -v[41:42], v[43:44], 1.0
	v_fma_f64 v[43:44], v[43:44], v[55:56], v[43:44]
	s_delay_alu instid0(VALU_DEP_1) | instskip(NEXT) | instid1(VALU_DEP_1)
	v_fma_f64 v[55:56], -v[41:42], v[43:44], 1.0
	v_fma_f64 v[43:44], v[43:44], v[55:56], v[43:44]
	s_delay_alu instid0(VALU_DEP_1) | instskip(NEXT) | instid1(VALU_DEP_1)
	v_mul_f64 v[55:56], v[57:58], v[43:44]
	v_fma_f64 v[41:42], -v[41:42], v[55:56], v[57:58]
	s_delay_alu instid0(VALU_DEP_1) | instskip(NEXT) | instid1(VALU_DEP_1)
	v_div_fmas_f64 v[41:42], v[41:42], v[43:44], v[55:56]
	v_div_fixup_f64 v[41:42], v[41:42], v[37:38], v[39:40]
	s_delay_alu instid0(VALU_DEP_1) | instskip(NEXT) | instid1(VALU_DEP_1)
	v_fma_f64 v[43:44], v[39:40], v[41:42], v[37:38]
	v_div_scale_f64 v[55:56], null, v[43:44], v[43:44], 1.0
	v_div_scale_f64 v[85:86], vcc_lo, 1.0, v[43:44], 1.0
	s_delay_alu instid0(VALU_DEP_2) | instskip(SKIP_2) | instid1(VALU_DEP_1)
	v_rcp_f64_e32 v[57:58], v[55:56]
	s_waitcnt_depctr 0xfff
	v_fma_f64 v[83:84], -v[55:56], v[57:58], 1.0
	v_fma_f64 v[57:58], v[57:58], v[83:84], v[57:58]
	s_delay_alu instid0(VALU_DEP_1) | instskip(NEXT) | instid1(VALU_DEP_1)
	v_fma_f64 v[83:84], -v[55:56], v[57:58], 1.0
	v_fma_f64 v[57:58], v[57:58], v[83:84], v[57:58]
	s_delay_alu instid0(VALU_DEP_1) | instskip(NEXT) | instid1(VALU_DEP_1)
	v_mul_f64 v[83:84], v[85:86], v[57:58]
	v_fma_f64 v[55:56], -v[55:56], v[83:84], v[85:86]
	s_delay_alu instid0(VALU_DEP_1) | instskip(SKIP_2) | instid1(VALU_DEP_3)
	v_div_fmas_f64 v[55:56], v[55:56], v[57:58], v[83:84]
	v_fma_f64 v[57:58], v[35:36], v[41:42], v[33:34]
	v_fma_f64 v[41:42], -v[33:34], v[41:42], v[35:36]
	v_div_fixup_f64 v[55:56], v[55:56], v[43:44], 1.0
	s_delay_alu instid0(VALU_DEP_1) | instskip(NEXT) | instid1(VALU_DEP_3)
	v_mul_f64 v[43:44], v[57:58], v[55:56]
	v_mul_f64 v[41:42], v[41:42], v[55:56]
.LBB128_44:                             ;   in Loop: Header=BB128_4 Depth=1
	s_and_not1_saveexec_b32 s34, s7
	s_cbranch_execz .LBB128_46
; %bb.45:                               ;   in Loop: Header=BB128_4 Depth=1
	v_div_scale_f64 v[41:42], null, v[45:46], v[45:46], v[33:34]
	v_div_scale_f64 v[43:44], null, v[47:48], v[47:48], v[35:36]
	v_div_scale_f64 v[87:88], vcc_lo, v[33:34], v[45:46], v[33:34]
	s_delay_alu instid0(VALU_DEP_3) | instskip(NEXT) | instid1(VALU_DEP_2)
	v_rcp_f64_e32 v[55:56], v[41:42]
	v_rcp_f64_e32 v[57:58], v[43:44]
	s_waitcnt_depctr 0xfff
	v_fma_f64 v[83:84], -v[41:42], v[55:56], 1.0
	v_fma_f64 v[85:86], -v[43:44], v[57:58], 1.0
	s_delay_alu instid0(VALU_DEP_2) | instskip(NEXT) | instid1(VALU_DEP_2)
	v_fma_f64 v[55:56], v[55:56], v[83:84], v[55:56]
	v_fma_f64 v[57:58], v[57:58], v[85:86], v[57:58]
	s_delay_alu instid0(VALU_DEP_2) | instskip(NEXT) | instid1(VALU_DEP_2)
	v_fma_f64 v[83:84], -v[41:42], v[55:56], 1.0
	v_fma_f64 v[85:86], -v[43:44], v[57:58], 1.0
	s_delay_alu instid0(VALU_DEP_2) | instskip(SKIP_1) | instid1(VALU_DEP_3)
	v_fma_f64 v[55:56], v[55:56], v[83:84], v[55:56]
	v_div_scale_f64 v[83:84], s7, v[35:36], v[47:48], v[35:36]
	v_fma_f64 v[57:58], v[57:58], v[85:86], v[57:58]
	s_delay_alu instid0(VALU_DEP_3) | instskip(NEXT) | instid1(VALU_DEP_2)
	v_mul_f64 v[85:86], v[87:88], v[55:56]
	v_mul_f64 v[89:90], v[83:84], v[57:58]
	s_delay_alu instid0(VALU_DEP_2) | instskip(NEXT) | instid1(VALU_DEP_2)
	v_fma_f64 v[41:42], -v[41:42], v[85:86], v[87:88]
	v_fma_f64 v[43:44], -v[43:44], v[89:90], v[83:84]
	s_delay_alu instid0(VALU_DEP_2) | instskip(SKIP_1) | instid1(VALU_DEP_2)
	v_div_fmas_f64 v[41:42], v[41:42], v[55:56], v[85:86]
	s_mov_b32 vcc_lo, s7
	v_div_fmas_f64 v[55:56], v[43:44], v[57:58], v[89:90]
	s_delay_alu instid0(VALU_DEP_2) | instskip(NEXT) | instid1(VALU_DEP_2)
	v_div_fixup_f64 v[43:44], v[41:42], v[45:46], v[33:34]
	v_div_fixup_f64 v[41:42], v[55:56], v[47:48], v[35:36]
.LBB128_46:                             ;   in Loop: Header=BB128_4 Depth=1
	s_or_b32 exec_lo, exec_lo, s34
.LBB128_47:                             ;   in Loop: Header=BB128_4 Depth=1
	s_and_not1_saveexec_b32 s7, s17
	s_cbranch_execz .LBB128_49
; %bb.48:                               ;   in Loop: Header=BB128_4 Depth=1
	v_div_scale_f64 v[41:42], null, v[39:40], v[39:40], v[37:38]
	v_div_scale_f64 v[57:58], vcc_lo, v[37:38], v[39:40], v[37:38]
	s_delay_alu instid0(VALU_DEP_2) | instskip(SKIP_2) | instid1(VALU_DEP_1)
	v_rcp_f64_e32 v[43:44], v[41:42]
	s_waitcnt_depctr 0xfff
	v_fma_f64 v[55:56], -v[41:42], v[43:44], 1.0
	v_fma_f64 v[43:44], v[43:44], v[55:56], v[43:44]
	s_delay_alu instid0(VALU_DEP_1) | instskip(NEXT) | instid1(VALU_DEP_1)
	v_fma_f64 v[55:56], -v[41:42], v[43:44], 1.0
	v_fma_f64 v[43:44], v[43:44], v[55:56], v[43:44]
	s_delay_alu instid0(VALU_DEP_1) | instskip(NEXT) | instid1(VALU_DEP_1)
	v_mul_f64 v[55:56], v[57:58], v[43:44]
	v_fma_f64 v[41:42], -v[41:42], v[55:56], v[57:58]
	s_delay_alu instid0(VALU_DEP_1) | instskip(NEXT) | instid1(VALU_DEP_1)
	v_div_fmas_f64 v[41:42], v[41:42], v[43:44], v[55:56]
	v_div_fixup_f64 v[41:42], v[41:42], v[39:40], v[37:38]
	s_delay_alu instid0(VALU_DEP_1) | instskip(NEXT) | instid1(VALU_DEP_1)
	v_fma_f64 v[43:44], v[37:38], v[41:42], v[39:40]
	v_div_scale_f64 v[55:56], null, v[43:44], v[43:44], 1.0
	v_div_scale_f64 v[85:86], vcc_lo, 1.0, v[43:44], 1.0
	s_delay_alu instid0(VALU_DEP_2) | instskip(SKIP_2) | instid1(VALU_DEP_1)
	v_rcp_f64_e32 v[57:58], v[55:56]
	s_waitcnt_depctr 0xfff
	v_fma_f64 v[83:84], -v[55:56], v[57:58], 1.0
	v_fma_f64 v[57:58], v[57:58], v[83:84], v[57:58]
	s_delay_alu instid0(VALU_DEP_1) | instskip(NEXT) | instid1(VALU_DEP_1)
	v_fma_f64 v[83:84], -v[55:56], v[57:58], 1.0
	v_fma_f64 v[57:58], v[57:58], v[83:84], v[57:58]
	s_delay_alu instid0(VALU_DEP_1) | instskip(NEXT) | instid1(VALU_DEP_1)
	v_mul_f64 v[83:84], v[85:86], v[57:58]
	v_fma_f64 v[55:56], -v[55:56], v[83:84], v[85:86]
	s_delay_alu instid0(VALU_DEP_1) | instskip(SKIP_2) | instid1(VALU_DEP_3)
	v_div_fmas_f64 v[55:56], v[55:56], v[57:58], v[83:84]
	v_fma_f64 v[57:58], v[33:34], v[41:42], v[35:36]
	v_fma_f64 v[41:42], v[35:36], v[41:42], -v[33:34]
	v_div_fixup_f64 v[55:56], v[55:56], v[43:44], 1.0
	s_delay_alu instid0(VALU_DEP_1) | instskip(NEXT) | instid1(VALU_DEP_3)
	v_mul_f64 v[43:44], v[57:58], v[55:56]
	v_mul_f64 v[41:42], v[41:42], v[55:56]
.LBB128_49:                             ;   in Loop: Header=BB128_4 Depth=1
	s_or_b32 exec_lo, exec_lo, s7
	s_delay_alu instid0(VALU_DEP_1) | instskip(SKIP_1) | instid1(VALU_DEP_2)
	v_mul_f64 v[55:56], s[10:11], v[41:42]
	v_mul_f64 v[57:58], s[8:9], v[41:42]
	v_fma_f64 v[41:42], s[8:9], v[43:44], -v[55:56]
	s_delay_alu instid0(VALU_DEP_2)
	v_fma_f64 v[43:44], s[10:11], v[43:44], v[57:58]
	s_branch .LBB128_60
.LBB128_50:                             ;   in Loop: Header=BB128_4 Depth=1
                                        ; implicit-def: $vgpr43_vgpr44
                                        ; implicit-def: $vgpr41_vgpr42
	s_cbranch_execz .LBB128_60
; %bb.51:                               ;   in Loop: Header=BB128_4 Depth=1
                                        ; implicit-def: $vgpr43_vgpr44
                                        ; implicit-def: $vgpr41_vgpr42
	s_delay_alu instid0(VALU_DEP_1) | instskip(NEXT) | instid1(SALU_CYCLE_1)
	s_and_saveexec_b32 s7, s6
	s_xor_b32 s7, exec_lo, s7
	s_cbranch_execz .LBB128_57
; %bb.52:                               ;   in Loop: Header=BB128_4 Depth=1
	v_cmp_neq_f64_e32 vcc_lo, 0, v[37:38]
	v_cmp_neq_f64_e64 s6, 0, v[39:40]
                                        ; implicit-def: $vgpr43_vgpr44
                                        ; implicit-def: $vgpr41_vgpr42
	s_delay_alu instid0(VALU_DEP_1) | instskip(NEXT) | instid1(SALU_CYCLE_1)
	s_or_b32 s6, s6, vcc_lo
	s_and_saveexec_b32 s17, s6
	s_delay_alu instid0(SALU_CYCLE_1)
	s_xor_b32 s6, exec_lo, s17
	s_cbranch_execz .LBB128_54
; %bb.53:                               ;   in Loop: Header=BB128_4 Depth=1
	v_div_scale_f64 v[41:42], null, v[37:38], v[37:38], v[39:40]
	v_div_scale_f64 v[47:48], vcc_lo, v[39:40], v[37:38], v[39:40]
	s_delay_alu instid0(VALU_DEP_2) | instskip(SKIP_2) | instid1(VALU_DEP_1)
	v_rcp_f64_e32 v[43:44], v[41:42]
	s_waitcnt_depctr 0xfff
	v_fma_f64 v[45:46], -v[41:42], v[43:44], 1.0
	v_fma_f64 v[43:44], v[43:44], v[45:46], v[43:44]
	s_delay_alu instid0(VALU_DEP_1) | instskip(NEXT) | instid1(VALU_DEP_1)
	v_fma_f64 v[45:46], -v[41:42], v[43:44], 1.0
	v_fma_f64 v[43:44], v[43:44], v[45:46], v[43:44]
	s_delay_alu instid0(VALU_DEP_1) | instskip(NEXT) | instid1(VALU_DEP_1)
	v_mul_f64 v[45:46], v[47:48], v[43:44]
	v_fma_f64 v[41:42], -v[41:42], v[45:46], v[47:48]
	s_delay_alu instid0(VALU_DEP_1) | instskip(NEXT) | instid1(VALU_DEP_1)
	v_div_fmas_f64 v[41:42], v[41:42], v[43:44], v[45:46]
	v_div_fixup_f64 v[41:42], v[41:42], v[37:38], v[39:40]
	s_delay_alu instid0(VALU_DEP_1) | instskip(NEXT) | instid1(VALU_DEP_1)
	v_fma_f64 v[37:38], v[39:40], v[41:42], v[37:38]
	v_div_scale_f64 v[39:40], null, v[37:38], v[37:38], 1.0
	v_div_scale_f64 v[47:48], vcc_lo, 1.0, v[37:38], 1.0
	s_delay_alu instid0(VALU_DEP_2) | instskip(SKIP_2) | instid1(VALU_DEP_1)
	v_rcp_f64_e32 v[43:44], v[39:40]
	s_waitcnt_depctr 0xfff
	v_fma_f64 v[45:46], -v[39:40], v[43:44], 1.0
	v_fma_f64 v[43:44], v[43:44], v[45:46], v[43:44]
	s_delay_alu instid0(VALU_DEP_1) | instskip(NEXT) | instid1(VALU_DEP_1)
	v_fma_f64 v[45:46], -v[39:40], v[43:44], 1.0
	v_fma_f64 v[43:44], v[43:44], v[45:46], v[43:44]
	s_delay_alu instid0(VALU_DEP_1) | instskip(NEXT) | instid1(VALU_DEP_1)
	v_mul_f64 v[45:46], v[47:48], v[43:44]
	v_fma_f64 v[39:40], -v[39:40], v[45:46], v[47:48]
                                        ; implicit-def: $vgpr47_vgpr48
	s_delay_alu instid0(VALU_DEP_1) | instskip(SKIP_2) | instid1(VALU_DEP_3)
	v_div_fmas_f64 v[39:40], v[39:40], v[43:44], v[45:46]
	v_fma_f64 v[43:44], v[35:36], v[41:42], v[33:34]
	v_fma_f64 v[33:34], -v[33:34], v[41:42], v[35:36]
                                        ; implicit-def: $vgpr45_vgpr46
	v_div_fixup_f64 v[37:38], v[39:40], v[37:38], 1.0
	s_delay_alu instid0(VALU_DEP_1) | instskip(NEXT) | instid1(VALU_DEP_3)
	v_mul_f64 v[41:42], v[43:44], v[37:38]
	v_mul_f64 v[43:44], v[33:34], v[37:38]
                                        ; implicit-def: $vgpr33_vgpr34
.LBB128_54:                             ;   in Loop: Header=BB128_4 Depth=1
	s_and_not1_saveexec_b32 s17, s6
	s_cbranch_execz .LBB128_56
; %bb.55:                               ;   in Loop: Header=BB128_4 Depth=1
	v_div_scale_f64 v[37:38], null, v[45:46], v[45:46], v[33:34]
	v_div_scale_f64 v[39:40], null, v[47:48], v[47:48], v[35:36]
	v_div_scale_f64 v[83:84], vcc_lo, v[33:34], v[45:46], v[33:34]
	s_delay_alu instid0(VALU_DEP_3) | instskip(NEXT) | instid1(VALU_DEP_2)
	v_rcp_f64_e32 v[41:42], v[37:38]
	v_rcp_f64_e32 v[43:44], v[39:40]
	s_waitcnt_depctr 0xfff
	v_fma_f64 v[55:56], -v[37:38], v[41:42], 1.0
	v_fma_f64 v[57:58], -v[39:40], v[43:44], 1.0
	s_delay_alu instid0(VALU_DEP_2) | instskip(NEXT) | instid1(VALU_DEP_2)
	v_fma_f64 v[41:42], v[41:42], v[55:56], v[41:42]
	v_fma_f64 v[43:44], v[43:44], v[57:58], v[43:44]
	s_delay_alu instid0(VALU_DEP_2) | instskip(NEXT) | instid1(VALU_DEP_2)
	v_fma_f64 v[55:56], -v[37:38], v[41:42], 1.0
	v_fma_f64 v[57:58], -v[39:40], v[43:44], 1.0
	s_delay_alu instid0(VALU_DEP_2) | instskip(SKIP_1) | instid1(VALU_DEP_3)
	v_fma_f64 v[41:42], v[41:42], v[55:56], v[41:42]
	v_div_scale_f64 v[55:56], s6, v[35:36], v[47:48], v[35:36]
	v_fma_f64 v[43:44], v[43:44], v[57:58], v[43:44]
	s_delay_alu instid0(VALU_DEP_3) | instskip(NEXT) | instid1(VALU_DEP_2)
	v_mul_f64 v[57:58], v[83:84], v[41:42]
	v_mul_f64 v[85:86], v[55:56], v[43:44]
	s_delay_alu instid0(VALU_DEP_2) | instskip(NEXT) | instid1(VALU_DEP_2)
	v_fma_f64 v[37:38], -v[37:38], v[57:58], v[83:84]
	v_fma_f64 v[39:40], -v[39:40], v[85:86], v[55:56]
	s_delay_alu instid0(VALU_DEP_2) | instskip(SKIP_1) | instid1(VALU_DEP_2)
	v_div_fmas_f64 v[37:38], v[37:38], v[41:42], v[57:58]
	s_mov_b32 vcc_lo, s6
	v_div_fmas_f64 v[39:40], v[39:40], v[43:44], v[85:86]
	s_delay_alu instid0(VALU_DEP_2) | instskip(NEXT) | instid1(VALU_DEP_2)
	v_div_fixup_f64 v[41:42], v[37:38], v[45:46], v[33:34]
	v_div_fixup_f64 v[43:44], v[39:40], v[47:48], v[35:36]
.LBB128_56:                             ;   in Loop: Header=BB128_4 Depth=1
	s_or_b32 exec_lo, exec_lo, s17
                                        ; implicit-def: $vgpr39_vgpr40
                                        ; implicit-def: $vgpr33_vgpr34
.LBB128_57:                             ;   in Loop: Header=BB128_4 Depth=1
	s_and_not1_saveexec_b32 s6, s7
	s_cbranch_execz .LBB128_59
; %bb.58:                               ;   in Loop: Header=BB128_4 Depth=1
	v_div_scale_f64 v[41:42], null, v[39:40], v[39:40], v[37:38]
	v_div_scale_f64 v[47:48], vcc_lo, v[37:38], v[39:40], v[37:38]
	s_delay_alu instid0(VALU_DEP_2) | instskip(SKIP_2) | instid1(VALU_DEP_1)
	v_rcp_f64_e32 v[43:44], v[41:42]
	s_waitcnt_depctr 0xfff
	v_fma_f64 v[45:46], -v[41:42], v[43:44], 1.0
	v_fma_f64 v[43:44], v[43:44], v[45:46], v[43:44]
	s_delay_alu instid0(VALU_DEP_1) | instskip(NEXT) | instid1(VALU_DEP_1)
	v_fma_f64 v[45:46], -v[41:42], v[43:44], 1.0
	v_fma_f64 v[43:44], v[43:44], v[45:46], v[43:44]
	s_delay_alu instid0(VALU_DEP_1) | instskip(NEXT) | instid1(VALU_DEP_1)
	v_mul_f64 v[45:46], v[47:48], v[43:44]
	v_fma_f64 v[41:42], -v[41:42], v[45:46], v[47:48]
	s_delay_alu instid0(VALU_DEP_1) | instskip(NEXT) | instid1(VALU_DEP_1)
	v_div_fmas_f64 v[41:42], v[41:42], v[43:44], v[45:46]
	v_div_fixup_f64 v[41:42], v[41:42], v[39:40], v[37:38]
	s_delay_alu instid0(VALU_DEP_1) | instskip(NEXT) | instid1(VALU_DEP_1)
	v_fma_f64 v[37:38], v[37:38], v[41:42], v[39:40]
	v_div_scale_f64 v[39:40], null, v[37:38], v[37:38], 1.0
	v_div_scale_f64 v[47:48], vcc_lo, 1.0, v[37:38], 1.0
	s_delay_alu instid0(VALU_DEP_2) | instskip(SKIP_2) | instid1(VALU_DEP_1)
	v_rcp_f64_e32 v[43:44], v[39:40]
	s_waitcnt_depctr 0xfff
	v_fma_f64 v[45:46], -v[39:40], v[43:44], 1.0
	v_fma_f64 v[43:44], v[43:44], v[45:46], v[43:44]
	s_delay_alu instid0(VALU_DEP_1) | instskip(NEXT) | instid1(VALU_DEP_1)
	v_fma_f64 v[45:46], -v[39:40], v[43:44], 1.0
	v_fma_f64 v[43:44], v[43:44], v[45:46], v[43:44]
	s_delay_alu instid0(VALU_DEP_1) | instskip(NEXT) | instid1(VALU_DEP_1)
	v_mul_f64 v[45:46], v[47:48], v[43:44]
	v_fma_f64 v[39:40], -v[39:40], v[45:46], v[47:48]
	s_delay_alu instid0(VALU_DEP_1) | instskip(SKIP_2) | instid1(VALU_DEP_3)
	v_div_fmas_f64 v[39:40], v[39:40], v[43:44], v[45:46]
	v_fma_f64 v[43:44], v[33:34], v[41:42], v[35:36]
	v_fma_f64 v[33:34], v[35:36], v[41:42], -v[33:34]
	v_div_fixup_f64 v[37:38], v[39:40], v[37:38], 1.0
	s_delay_alu instid0(VALU_DEP_1) | instskip(NEXT) | instid1(VALU_DEP_3)
	v_mul_f64 v[41:42], v[43:44], v[37:38]
	v_mul_f64 v[43:44], v[33:34], v[37:38]
.LBB128_59:                             ;   in Loop: Header=BB128_4 Depth=1
	s_or_b32 exec_lo, exec_lo, s6
.LBB128_60:                             ;   in Loop: Header=BB128_4 Depth=1
	v_cmp_gt_f64_e32 vcc_lo, 0, v[29:30]
	v_cmp_gt_f64_e64 s6, 0, v[31:32]
	v_xor_b32_e32 v33, 0x80000000, v30
	v_xor_b32_e32 v34, 0x80000000, v32
	s_delay_alu instid0(VALU_DEP_2) | instskip(NEXT) | instid1(VALU_DEP_2)
	v_cndmask_b32_e32 v38, v30, v33, vcc_lo
	v_cndmask_b32_e64 v40, v32, v34, s6
	v_cndmask_b32_e32 v37, v29, v29, vcc_lo
	v_cndmask_b32_e64 v39, v31, v31, s6
	s_and_not1_b32 vcc_lo, exec_lo, s31
	s_delay_alu instid0(VALU_DEP_1)
	v_cmp_ge_f64_e64 s6, v[37:38], v[39:40]
	s_cbranch_vccnz .LBB128_70
; %bb.61:                               ;   in Loop: Header=BB128_4 Depth=1
                                        ; implicit-def: $vgpr33_vgpr34
                                        ; implicit-def: $vgpr35_vgpr36
	s_delay_alu instid0(VALU_DEP_1) | instskip(NEXT) | instid1(SALU_CYCLE_1)
	s_and_saveexec_b32 s7, s6
	s_xor_b32 s17, exec_lo, s7
	s_cbranch_execz .LBB128_67
; %bb.62:                               ;   in Loop: Header=BB128_4 Depth=1
	v_cmp_neq_f64_e32 vcc_lo, 0, v[29:30]
	v_cmp_neq_f64_e64 s7, 0, v[31:32]
                                        ; implicit-def: $vgpr33_vgpr34
                                        ; implicit-def: $vgpr35_vgpr36
	s_delay_alu instid0(VALU_DEP_1) | instskip(NEXT) | instid1(SALU_CYCLE_1)
	s_or_b32 s7, s7, vcc_lo
	s_and_saveexec_b32 s34, s7
	s_delay_alu instid0(SALU_CYCLE_1)
	s_xor_b32 s7, exec_lo, s34
	s_cbranch_execz .LBB128_64
; %bb.63:                               ;   in Loop: Header=BB128_4 Depth=1
	v_div_scale_f64 v[33:34], null, v[29:30], v[29:30], v[31:32]
	v_div_scale_f64 v[47:48], vcc_lo, v[31:32], v[29:30], v[31:32]
	s_delay_alu instid0(VALU_DEP_2) | instskip(SKIP_2) | instid1(VALU_DEP_1)
	v_rcp_f64_e32 v[35:36], v[33:34]
	s_waitcnt_depctr 0xfff
	v_fma_f64 v[45:46], -v[33:34], v[35:36], 1.0
	v_fma_f64 v[35:36], v[35:36], v[45:46], v[35:36]
	s_delay_alu instid0(VALU_DEP_1) | instskip(NEXT) | instid1(VALU_DEP_1)
	v_fma_f64 v[45:46], -v[33:34], v[35:36], 1.0
	v_fma_f64 v[35:36], v[35:36], v[45:46], v[35:36]
	s_delay_alu instid0(VALU_DEP_1) | instskip(NEXT) | instid1(VALU_DEP_1)
	v_mul_f64 v[45:46], v[47:48], v[35:36]
	v_fma_f64 v[33:34], -v[33:34], v[45:46], v[47:48]
	s_delay_alu instid0(VALU_DEP_1) | instskip(NEXT) | instid1(VALU_DEP_1)
	v_div_fmas_f64 v[33:34], v[33:34], v[35:36], v[45:46]
	v_div_fixup_f64 v[33:34], v[33:34], v[29:30], v[31:32]
	s_delay_alu instid0(VALU_DEP_1) | instskip(NEXT) | instid1(VALU_DEP_1)
	v_fma_f64 v[35:36], v[31:32], v[33:34], v[29:30]
	v_div_scale_f64 v[45:46], null, v[35:36], v[35:36], 1.0
	v_div_scale_f64 v[57:58], vcc_lo, 1.0, v[35:36], 1.0
	s_delay_alu instid0(VALU_DEP_2) | instskip(SKIP_2) | instid1(VALU_DEP_1)
	v_rcp_f64_e32 v[47:48], v[45:46]
	s_waitcnt_depctr 0xfff
	v_fma_f64 v[55:56], -v[45:46], v[47:48], 1.0
	v_fma_f64 v[47:48], v[47:48], v[55:56], v[47:48]
	s_delay_alu instid0(VALU_DEP_1) | instskip(NEXT) | instid1(VALU_DEP_1)
	v_fma_f64 v[55:56], -v[45:46], v[47:48], 1.0
	v_fma_f64 v[47:48], v[47:48], v[55:56], v[47:48]
	s_delay_alu instid0(VALU_DEP_1) | instskip(NEXT) | instid1(VALU_DEP_1)
	v_mul_f64 v[55:56], v[57:58], v[47:48]
	v_fma_f64 v[45:46], -v[45:46], v[55:56], v[57:58]
	s_delay_alu instid0(VALU_DEP_1) | instskip(SKIP_2) | instid1(VALU_DEP_3)
	v_div_fmas_f64 v[45:46], v[45:46], v[47:48], v[55:56]
	v_fma_f64 v[47:48], v[27:28], v[33:34], v[25:26]
	v_fma_f64 v[33:34], -v[25:26], v[33:34], v[27:28]
	v_div_fixup_f64 v[45:46], v[45:46], v[35:36], 1.0
	s_delay_alu instid0(VALU_DEP_1) | instskip(NEXT) | instid1(VALU_DEP_3)
	v_mul_f64 v[35:36], v[47:48], v[45:46]
	v_mul_f64 v[33:34], v[33:34], v[45:46]
.LBB128_64:                             ;   in Loop: Header=BB128_4 Depth=1
	s_and_not1_saveexec_b32 s34, s7
	s_cbranch_execz .LBB128_66
; %bb.65:                               ;   in Loop: Header=BB128_4 Depth=1
	v_div_scale_f64 v[33:34], null, v[37:38], v[37:38], v[25:26]
	v_div_scale_f64 v[35:36], null, v[39:40], v[39:40], v[27:28]
	v_div_scale_f64 v[83:84], vcc_lo, v[25:26], v[37:38], v[25:26]
	s_delay_alu instid0(VALU_DEP_3) | instskip(NEXT) | instid1(VALU_DEP_2)
	v_rcp_f64_e32 v[45:46], v[33:34]
	v_rcp_f64_e32 v[47:48], v[35:36]
	s_waitcnt_depctr 0xfff
	v_fma_f64 v[55:56], -v[33:34], v[45:46], 1.0
	v_fma_f64 v[57:58], -v[35:36], v[47:48], 1.0
	s_delay_alu instid0(VALU_DEP_2) | instskip(NEXT) | instid1(VALU_DEP_2)
	v_fma_f64 v[45:46], v[45:46], v[55:56], v[45:46]
	v_fma_f64 v[47:48], v[47:48], v[57:58], v[47:48]
	s_delay_alu instid0(VALU_DEP_2) | instskip(NEXT) | instid1(VALU_DEP_2)
	v_fma_f64 v[55:56], -v[33:34], v[45:46], 1.0
	v_fma_f64 v[57:58], -v[35:36], v[47:48], 1.0
	s_delay_alu instid0(VALU_DEP_2) | instskip(SKIP_1) | instid1(VALU_DEP_3)
	v_fma_f64 v[45:46], v[45:46], v[55:56], v[45:46]
	v_div_scale_f64 v[55:56], s7, v[27:28], v[39:40], v[27:28]
	v_fma_f64 v[47:48], v[47:48], v[57:58], v[47:48]
	s_delay_alu instid0(VALU_DEP_3) | instskip(NEXT) | instid1(VALU_DEP_2)
	v_mul_f64 v[57:58], v[83:84], v[45:46]
	v_mul_f64 v[85:86], v[55:56], v[47:48]
	s_delay_alu instid0(VALU_DEP_2) | instskip(NEXT) | instid1(VALU_DEP_2)
	v_fma_f64 v[33:34], -v[33:34], v[57:58], v[83:84]
	v_fma_f64 v[35:36], -v[35:36], v[85:86], v[55:56]
	s_delay_alu instid0(VALU_DEP_2) | instskip(SKIP_1) | instid1(VALU_DEP_2)
	v_div_fmas_f64 v[33:34], v[33:34], v[45:46], v[57:58]
	s_mov_b32 vcc_lo, s7
	v_div_fmas_f64 v[45:46], v[35:36], v[47:48], v[85:86]
	s_delay_alu instid0(VALU_DEP_2) | instskip(NEXT) | instid1(VALU_DEP_2)
	v_div_fixup_f64 v[35:36], v[33:34], v[37:38], v[25:26]
	v_div_fixup_f64 v[33:34], v[45:46], v[39:40], v[27:28]
.LBB128_66:                             ;   in Loop: Header=BB128_4 Depth=1
	s_or_b32 exec_lo, exec_lo, s34
.LBB128_67:                             ;   in Loop: Header=BB128_4 Depth=1
	s_and_not1_saveexec_b32 s7, s17
	s_cbranch_execz .LBB128_69
; %bb.68:                               ;   in Loop: Header=BB128_4 Depth=1
	v_div_scale_f64 v[33:34], null, v[31:32], v[31:32], v[29:30]
	v_div_scale_f64 v[47:48], vcc_lo, v[29:30], v[31:32], v[29:30]
	s_delay_alu instid0(VALU_DEP_2) | instskip(SKIP_2) | instid1(VALU_DEP_1)
	v_rcp_f64_e32 v[35:36], v[33:34]
	s_waitcnt_depctr 0xfff
	v_fma_f64 v[45:46], -v[33:34], v[35:36], 1.0
	v_fma_f64 v[35:36], v[35:36], v[45:46], v[35:36]
	s_delay_alu instid0(VALU_DEP_1) | instskip(NEXT) | instid1(VALU_DEP_1)
	v_fma_f64 v[45:46], -v[33:34], v[35:36], 1.0
	v_fma_f64 v[35:36], v[35:36], v[45:46], v[35:36]
	s_delay_alu instid0(VALU_DEP_1) | instskip(NEXT) | instid1(VALU_DEP_1)
	v_mul_f64 v[45:46], v[47:48], v[35:36]
	v_fma_f64 v[33:34], -v[33:34], v[45:46], v[47:48]
	s_delay_alu instid0(VALU_DEP_1) | instskip(NEXT) | instid1(VALU_DEP_1)
	v_div_fmas_f64 v[33:34], v[33:34], v[35:36], v[45:46]
	v_div_fixup_f64 v[33:34], v[33:34], v[31:32], v[29:30]
	s_delay_alu instid0(VALU_DEP_1) | instskip(NEXT) | instid1(VALU_DEP_1)
	v_fma_f64 v[35:36], v[29:30], v[33:34], v[31:32]
	v_div_scale_f64 v[45:46], null, v[35:36], v[35:36], 1.0
	v_div_scale_f64 v[57:58], vcc_lo, 1.0, v[35:36], 1.0
	s_delay_alu instid0(VALU_DEP_2) | instskip(SKIP_2) | instid1(VALU_DEP_1)
	v_rcp_f64_e32 v[47:48], v[45:46]
	s_waitcnt_depctr 0xfff
	v_fma_f64 v[55:56], -v[45:46], v[47:48], 1.0
	v_fma_f64 v[47:48], v[47:48], v[55:56], v[47:48]
	s_delay_alu instid0(VALU_DEP_1) | instskip(NEXT) | instid1(VALU_DEP_1)
	v_fma_f64 v[55:56], -v[45:46], v[47:48], 1.0
	v_fma_f64 v[47:48], v[47:48], v[55:56], v[47:48]
	s_delay_alu instid0(VALU_DEP_1) | instskip(NEXT) | instid1(VALU_DEP_1)
	v_mul_f64 v[55:56], v[57:58], v[47:48]
	v_fma_f64 v[45:46], -v[45:46], v[55:56], v[57:58]
	s_delay_alu instid0(VALU_DEP_1) | instskip(SKIP_2) | instid1(VALU_DEP_3)
	v_div_fmas_f64 v[45:46], v[45:46], v[47:48], v[55:56]
	v_fma_f64 v[47:48], v[25:26], v[33:34], v[27:28]
	v_fma_f64 v[33:34], v[27:28], v[33:34], -v[25:26]
	v_div_fixup_f64 v[45:46], v[45:46], v[35:36], 1.0
	s_delay_alu instid0(VALU_DEP_1) | instskip(NEXT) | instid1(VALU_DEP_3)
	v_mul_f64 v[35:36], v[47:48], v[45:46]
	v_mul_f64 v[33:34], v[33:34], v[45:46]
.LBB128_69:                             ;   in Loop: Header=BB128_4 Depth=1
	s_or_b32 exec_lo, exec_lo, s7
	s_delay_alu instid0(VALU_DEP_1) | instskip(SKIP_1) | instid1(VALU_DEP_2)
	v_mul_f64 v[45:46], s[10:11], v[33:34]
	v_mul_f64 v[47:48], s[8:9], v[33:34]
	v_fma_f64 v[33:34], s[8:9], v[35:36], -v[45:46]
	s_delay_alu instid0(VALU_DEP_2)
	v_fma_f64 v[35:36], s[10:11], v[35:36], v[47:48]
	s_branch .LBB128_80
.LBB128_70:                             ;   in Loop: Header=BB128_4 Depth=1
                                        ; implicit-def: $vgpr35_vgpr36
                                        ; implicit-def: $vgpr33_vgpr34
	s_cbranch_execz .LBB128_80
; %bb.71:                               ;   in Loop: Header=BB128_4 Depth=1
                                        ; implicit-def: $vgpr35_vgpr36
                                        ; implicit-def: $vgpr33_vgpr34
	s_delay_alu instid0(VALU_DEP_1) | instskip(NEXT) | instid1(SALU_CYCLE_1)
	s_and_saveexec_b32 s7, s6
	s_xor_b32 s7, exec_lo, s7
	s_cbranch_execz .LBB128_77
; %bb.72:                               ;   in Loop: Header=BB128_4 Depth=1
	v_cmp_neq_f64_e32 vcc_lo, 0, v[29:30]
	v_cmp_neq_f64_e64 s6, 0, v[31:32]
                                        ; implicit-def: $vgpr35_vgpr36
                                        ; implicit-def: $vgpr33_vgpr34
	s_delay_alu instid0(VALU_DEP_1) | instskip(NEXT) | instid1(SALU_CYCLE_1)
	s_or_b32 s6, s6, vcc_lo
	s_and_saveexec_b32 s17, s6
	s_delay_alu instid0(SALU_CYCLE_1)
	s_xor_b32 s6, exec_lo, s17
	s_cbranch_execz .LBB128_74
; %bb.73:                               ;   in Loop: Header=BB128_4 Depth=1
	v_div_scale_f64 v[33:34], null, v[29:30], v[29:30], v[31:32]
	v_div_scale_f64 v[39:40], vcc_lo, v[31:32], v[29:30], v[31:32]
	s_delay_alu instid0(VALU_DEP_2) | instskip(SKIP_2) | instid1(VALU_DEP_1)
	v_rcp_f64_e32 v[35:36], v[33:34]
	s_waitcnt_depctr 0xfff
	v_fma_f64 v[37:38], -v[33:34], v[35:36], 1.0
	v_fma_f64 v[35:36], v[35:36], v[37:38], v[35:36]
	s_delay_alu instid0(VALU_DEP_1) | instskip(NEXT) | instid1(VALU_DEP_1)
	v_fma_f64 v[37:38], -v[33:34], v[35:36], 1.0
	v_fma_f64 v[35:36], v[35:36], v[37:38], v[35:36]
	s_delay_alu instid0(VALU_DEP_1) | instskip(NEXT) | instid1(VALU_DEP_1)
	v_mul_f64 v[37:38], v[39:40], v[35:36]
	v_fma_f64 v[33:34], -v[33:34], v[37:38], v[39:40]
	s_delay_alu instid0(VALU_DEP_1) | instskip(NEXT) | instid1(VALU_DEP_1)
	v_div_fmas_f64 v[33:34], v[33:34], v[35:36], v[37:38]
	v_div_fixup_f64 v[33:34], v[33:34], v[29:30], v[31:32]
	s_delay_alu instid0(VALU_DEP_1) | instskip(NEXT) | instid1(VALU_DEP_1)
	v_fma_f64 v[29:30], v[31:32], v[33:34], v[29:30]
	v_div_scale_f64 v[31:32], null, v[29:30], v[29:30], 1.0
	v_div_scale_f64 v[39:40], vcc_lo, 1.0, v[29:30], 1.0
	s_delay_alu instid0(VALU_DEP_2) | instskip(SKIP_2) | instid1(VALU_DEP_1)
	v_rcp_f64_e32 v[35:36], v[31:32]
	s_waitcnt_depctr 0xfff
	v_fma_f64 v[37:38], -v[31:32], v[35:36], 1.0
	v_fma_f64 v[35:36], v[35:36], v[37:38], v[35:36]
	s_delay_alu instid0(VALU_DEP_1) | instskip(NEXT) | instid1(VALU_DEP_1)
	v_fma_f64 v[37:38], -v[31:32], v[35:36], 1.0
	v_fma_f64 v[35:36], v[35:36], v[37:38], v[35:36]
	s_delay_alu instid0(VALU_DEP_1) | instskip(NEXT) | instid1(VALU_DEP_1)
	v_mul_f64 v[37:38], v[39:40], v[35:36]
	v_fma_f64 v[31:32], -v[31:32], v[37:38], v[39:40]
                                        ; implicit-def: $vgpr39_vgpr40
	s_delay_alu instid0(VALU_DEP_1) | instskip(SKIP_2) | instid1(VALU_DEP_3)
	v_div_fmas_f64 v[31:32], v[31:32], v[35:36], v[37:38]
	v_fma_f64 v[35:36], v[27:28], v[33:34], v[25:26]
	v_fma_f64 v[25:26], -v[25:26], v[33:34], v[27:28]
                                        ; implicit-def: $vgpr37_vgpr38
	v_div_fixup_f64 v[29:30], v[31:32], v[29:30], 1.0
	s_delay_alu instid0(VALU_DEP_1) | instskip(NEXT) | instid1(VALU_DEP_3)
	v_mul_f64 v[33:34], v[35:36], v[29:30]
	v_mul_f64 v[35:36], v[25:26], v[29:30]
                                        ; implicit-def: $vgpr25_vgpr26
.LBB128_74:                             ;   in Loop: Header=BB128_4 Depth=1
	s_and_not1_saveexec_b32 s17, s6
	s_cbranch_execz .LBB128_76
; %bb.75:                               ;   in Loop: Header=BB128_4 Depth=1
	v_div_scale_f64 v[29:30], null, v[37:38], v[37:38], v[25:26]
	v_div_scale_f64 v[31:32], null, v[39:40], v[39:40], v[27:28]
	v_div_scale_f64 v[55:56], vcc_lo, v[25:26], v[37:38], v[25:26]
	s_delay_alu instid0(VALU_DEP_3) | instskip(NEXT) | instid1(VALU_DEP_2)
	v_rcp_f64_e32 v[33:34], v[29:30]
	v_rcp_f64_e32 v[35:36], v[31:32]
	s_waitcnt_depctr 0xfff
	v_fma_f64 v[45:46], -v[29:30], v[33:34], 1.0
	v_fma_f64 v[47:48], -v[31:32], v[35:36], 1.0
	s_delay_alu instid0(VALU_DEP_2) | instskip(NEXT) | instid1(VALU_DEP_2)
	v_fma_f64 v[33:34], v[33:34], v[45:46], v[33:34]
	v_fma_f64 v[35:36], v[35:36], v[47:48], v[35:36]
	s_delay_alu instid0(VALU_DEP_2) | instskip(NEXT) | instid1(VALU_DEP_2)
	v_fma_f64 v[45:46], -v[29:30], v[33:34], 1.0
	v_fma_f64 v[47:48], -v[31:32], v[35:36], 1.0
	s_delay_alu instid0(VALU_DEP_2) | instskip(SKIP_1) | instid1(VALU_DEP_3)
	v_fma_f64 v[33:34], v[33:34], v[45:46], v[33:34]
	v_div_scale_f64 v[45:46], s6, v[27:28], v[39:40], v[27:28]
	v_fma_f64 v[35:36], v[35:36], v[47:48], v[35:36]
	s_delay_alu instid0(VALU_DEP_3) | instskip(NEXT) | instid1(VALU_DEP_2)
	v_mul_f64 v[47:48], v[55:56], v[33:34]
	v_mul_f64 v[57:58], v[45:46], v[35:36]
	s_delay_alu instid0(VALU_DEP_2) | instskip(NEXT) | instid1(VALU_DEP_2)
	v_fma_f64 v[29:30], -v[29:30], v[47:48], v[55:56]
	v_fma_f64 v[31:32], -v[31:32], v[57:58], v[45:46]
	s_delay_alu instid0(VALU_DEP_2) | instskip(SKIP_1) | instid1(VALU_DEP_2)
	v_div_fmas_f64 v[29:30], v[29:30], v[33:34], v[47:48]
	s_mov_b32 vcc_lo, s6
	v_div_fmas_f64 v[31:32], v[31:32], v[35:36], v[57:58]
	s_delay_alu instid0(VALU_DEP_2) | instskip(NEXT) | instid1(VALU_DEP_2)
	v_div_fixup_f64 v[33:34], v[29:30], v[37:38], v[25:26]
	v_div_fixup_f64 v[35:36], v[31:32], v[39:40], v[27:28]
.LBB128_76:                             ;   in Loop: Header=BB128_4 Depth=1
	s_or_b32 exec_lo, exec_lo, s17
                                        ; implicit-def: $vgpr31_vgpr32
                                        ; implicit-def: $vgpr25_vgpr26
.LBB128_77:                             ;   in Loop: Header=BB128_4 Depth=1
	s_and_not1_saveexec_b32 s6, s7
	s_cbranch_execz .LBB128_79
; %bb.78:                               ;   in Loop: Header=BB128_4 Depth=1
	v_div_scale_f64 v[33:34], null, v[31:32], v[31:32], v[29:30]
	v_div_scale_f64 v[39:40], vcc_lo, v[29:30], v[31:32], v[29:30]
	s_delay_alu instid0(VALU_DEP_2) | instskip(SKIP_2) | instid1(VALU_DEP_1)
	v_rcp_f64_e32 v[35:36], v[33:34]
	s_waitcnt_depctr 0xfff
	v_fma_f64 v[37:38], -v[33:34], v[35:36], 1.0
	v_fma_f64 v[35:36], v[35:36], v[37:38], v[35:36]
	s_delay_alu instid0(VALU_DEP_1) | instskip(NEXT) | instid1(VALU_DEP_1)
	v_fma_f64 v[37:38], -v[33:34], v[35:36], 1.0
	v_fma_f64 v[35:36], v[35:36], v[37:38], v[35:36]
	s_delay_alu instid0(VALU_DEP_1) | instskip(NEXT) | instid1(VALU_DEP_1)
	v_mul_f64 v[37:38], v[39:40], v[35:36]
	v_fma_f64 v[33:34], -v[33:34], v[37:38], v[39:40]
	s_delay_alu instid0(VALU_DEP_1) | instskip(NEXT) | instid1(VALU_DEP_1)
	v_div_fmas_f64 v[33:34], v[33:34], v[35:36], v[37:38]
	v_div_fixup_f64 v[33:34], v[33:34], v[31:32], v[29:30]
	s_delay_alu instid0(VALU_DEP_1) | instskip(NEXT) | instid1(VALU_DEP_1)
	v_fma_f64 v[29:30], v[29:30], v[33:34], v[31:32]
	v_div_scale_f64 v[31:32], null, v[29:30], v[29:30], 1.0
	v_div_scale_f64 v[39:40], vcc_lo, 1.0, v[29:30], 1.0
	s_delay_alu instid0(VALU_DEP_2) | instskip(SKIP_2) | instid1(VALU_DEP_1)
	v_rcp_f64_e32 v[35:36], v[31:32]
	s_waitcnt_depctr 0xfff
	v_fma_f64 v[37:38], -v[31:32], v[35:36], 1.0
	v_fma_f64 v[35:36], v[35:36], v[37:38], v[35:36]
	s_delay_alu instid0(VALU_DEP_1) | instskip(NEXT) | instid1(VALU_DEP_1)
	v_fma_f64 v[37:38], -v[31:32], v[35:36], 1.0
	v_fma_f64 v[35:36], v[35:36], v[37:38], v[35:36]
	s_delay_alu instid0(VALU_DEP_1) | instskip(NEXT) | instid1(VALU_DEP_1)
	v_mul_f64 v[37:38], v[39:40], v[35:36]
	v_fma_f64 v[31:32], -v[31:32], v[37:38], v[39:40]
	s_delay_alu instid0(VALU_DEP_1) | instskip(SKIP_2) | instid1(VALU_DEP_3)
	v_div_fmas_f64 v[31:32], v[31:32], v[35:36], v[37:38]
	v_fma_f64 v[35:36], v[25:26], v[33:34], v[27:28]
	v_fma_f64 v[25:26], v[27:28], v[33:34], -v[25:26]
	v_div_fixup_f64 v[29:30], v[31:32], v[29:30], 1.0
	s_delay_alu instid0(VALU_DEP_1) | instskip(NEXT) | instid1(VALU_DEP_3)
	v_mul_f64 v[33:34], v[35:36], v[29:30]
	v_mul_f64 v[35:36], v[25:26], v[29:30]
.LBB128_79:                             ;   in Loop: Header=BB128_4 Depth=1
	s_or_b32 exec_lo, exec_lo, s6
.LBB128_80:                             ;   in Loop: Header=BB128_4 Depth=1
	v_cmp_gt_f64_e32 vcc_lo, 0, v[21:22]
	v_cmp_gt_f64_e64 s6, 0, v[23:24]
	v_xor_b32_e32 v25, 0x80000000, v22
	v_xor_b32_e32 v27, 0x80000000, v24
	s_delay_alu instid0(VALU_DEP_2) | instskip(NEXT) | instid1(VALU_DEP_2)
	v_cndmask_b32_e32 v26, v22, v25, vcc_lo
	v_cndmask_b32_e64 v28, v24, v27, s6
	v_cndmask_b32_e32 v25, v21, v21, vcc_lo
	v_cndmask_b32_e64 v27, v23, v23, s6
	s_and_not1_b32 vcc_lo, exec_lo, s31
	s_delay_alu instid0(VALU_DEP_1)
	v_cmp_ge_f64_e64 s6, v[25:26], v[27:28]
	s_cbranch_vccnz .LBB128_90
; %bb.81:                               ;   in Loop: Header=BB128_4 Depth=1
                                        ; implicit-def: $vgpr29_vgpr30
                                        ; implicit-def: $vgpr31_vgpr32
	s_delay_alu instid0(VALU_DEP_1) | instskip(NEXT) | instid1(SALU_CYCLE_1)
	s_and_saveexec_b32 s7, s6
	s_xor_b32 s17, exec_lo, s7
	s_cbranch_execz .LBB128_87
; %bb.82:                               ;   in Loop: Header=BB128_4 Depth=1
	v_cmp_neq_f64_e32 vcc_lo, 0, v[21:22]
	v_cmp_neq_f64_e64 s7, 0, v[23:24]
                                        ; implicit-def: $vgpr29_vgpr30
                                        ; implicit-def: $vgpr31_vgpr32
	s_delay_alu instid0(VALU_DEP_1) | instskip(NEXT) | instid1(SALU_CYCLE_1)
	s_or_b32 s7, s7, vcc_lo
	s_and_saveexec_b32 s34, s7
	s_delay_alu instid0(SALU_CYCLE_1)
	s_xor_b32 s7, exec_lo, s34
	s_cbranch_execz .LBB128_84
; %bb.83:                               ;   in Loop: Header=BB128_4 Depth=1
	v_div_scale_f64 v[29:30], null, v[21:22], v[21:22], v[23:24]
	v_div_scale_f64 v[39:40], vcc_lo, v[23:24], v[21:22], v[23:24]
	s_delay_alu instid0(VALU_DEP_2) | instskip(SKIP_2) | instid1(VALU_DEP_1)
	v_rcp_f64_e32 v[31:32], v[29:30]
	s_waitcnt_depctr 0xfff
	v_fma_f64 v[37:38], -v[29:30], v[31:32], 1.0
	v_fma_f64 v[31:32], v[31:32], v[37:38], v[31:32]
	s_delay_alu instid0(VALU_DEP_1) | instskip(NEXT) | instid1(VALU_DEP_1)
	v_fma_f64 v[37:38], -v[29:30], v[31:32], 1.0
	v_fma_f64 v[31:32], v[31:32], v[37:38], v[31:32]
	s_delay_alu instid0(VALU_DEP_1) | instskip(NEXT) | instid1(VALU_DEP_1)
	v_mul_f64 v[37:38], v[39:40], v[31:32]
	v_fma_f64 v[29:30], -v[29:30], v[37:38], v[39:40]
	s_delay_alu instid0(VALU_DEP_1) | instskip(NEXT) | instid1(VALU_DEP_1)
	v_div_fmas_f64 v[29:30], v[29:30], v[31:32], v[37:38]
	v_div_fixup_f64 v[29:30], v[29:30], v[21:22], v[23:24]
	s_delay_alu instid0(VALU_DEP_1) | instskip(NEXT) | instid1(VALU_DEP_1)
	v_fma_f64 v[31:32], v[23:24], v[29:30], v[21:22]
	v_div_scale_f64 v[37:38], null, v[31:32], v[31:32], 1.0
	v_div_scale_f64 v[47:48], vcc_lo, 1.0, v[31:32], 1.0
	s_delay_alu instid0(VALU_DEP_2) | instskip(SKIP_2) | instid1(VALU_DEP_1)
	v_rcp_f64_e32 v[39:40], v[37:38]
	s_waitcnt_depctr 0xfff
	v_fma_f64 v[45:46], -v[37:38], v[39:40], 1.0
	v_fma_f64 v[39:40], v[39:40], v[45:46], v[39:40]
	s_delay_alu instid0(VALU_DEP_1) | instskip(NEXT) | instid1(VALU_DEP_1)
	v_fma_f64 v[45:46], -v[37:38], v[39:40], 1.0
	v_fma_f64 v[39:40], v[39:40], v[45:46], v[39:40]
	s_delay_alu instid0(VALU_DEP_1) | instskip(NEXT) | instid1(VALU_DEP_1)
	v_mul_f64 v[45:46], v[47:48], v[39:40]
	v_fma_f64 v[37:38], -v[37:38], v[45:46], v[47:48]
	s_delay_alu instid0(VALU_DEP_1) | instskip(SKIP_2) | instid1(VALU_DEP_3)
	v_div_fmas_f64 v[37:38], v[37:38], v[39:40], v[45:46]
	v_fma_f64 v[39:40], v[19:20], v[29:30], v[17:18]
	v_fma_f64 v[29:30], -v[17:18], v[29:30], v[19:20]
	v_div_fixup_f64 v[37:38], v[37:38], v[31:32], 1.0
	s_delay_alu instid0(VALU_DEP_1) | instskip(NEXT) | instid1(VALU_DEP_3)
	v_mul_f64 v[31:32], v[39:40], v[37:38]
	v_mul_f64 v[29:30], v[29:30], v[37:38]
.LBB128_84:                             ;   in Loop: Header=BB128_4 Depth=1
	s_and_not1_saveexec_b32 s34, s7
	s_cbranch_execz .LBB128_86
; %bb.85:                               ;   in Loop: Header=BB128_4 Depth=1
	v_div_scale_f64 v[29:30], null, v[25:26], v[25:26], v[17:18]
	v_div_scale_f64 v[31:32], null, v[27:28], v[27:28], v[19:20]
	v_div_scale_f64 v[55:56], vcc_lo, v[17:18], v[25:26], v[17:18]
	s_delay_alu instid0(VALU_DEP_3) | instskip(NEXT) | instid1(VALU_DEP_2)
	v_rcp_f64_e32 v[37:38], v[29:30]
	v_rcp_f64_e32 v[39:40], v[31:32]
	s_waitcnt_depctr 0xfff
	v_fma_f64 v[45:46], -v[29:30], v[37:38], 1.0
	v_fma_f64 v[47:48], -v[31:32], v[39:40], 1.0
	s_delay_alu instid0(VALU_DEP_2) | instskip(NEXT) | instid1(VALU_DEP_2)
	v_fma_f64 v[37:38], v[37:38], v[45:46], v[37:38]
	v_fma_f64 v[39:40], v[39:40], v[47:48], v[39:40]
	s_delay_alu instid0(VALU_DEP_2) | instskip(NEXT) | instid1(VALU_DEP_2)
	v_fma_f64 v[45:46], -v[29:30], v[37:38], 1.0
	v_fma_f64 v[47:48], -v[31:32], v[39:40], 1.0
	s_delay_alu instid0(VALU_DEP_2) | instskip(SKIP_1) | instid1(VALU_DEP_3)
	v_fma_f64 v[37:38], v[37:38], v[45:46], v[37:38]
	v_div_scale_f64 v[45:46], s7, v[19:20], v[27:28], v[19:20]
	v_fma_f64 v[39:40], v[39:40], v[47:48], v[39:40]
	s_delay_alu instid0(VALU_DEP_3) | instskip(NEXT) | instid1(VALU_DEP_2)
	v_mul_f64 v[47:48], v[55:56], v[37:38]
	v_mul_f64 v[57:58], v[45:46], v[39:40]
	s_delay_alu instid0(VALU_DEP_2) | instskip(NEXT) | instid1(VALU_DEP_2)
	v_fma_f64 v[29:30], -v[29:30], v[47:48], v[55:56]
	v_fma_f64 v[31:32], -v[31:32], v[57:58], v[45:46]
	s_delay_alu instid0(VALU_DEP_2) | instskip(SKIP_1) | instid1(VALU_DEP_2)
	v_div_fmas_f64 v[29:30], v[29:30], v[37:38], v[47:48]
	s_mov_b32 vcc_lo, s7
	v_div_fmas_f64 v[37:38], v[31:32], v[39:40], v[57:58]
	s_delay_alu instid0(VALU_DEP_2) | instskip(NEXT) | instid1(VALU_DEP_2)
	v_div_fixup_f64 v[31:32], v[29:30], v[25:26], v[17:18]
	v_div_fixup_f64 v[29:30], v[37:38], v[27:28], v[19:20]
.LBB128_86:                             ;   in Loop: Header=BB128_4 Depth=1
	s_or_b32 exec_lo, exec_lo, s34
.LBB128_87:                             ;   in Loop: Header=BB128_4 Depth=1
	s_and_not1_saveexec_b32 s7, s17
	s_cbranch_execz .LBB128_89
; %bb.88:                               ;   in Loop: Header=BB128_4 Depth=1
	v_div_scale_f64 v[29:30], null, v[23:24], v[23:24], v[21:22]
	v_div_scale_f64 v[39:40], vcc_lo, v[21:22], v[23:24], v[21:22]
	s_delay_alu instid0(VALU_DEP_2) | instskip(SKIP_2) | instid1(VALU_DEP_1)
	v_rcp_f64_e32 v[31:32], v[29:30]
	s_waitcnt_depctr 0xfff
	v_fma_f64 v[37:38], -v[29:30], v[31:32], 1.0
	v_fma_f64 v[31:32], v[31:32], v[37:38], v[31:32]
	s_delay_alu instid0(VALU_DEP_1) | instskip(NEXT) | instid1(VALU_DEP_1)
	v_fma_f64 v[37:38], -v[29:30], v[31:32], 1.0
	v_fma_f64 v[31:32], v[31:32], v[37:38], v[31:32]
	s_delay_alu instid0(VALU_DEP_1) | instskip(NEXT) | instid1(VALU_DEP_1)
	v_mul_f64 v[37:38], v[39:40], v[31:32]
	v_fma_f64 v[29:30], -v[29:30], v[37:38], v[39:40]
	s_delay_alu instid0(VALU_DEP_1) | instskip(NEXT) | instid1(VALU_DEP_1)
	v_div_fmas_f64 v[29:30], v[29:30], v[31:32], v[37:38]
	v_div_fixup_f64 v[29:30], v[29:30], v[23:24], v[21:22]
	s_delay_alu instid0(VALU_DEP_1) | instskip(NEXT) | instid1(VALU_DEP_1)
	v_fma_f64 v[31:32], v[21:22], v[29:30], v[23:24]
	v_div_scale_f64 v[37:38], null, v[31:32], v[31:32], 1.0
	v_div_scale_f64 v[47:48], vcc_lo, 1.0, v[31:32], 1.0
	s_delay_alu instid0(VALU_DEP_2) | instskip(SKIP_2) | instid1(VALU_DEP_1)
	v_rcp_f64_e32 v[39:40], v[37:38]
	s_waitcnt_depctr 0xfff
	v_fma_f64 v[45:46], -v[37:38], v[39:40], 1.0
	v_fma_f64 v[39:40], v[39:40], v[45:46], v[39:40]
	s_delay_alu instid0(VALU_DEP_1) | instskip(NEXT) | instid1(VALU_DEP_1)
	v_fma_f64 v[45:46], -v[37:38], v[39:40], 1.0
	v_fma_f64 v[39:40], v[39:40], v[45:46], v[39:40]
	s_delay_alu instid0(VALU_DEP_1) | instskip(NEXT) | instid1(VALU_DEP_1)
	v_mul_f64 v[45:46], v[47:48], v[39:40]
	v_fma_f64 v[37:38], -v[37:38], v[45:46], v[47:48]
	s_delay_alu instid0(VALU_DEP_1) | instskip(SKIP_2) | instid1(VALU_DEP_3)
	v_div_fmas_f64 v[37:38], v[37:38], v[39:40], v[45:46]
	v_fma_f64 v[39:40], v[17:18], v[29:30], v[19:20]
	v_fma_f64 v[29:30], v[19:20], v[29:30], -v[17:18]
	v_div_fixup_f64 v[37:38], v[37:38], v[31:32], 1.0
	s_delay_alu instid0(VALU_DEP_1) | instskip(NEXT) | instid1(VALU_DEP_3)
	v_mul_f64 v[31:32], v[39:40], v[37:38]
	v_mul_f64 v[29:30], v[29:30], v[37:38]
.LBB128_89:                             ;   in Loop: Header=BB128_4 Depth=1
	s_or_b32 exec_lo, exec_lo, s7
	s_delay_alu instid0(VALU_DEP_1) | instskip(SKIP_1) | instid1(VALU_DEP_2)
	v_mul_f64 v[37:38], s[10:11], v[29:30]
	v_mul_f64 v[39:40], s[8:9], v[29:30]
	v_fma_f64 v[29:30], s[8:9], v[31:32], -v[37:38]
	s_delay_alu instid0(VALU_DEP_2)
	v_fma_f64 v[31:32], s[10:11], v[31:32], v[39:40]
	s_branch .LBB128_100
.LBB128_90:                             ;   in Loop: Header=BB128_4 Depth=1
                                        ; implicit-def: $vgpr31_vgpr32
                                        ; implicit-def: $vgpr29_vgpr30
	s_cbranch_execz .LBB128_100
; %bb.91:                               ;   in Loop: Header=BB128_4 Depth=1
                                        ; implicit-def: $vgpr31_vgpr32
                                        ; implicit-def: $vgpr29_vgpr30
	s_delay_alu instid0(VALU_DEP_1) | instskip(NEXT) | instid1(SALU_CYCLE_1)
	s_and_saveexec_b32 s7, s6
	s_xor_b32 s7, exec_lo, s7
	s_cbranch_execz .LBB128_97
; %bb.92:                               ;   in Loop: Header=BB128_4 Depth=1
	v_cmp_neq_f64_e32 vcc_lo, 0, v[21:22]
	v_cmp_neq_f64_e64 s6, 0, v[23:24]
                                        ; implicit-def: $vgpr31_vgpr32
                                        ; implicit-def: $vgpr29_vgpr30
	s_delay_alu instid0(VALU_DEP_1) | instskip(NEXT) | instid1(SALU_CYCLE_1)
	s_or_b32 s6, s6, vcc_lo
	s_and_saveexec_b32 s17, s6
	s_delay_alu instid0(SALU_CYCLE_1)
	s_xor_b32 s6, exec_lo, s17
	s_cbranch_execz .LBB128_94
; %bb.93:                               ;   in Loop: Header=BB128_4 Depth=1
	v_div_scale_f64 v[25:26], null, v[21:22], v[21:22], v[23:24]
	v_div_scale_f64 v[31:32], vcc_lo, v[23:24], v[21:22], v[23:24]
	s_delay_alu instid0(VALU_DEP_2) | instskip(SKIP_2) | instid1(VALU_DEP_1)
	v_rcp_f64_e32 v[27:28], v[25:26]
	s_waitcnt_depctr 0xfff
	v_fma_f64 v[29:30], -v[25:26], v[27:28], 1.0
	v_fma_f64 v[27:28], v[27:28], v[29:30], v[27:28]
	s_delay_alu instid0(VALU_DEP_1) | instskip(NEXT) | instid1(VALU_DEP_1)
	v_fma_f64 v[29:30], -v[25:26], v[27:28], 1.0
	v_fma_f64 v[27:28], v[27:28], v[29:30], v[27:28]
	s_delay_alu instid0(VALU_DEP_1) | instskip(NEXT) | instid1(VALU_DEP_1)
	v_mul_f64 v[29:30], v[31:32], v[27:28]
	v_fma_f64 v[25:26], -v[25:26], v[29:30], v[31:32]
	s_delay_alu instid0(VALU_DEP_1) | instskip(NEXT) | instid1(VALU_DEP_1)
	v_div_fmas_f64 v[25:26], v[25:26], v[27:28], v[29:30]
	v_div_fixup_f64 v[25:26], v[25:26], v[21:22], v[23:24]
	s_delay_alu instid0(VALU_DEP_1) | instskip(NEXT) | instid1(VALU_DEP_1)
	v_fma_f64 v[21:22], v[23:24], v[25:26], v[21:22]
	v_div_scale_f64 v[23:24], null, v[21:22], v[21:22], 1.0
	v_div_scale_f64 v[31:32], vcc_lo, 1.0, v[21:22], 1.0
	s_delay_alu instid0(VALU_DEP_2) | instskip(SKIP_2) | instid1(VALU_DEP_1)
	v_rcp_f64_e32 v[27:28], v[23:24]
	s_waitcnt_depctr 0xfff
	v_fma_f64 v[29:30], -v[23:24], v[27:28], 1.0
	v_fma_f64 v[27:28], v[27:28], v[29:30], v[27:28]
	s_delay_alu instid0(VALU_DEP_1) | instskip(NEXT) | instid1(VALU_DEP_1)
	v_fma_f64 v[29:30], -v[23:24], v[27:28], 1.0
	v_fma_f64 v[27:28], v[27:28], v[29:30], v[27:28]
	s_delay_alu instid0(VALU_DEP_1) | instskip(NEXT) | instid1(VALU_DEP_1)
	v_mul_f64 v[29:30], v[31:32], v[27:28]
	v_fma_f64 v[23:24], -v[23:24], v[29:30], v[31:32]
	s_delay_alu instid0(VALU_DEP_1) | instskip(SKIP_2) | instid1(VALU_DEP_3)
	v_div_fmas_f64 v[23:24], v[23:24], v[27:28], v[29:30]
	v_fma_f64 v[27:28], v[19:20], v[25:26], v[17:18]
	v_fma_f64 v[17:18], -v[17:18], v[25:26], v[19:20]
                                        ; implicit-def: $vgpr25_vgpr26
	v_div_fixup_f64 v[21:22], v[23:24], v[21:22], 1.0
	s_delay_alu instid0(VALU_DEP_1) | instskip(NEXT) | instid1(VALU_DEP_3)
	v_mul_f64 v[29:30], v[27:28], v[21:22]
	v_mul_f64 v[31:32], v[17:18], v[21:22]
                                        ; implicit-def: $vgpr17_vgpr18
                                        ; implicit-def: $vgpr27_vgpr28
.LBB128_94:                             ;   in Loop: Header=BB128_4 Depth=1
	s_and_not1_saveexec_b32 s17, s6
	s_cbranch_execz .LBB128_96
; %bb.95:                               ;   in Loop: Header=BB128_4 Depth=1
	v_div_scale_f64 v[21:22], null, v[25:26], v[25:26], v[17:18]
	v_div_scale_f64 v[23:24], null, v[27:28], v[27:28], v[19:20]
	v_div_scale_f64 v[45:46], vcc_lo, v[17:18], v[25:26], v[17:18]
	s_delay_alu instid0(VALU_DEP_3) | instskip(NEXT) | instid1(VALU_DEP_2)
	v_rcp_f64_e32 v[29:30], v[21:22]
	v_rcp_f64_e32 v[31:32], v[23:24]
	s_waitcnt_depctr 0xfff
	v_fma_f64 v[37:38], -v[21:22], v[29:30], 1.0
	v_fma_f64 v[39:40], -v[23:24], v[31:32], 1.0
	s_delay_alu instid0(VALU_DEP_2) | instskip(NEXT) | instid1(VALU_DEP_2)
	v_fma_f64 v[29:30], v[29:30], v[37:38], v[29:30]
	v_fma_f64 v[31:32], v[31:32], v[39:40], v[31:32]
	s_delay_alu instid0(VALU_DEP_2) | instskip(NEXT) | instid1(VALU_DEP_2)
	v_fma_f64 v[37:38], -v[21:22], v[29:30], 1.0
	v_fma_f64 v[39:40], -v[23:24], v[31:32], 1.0
	s_delay_alu instid0(VALU_DEP_2) | instskip(SKIP_1) | instid1(VALU_DEP_3)
	v_fma_f64 v[29:30], v[29:30], v[37:38], v[29:30]
	v_div_scale_f64 v[37:38], s6, v[19:20], v[27:28], v[19:20]
	v_fma_f64 v[31:32], v[31:32], v[39:40], v[31:32]
	s_delay_alu instid0(VALU_DEP_3) | instskip(NEXT) | instid1(VALU_DEP_2)
	v_mul_f64 v[39:40], v[45:46], v[29:30]
	v_mul_f64 v[47:48], v[37:38], v[31:32]
	s_delay_alu instid0(VALU_DEP_2) | instskip(NEXT) | instid1(VALU_DEP_2)
	v_fma_f64 v[21:22], -v[21:22], v[39:40], v[45:46]
	v_fma_f64 v[23:24], -v[23:24], v[47:48], v[37:38]
	s_delay_alu instid0(VALU_DEP_2) | instskip(SKIP_1) | instid1(VALU_DEP_2)
	v_div_fmas_f64 v[21:22], v[21:22], v[29:30], v[39:40]
	s_mov_b32 vcc_lo, s6
	v_div_fmas_f64 v[23:24], v[23:24], v[31:32], v[47:48]
	s_delay_alu instid0(VALU_DEP_2) | instskip(NEXT) | instid1(VALU_DEP_2)
	v_div_fixup_f64 v[29:30], v[21:22], v[25:26], v[17:18]
	v_div_fixup_f64 v[31:32], v[23:24], v[27:28], v[19:20]
.LBB128_96:                             ;   in Loop: Header=BB128_4 Depth=1
	s_or_b32 exec_lo, exec_lo, s17
                                        ; implicit-def: $vgpr23_vgpr24
                                        ; implicit-def: $vgpr17_vgpr18
.LBB128_97:                             ;   in Loop: Header=BB128_4 Depth=1
	s_and_not1_saveexec_b32 s6, s7
	s_cbranch_execz .LBB128_99
; %bb.98:                               ;   in Loop: Header=BB128_4 Depth=1
	v_div_scale_f64 v[25:26], null, v[23:24], v[23:24], v[21:22]
	v_div_scale_f64 v[31:32], vcc_lo, v[21:22], v[23:24], v[21:22]
	s_delay_alu instid0(VALU_DEP_2) | instskip(SKIP_2) | instid1(VALU_DEP_1)
	v_rcp_f64_e32 v[27:28], v[25:26]
	s_waitcnt_depctr 0xfff
	v_fma_f64 v[29:30], -v[25:26], v[27:28], 1.0
	v_fma_f64 v[27:28], v[27:28], v[29:30], v[27:28]
	s_delay_alu instid0(VALU_DEP_1) | instskip(NEXT) | instid1(VALU_DEP_1)
	v_fma_f64 v[29:30], -v[25:26], v[27:28], 1.0
	v_fma_f64 v[27:28], v[27:28], v[29:30], v[27:28]
	s_delay_alu instid0(VALU_DEP_1) | instskip(NEXT) | instid1(VALU_DEP_1)
	v_mul_f64 v[29:30], v[31:32], v[27:28]
	v_fma_f64 v[25:26], -v[25:26], v[29:30], v[31:32]
	s_delay_alu instid0(VALU_DEP_1) | instskip(NEXT) | instid1(VALU_DEP_1)
	v_div_fmas_f64 v[25:26], v[25:26], v[27:28], v[29:30]
	v_div_fixup_f64 v[25:26], v[25:26], v[23:24], v[21:22]
	s_delay_alu instid0(VALU_DEP_1) | instskip(NEXT) | instid1(VALU_DEP_1)
	v_fma_f64 v[21:22], v[21:22], v[25:26], v[23:24]
	v_div_scale_f64 v[23:24], null, v[21:22], v[21:22], 1.0
	v_div_scale_f64 v[31:32], vcc_lo, 1.0, v[21:22], 1.0
	s_delay_alu instid0(VALU_DEP_2) | instskip(SKIP_2) | instid1(VALU_DEP_1)
	v_rcp_f64_e32 v[27:28], v[23:24]
	s_waitcnt_depctr 0xfff
	v_fma_f64 v[29:30], -v[23:24], v[27:28], 1.0
	v_fma_f64 v[27:28], v[27:28], v[29:30], v[27:28]
	s_delay_alu instid0(VALU_DEP_1) | instskip(NEXT) | instid1(VALU_DEP_1)
	v_fma_f64 v[29:30], -v[23:24], v[27:28], 1.0
	v_fma_f64 v[27:28], v[27:28], v[29:30], v[27:28]
	s_delay_alu instid0(VALU_DEP_1) | instskip(NEXT) | instid1(VALU_DEP_1)
	v_mul_f64 v[29:30], v[31:32], v[27:28]
	v_fma_f64 v[23:24], -v[23:24], v[29:30], v[31:32]
	s_delay_alu instid0(VALU_DEP_1) | instskip(SKIP_2) | instid1(VALU_DEP_3)
	v_div_fmas_f64 v[23:24], v[23:24], v[27:28], v[29:30]
	v_fma_f64 v[27:28], v[17:18], v[25:26], v[19:20]
	v_fma_f64 v[17:18], v[19:20], v[25:26], -v[17:18]
	v_div_fixup_f64 v[21:22], v[23:24], v[21:22], 1.0
	s_delay_alu instid0(VALU_DEP_1) | instskip(NEXT) | instid1(VALU_DEP_3)
	v_mul_f64 v[29:30], v[27:28], v[21:22]
	v_mul_f64 v[31:32], v[17:18], v[21:22]
.LBB128_99:                             ;   in Loop: Header=BB128_4 Depth=1
	s_or_b32 exec_lo, exec_lo, s6
.LBB128_100:                            ;   in Loop: Header=BB128_4 Depth=1
	s_and_saveexec_b32 s6, s2
	s_delay_alu instid0(SALU_CYCLE_1)
	s_xor_b32 s2, exec_lo, s6
	s_cbranch_execnz .LBB128_104
; %bb.101:                              ;   in Loop: Header=BB128_4 Depth=1
	s_or_b32 exec_lo, exec_lo, s2
	s_and_saveexec_b32 s2, s3
	s_cbranch_execnz .LBB128_105
.LBB128_102:                            ;   in Loop: Header=BB128_4 Depth=1
	s_or_b32 exec_lo, exec_lo, s2
	s_and_saveexec_b32 s2, s4
	s_cbranch_execnz .LBB128_106
.LBB128_103:                            ;   in Loop: Header=BB128_4 Depth=1
	s_or_b32 exec_lo, exec_lo, s2
	s_and_saveexec_b32 s2, s5
	s_cbranch_execz .LBB128_3
	s_branch .LBB128_107
.LBB128_104:                            ;   in Loop: Header=BB128_4 Depth=1
	v_add_f64 v[3:4], v[3:4], v[53:54]
	v_add_f64 v[1:2], v[1:2], v[51:52]
	v_add_co_u32 v17, vcc_lo, v61, s14
	v_add_co_ci_u32_e32 v18, vcc_lo, s15, v62, vcc_lo
	global_store_b128 v[17:18], v[1:4], off offset:-8
	s_or_b32 exec_lo, exec_lo, s2
	s_and_saveexec_b32 s2, s3
	s_cbranch_execz .LBB128_102
.LBB128_105:                            ;   in Loop: Header=BB128_4 Depth=1
	v_add_f64 v[3:4], v[7:8], v[43:44]
	v_add_f64 v[1:2], v[5:6], v[41:42]
	v_add_co_u32 v5, vcc_lo, v67, s14
	v_add_co_ci_u32_e32 v6, vcc_lo, s15, v68, vcc_lo
	global_store_b128 v[5:6], v[1:4], off
	s_or_b32 exec_lo, exec_lo, s2
	s_and_saveexec_b32 s2, s4
	s_cbranch_execz .LBB128_103
.LBB128_106:                            ;   in Loop: Header=BB128_4 Depth=1
	v_add_f64 v[3:4], v[11:12], v[35:36]
	v_add_f64 v[1:2], v[9:10], v[33:34]
	v_add_co_u32 v5, vcc_lo, v81, s14
	v_add_co_ci_u32_e32 v6, vcc_lo, s15, v82, vcc_lo
	global_store_b128 v[5:6], v[1:4], off offset:-8
	s_or_b32 exec_lo, exec_lo, s2
	s_and_saveexec_b32 s2, s5
	s_cbranch_execz .LBB128_3
.LBB128_107:                            ;   in Loop: Header=BB128_4 Depth=1
	s_delay_alu instid0(VALU_DEP_1) | instskip(NEXT) | instid1(VALU_DEP_3)
	v_add_f64 v[3:4], v[15:16], v[31:32]
	v_add_f64 v[1:2], v[13:14], v[29:30]
	v_add_co_u32 v5, vcc_lo, v73, s14
	v_add_co_ci_u32_e32 v6, vcc_lo, s15, v74, vcc_lo
	global_store_b128 v[5:6], v[1:4], off offset:-8
	s_branch .LBB128_3
.LBB128_108:
	s_mov_b32 s16, 0
.LBB128_109:
	s_delay_alu instid0(SALU_CYCLE_1)
	s_and_not1_b32 vcc_lo, exec_lo, s16
	s_cbranch_vccnz .LBB128_193
; %bb.110:
	v_dual_mov_b32 v49, 0 :: v_dual_lshlrev_b32 v48, 2, v0
	s_mov_b32 s2, 0
	s_mov_b32 s3, exec_lo
	s_delay_alu instid0(VALU_DEP_1)
	v_cmpx_gt_i64_e64 s[12:13], v[48:49]
	s_cbranch_execz .LBB128_193
; %bb.111:
	s_waitcnt lgkmcnt(0)
	v_cmp_neq_f64_e64 s4, s[8:9], 1.0
	v_cmp_neq_f64_e64 s5, s[10:11], 0
	s_load_b32 s0, s[0:1], 0xf54
	v_lshlrev_b32_e32 v60, 6, v0
	s_waitcnt lgkmcnt(0)
	s_and_b32 s0, s0, 0xffff
	s_delay_alu instid0(SALU_CYCLE_1) | instskip(SKIP_1) | instid1(VALU_DEP_3)
	v_add_lshl_u32 v48, v0, s0, 2
	s_lshl_b32 s3, s0, 2
	s_or_b32 s4, s4, s5
	s_lshl_b32 s5, s0, 6
	s_branch .LBB128_114
.LBB128_112:                            ;   in Loop: Header=BB128_114 Depth=1
	s_or_b32 exec_lo, exec_lo, s0
.LBB128_113:                            ;   in Loop: Header=BB128_114 Depth=1
	v_add_f64 v[10:11], v[10:11], v[54:55]
	v_add_f64 v[8:9], v[8:9], v[52:53]
	;; [unrolled: 1-line block ×8, first 2 shown]
	v_cmp_le_i64_e32 vcc_lo, s[12:13], v[48:49]
	v_cmp_lt_u64_e64 s0, 0xffff, v[48:49]
	s_clause 0x3
	global_store_b128 v[50:51], v[8:11], off
	global_store_b128 v[50:51], v[4:7], off offset:16
	global_store_b128 v[50:51], v[12:15], off offset:32
	;; [unrolled: 1-line block ×3, first 2 shown]
	s_or_b32 s0, vcc_lo, s0
	s_add_u32 s22, s22, s5
	s_addc_u32 s23, s23, 0
	s_add_u32 s26, s26, s5
	s_addc_u32 s27, s27, 0
	v_add_co_u32 v48, vcc_lo, v48, s3
	s_add_u32 s24, s24, s5
	s_addc_u32 s25, s25, 0
	v_add_co_ci_u32_e32 v49, vcc_lo, 0, v49, vcc_lo
	s_and_b32 s0, exec_lo, s0
	s_delay_alu instid0(SALU_CYCLE_1) | instskip(NEXT) | instid1(SALU_CYCLE_1)
	s_or_b32 s2, s0, s2
	s_and_not1_b32 exec_lo, exec_lo, s2
	s_cbranch_execz .LBB128_193
.LBB128_114:                            ; =>This Inner Loop Header: Depth=1
	v_add_co_u32 v28, s0, s26, v60
	s_delay_alu instid0(VALU_DEP_1) | instskip(SKIP_1) | instid1(VALU_DEP_1)
	v_add_co_ci_u32_e64 v29, null, s27, 0, s0
	v_add_co_u32 v50, s0, s22, v60
	v_add_co_ci_u32_e64 v51, null, s23, 0, s0
	s_clause 0x1
	global_load_b128 v[44:47], v[28:29], off
	global_load_b128 v[36:39], v[28:29], off offset:16
	v_add_co_u32 v20, s0, s24, v60
	s_delay_alu instid0(VALU_DEP_1)
	v_add_co_ci_u32_e64 v21, null, s25, 0, s0
	s_clause 0x3
	global_load_b128 v[0:3], v[50:51], off offset:48
	global_load_b128 v[12:15], v[50:51], off offset:32
	;; [unrolled: 1-line block ×3, first 2 shown]
	global_load_b128 v[8:11], v[50:51], off
	s_clause 0x3
	global_load_b128 v[16:19], v[20:21], off offset:48
	global_load_b128 v[24:27], v[20:21], off offset:32
	;; [unrolled: 1-line block ×3, first 2 shown]
	global_load_b128 v[40:43], v[20:21], off
	s_clause 0x1
	global_load_b128 v[20:23], v[28:29], off offset:48
	global_load_b128 v[28:31], v[28:29], off offset:32
	s_waitcnt vmcnt(11)
	v_cmp_gt_f64_e32 vcc_lo, 0, v[44:45]
	v_xor_b32_e32 v52, 0x80000000, v45
	v_mov_b32_e32 v56, v44
	v_xor_b32_e32 v53, 0x80000000, v47
	s_delay_alu instid0(VALU_DEP_3) | instskip(SKIP_1) | instid1(VALU_DEP_3)
	v_dual_mov_b32 v58, v46 :: v_dual_cndmask_b32 v57, v45, v52
	v_cmp_gt_f64_e32 vcc_lo, 0, v[46:47]
	v_cndmask_b32_e32 v59, v47, v53, vcc_lo
	s_and_b32 vcc_lo, exec_lo, s4
	s_delay_alu instid0(VALU_DEP_1)
	v_cmp_ge_f64_e64 s0, v[56:57], v[58:59]
	s_cbranch_vccz .LBB128_124
; %bb.115:                              ;   in Loop: Header=BB128_114 Depth=1
                                        ; implicit-def: $vgpr52_vgpr53
                                        ; implicit-def: $vgpr54_vgpr55
	s_delay_alu instid0(VALU_DEP_1) | instskip(NEXT) | instid1(SALU_CYCLE_1)
	s_and_saveexec_b32 s1, s0
	s_xor_b32 s6, exec_lo, s1
	s_cbranch_execz .LBB128_121
; %bb.116:                              ;   in Loop: Header=BB128_114 Depth=1
	v_cmp_neq_f64_e32 vcc_lo, 0, v[44:45]
	v_cmp_neq_f64_e64 s1, 0, v[46:47]
                                        ; implicit-def: $vgpr52_vgpr53
                                        ; implicit-def: $vgpr54_vgpr55
	s_delay_alu instid0(VALU_DEP_1) | instskip(NEXT) | instid1(SALU_CYCLE_1)
	s_or_b32 s1, vcc_lo, s1
	s_and_saveexec_b32 s7, s1
	s_delay_alu instid0(SALU_CYCLE_1)
	s_xor_b32 s1, exec_lo, s7
	s_cbranch_execz .LBB128_118
; %bb.117:                              ;   in Loop: Header=BB128_114 Depth=1
	v_div_scale_f64 v[52:53], null, v[44:45], v[44:45], v[46:47]
	v_div_scale_f64 v[63:64], vcc_lo, v[46:47], v[44:45], v[46:47]
	s_delay_alu instid0(VALU_DEP_2) | instskip(SKIP_2) | instid1(VALU_DEP_1)
	v_rcp_f64_e32 v[54:55], v[52:53]
	s_waitcnt_depctr 0xfff
	v_fma_f64 v[61:62], -v[52:53], v[54:55], 1.0
	v_fma_f64 v[54:55], v[54:55], v[61:62], v[54:55]
	s_delay_alu instid0(VALU_DEP_1) | instskip(NEXT) | instid1(VALU_DEP_1)
	v_fma_f64 v[61:62], -v[52:53], v[54:55], 1.0
	v_fma_f64 v[54:55], v[54:55], v[61:62], v[54:55]
	s_delay_alu instid0(VALU_DEP_1) | instskip(NEXT) | instid1(VALU_DEP_1)
	v_mul_f64 v[61:62], v[63:64], v[54:55]
	v_fma_f64 v[52:53], -v[52:53], v[61:62], v[63:64]
	s_delay_alu instid0(VALU_DEP_1) | instskip(NEXT) | instid1(VALU_DEP_1)
	v_div_fmas_f64 v[52:53], v[52:53], v[54:55], v[61:62]
	v_div_fixup_f64 v[52:53], v[52:53], v[44:45], v[46:47]
	s_delay_alu instid0(VALU_DEP_1) | instskip(NEXT) | instid1(VALU_DEP_1)
	v_fma_f64 v[54:55], v[46:47], v[52:53], v[44:45]
	v_div_scale_f64 v[61:62], null, v[54:55], v[54:55], 1.0
	v_div_scale_f64 v[67:68], vcc_lo, 1.0, v[54:55], 1.0
	s_delay_alu instid0(VALU_DEP_2) | instskip(SKIP_2) | instid1(VALU_DEP_1)
	v_rcp_f64_e32 v[63:64], v[61:62]
	s_waitcnt_depctr 0xfff
	v_fma_f64 v[65:66], -v[61:62], v[63:64], 1.0
	v_fma_f64 v[63:64], v[63:64], v[65:66], v[63:64]
	s_delay_alu instid0(VALU_DEP_1) | instskip(NEXT) | instid1(VALU_DEP_1)
	v_fma_f64 v[65:66], -v[61:62], v[63:64], 1.0
	v_fma_f64 v[63:64], v[63:64], v[65:66], v[63:64]
	s_delay_alu instid0(VALU_DEP_1) | instskip(NEXT) | instid1(VALU_DEP_1)
	v_mul_f64 v[65:66], v[67:68], v[63:64]
	v_fma_f64 v[61:62], -v[61:62], v[65:66], v[67:68]
	s_delay_alu instid0(VALU_DEP_1) | instskip(SKIP_3) | instid1(VALU_DEP_3)
	v_div_fmas_f64 v[61:62], v[61:62], v[63:64], v[65:66]
	s_waitcnt vmcnt(2)
	v_fma_f64 v[63:64], v[42:43], v[52:53], v[40:41]
	v_fma_f64 v[52:53], -v[40:41], v[52:53], v[42:43]
	v_div_fixup_f64 v[61:62], v[61:62], v[54:55], 1.0
	s_delay_alu instid0(VALU_DEP_1) | instskip(NEXT) | instid1(VALU_DEP_3)
	v_mul_f64 v[54:55], v[63:64], v[61:62]
	v_mul_f64 v[52:53], v[52:53], v[61:62]
.LBB128_118:                            ;   in Loop: Header=BB128_114 Depth=1
	s_and_not1_saveexec_b32 s7, s1
	s_cbranch_execz .LBB128_120
; %bb.119:                              ;   in Loop: Header=BB128_114 Depth=1
	s_waitcnt vmcnt(2)
	v_div_scale_f64 v[52:53], null, v[56:57], v[56:57], v[40:41]
	v_div_scale_f64 v[54:55], null, v[58:59], v[58:59], v[42:43]
	v_div_scale_f64 v[69:70], vcc_lo, v[40:41], v[56:57], v[40:41]
	s_delay_alu instid0(VALU_DEP_3) | instskip(NEXT) | instid1(VALU_DEP_2)
	v_rcp_f64_e32 v[61:62], v[52:53]
	v_rcp_f64_e32 v[63:64], v[54:55]
	s_waitcnt_depctr 0xfff
	v_fma_f64 v[65:66], -v[52:53], v[61:62], 1.0
	v_fma_f64 v[67:68], -v[54:55], v[63:64], 1.0
	s_delay_alu instid0(VALU_DEP_2) | instskip(NEXT) | instid1(VALU_DEP_2)
	v_fma_f64 v[61:62], v[61:62], v[65:66], v[61:62]
	v_fma_f64 v[63:64], v[63:64], v[67:68], v[63:64]
	s_delay_alu instid0(VALU_DEP_2) | instskip(NEXT) | instid1(VALU_DEP_2)
	v_fma_f64 v[65:66], -v[52:53], v[61:62], 1.0
	v_fma_f64 v[67:68], -v[54:55], v[63:64], 1.0
	s_delay_alu instid0(VALU_DEP_2) | instskip(SKIP_1) | instid1(VALU_DEP_3)
	v_fma_f64 v[61:62], v[61:62], v[65:66], v[61:62]
	v_div_scale_f64 v[65:66], s1, v[42:43], v[58:59], v[42:43]
	v_fma_f64 v[63:64], v[63:64], v[67:68], v[63:64]
	s_delay_alu instid0(VALU_DEP_3) | instskip(NEXT) | instid1(VALU_DEP_2)
	v_mul_f64 v[67:68], v[69:70], v[61:62]
	v_mul_f64 v[71:72], v[65:66], v[63:64]
	s_delay_alu instid0(VALU_DEP_2) | instskip(NEXT) | instid1(VALU_DEP_2)
	v_fma_f64 v[52:53], -v[52:53], v[67:68], v[69:70]
	v_fma_f64 v[54:55], -v[54:55], v[71:72], v[65:66]
	s_delay_alu instid0(VALU_DEP_2) | instskip(SKIP_1) | instid1(VALU_DEP_2)
	v_div_fmas_f64 v[52:53], v[52:53], v[61:62], v[67:68]
	s_mov_b32 vcc_lo, s1
	v_div_fmas_f64 v[61:62], v[54:55], v[63:64], v[71:72]
	s_delay_alu instid0(VALU_DEP_2) | instskip(NEXT) | instid1(VALU_DEP_2)
	v_div_fixup_f64 v[54:55], v[52:53], v[56:57], v[40:41]
	v_div_fixup_f64 v[52:53], v[61:62], v[58:59], v[42:43]
.LBB128_120:                            ;   in Loop: Header=BB128_114 Depth=1
	s_or_b32 exec_lo, exec_lo, s7
.LBB128_121:                            ;   in Loop: Header=BB128_114 Depth=1
	s_and_not1_saveexec_b32 s1, s6
	s_cbranch_execz .LBB128_123
; %bb.122:                              ;   in Loop: Header=BB128_114 Depth=1
	v_div_scale_f64 v[52:53], null, v[46:47], v[46:47], v[44:45]
	v_div_scale_f64 v[63:64], vcc_lo, v[44:45], v[46:47], v[44:45]
	s_delay_alu instid0(VALU_DEP_2) | instskip(SKIP_2) | instid1(VALU_DEP_1)
	v_rcp_f64_e32 v[54:55], v[52:53]
	s_waitcnt_depctr 0xfff
	v_fma_f64 v[61:62], -v[52:53], v[54:55], 1.0
	v_fma_f64 v[54:55], v[54:55], v[61:62], v[54:55]
	s_delay_alu instid0(VALU_DEP_1) | instskip(NEXT) | instid1(VALU_DEP_1)
	v_fma_f64 v[61:62], -v[52:53], v[54:55], 1.0
	v_fma_f64 v[54:55], v[54:55], v[61:62], v[54:55]
	s_delay_alu instid0(VALU_DEP_1) | instskip(NEXT) | instid1(VALU_DEP_1)
	v_mul_f64 v[61:62], v[63:64], v[54:55]
	v_fma_f64 v[52:53], -v[52:53], v[61:62], v[63:64]
	s_delay_alu instid0(VALU_DEP_1) | instskip(NEXT) | instid1(VALU_DEP_1)
	v_div_fmas_f64 v[52:53], v[52:53], v[54:55], v[61:62]
	v_div_fixup_f64 v[52:53], v[52:53], v[46:47], v[44:45]
	s_delay_alu instid0(VALU_DEP_1) | instskip(NEXT) | instid1(VALU_DEP_1)
	v_fma_f64 v[54:55], v[44:45], v[52:53], v[46:47]
	v_div_scale_f64 v[61:62], null, v[54:55], v[54:55], 1.0
	v_div_scale_f64 v[67:68], vcc_lo, 1.0, v[54:55], 1.0
	s_delay_alu instid0(VALU_DEP_2) | instskip(SKIP_2) | instid1(VALU_DEP_1)
	v_rcp_f64_e32 v[63:64], v[61:62]
	s_waitcnt_depctr 0xfff
	v_fma_f64 v[65:66], -v[61:62], v[63:64], 1.0
	v_fma_f64 v[63:64], v[63:64], v[65:66], v[63:64]
	s_delay_alu instid0(VALU_DEP_1) | instskip(NEXT) | instid1(VALU_DEP_1)
	v_fma_f64 v[65:66], -v[61:62], v[63:64], 1.0
	v_fma_f64 v[63:64], v[63:64], v[65:66], v[63:64]
	s_delay_alu instid0(VALU_DEP_1) | instskip(NEXT) | instid1(VALU_DEP_1)
	v_mul_f64 v[65:66], v[67:68], v[63:64]
	v_fma_f64 v[61:62], -v[61:62], v[65:66], v[67:68]
	s_delay_alu instid0(VALU_DEP_1) | instskip(SKIP_3) | instid1(VALU_DEP_3)
	v_div_fmas_f64 v[61:62], v[61:62], v[63:64], v[65:66]
	s_waitcnt vmcnt(2)
	v_fma_f64 v[63:64], v[40:41], v[52:53], v[42:43]
	v_fma_f64 v[52:53], v[42:43], v[52:53], -v[40:41]
	v_div_fixup_f64 v[61:62], v[61:62], v[54:55], 1.0
	s_delay_alu instid0(VALU_DEP_1) | instskip(NEXT) | instid1(VALU_DEP_3)
	v_mul_f64 v[54:55], v[63:64], v[61:62]
	v_mul_f64 v[52:53], v[52:53], v[61:62]
.LBB128_123:                            ;   in Loop: Header=BB128_114 Depth=1
	s_or_b32 exec_lo, exec_lo, s1
	s_delay_alu instid0(VALU_DEP_1) | instskip(SKIP_1) | instid1(VALU_DEP_2)
	v_mul_f64 v[61:62], s[10:11], v[52:53]
	v_mul_f64 v[63:64], s[8:9], v[52:53]
	v_fma_f64 v[52:53], s[8:9], v[54:55], -v[61:62]
	s_delay_alu instid0(VALU_DEP_2)
	v_fma_f64 v[54:55], s[10:11], v[54:55], v[63:64]
	s_branch .LBB128_134
.LBB128_124:                            ;   in Loop: Header=BB128_114 Depth=1
                                        ; implicit-def: $vgpr54_vgpr55
                                        ; implicit-def: $vgpr52_vgpr53
	s_cbranch_execz .LBB128_134
; %bb.125:                              ;   in Loop: Header=BB128_114 Depth=1
                                        ; implicit-def: $vgpr54_vgpr55
                                        ; implicit-def: $vgpr52_vgpr53
	s_delay_alu instid0(VALU_DEP_1) | instskip(NEXT) | instid1(SALU_CYCLE_1)
	s_and_saveexec_b32 s1, s0
	s_xor_b32 s1, exec_lo, s1
	s_cbranch_execz .LBB128_131
; %bb.126:                              ;   in Loop: Header=BB128_114 Depth=1
	v_cmp_neq_f64_e32 vcc_lo, 0, v[44:45]
	v_cmp_neq_f64_e64 s0, 0, v[46:47]
                                        ; implicit-def: $vgpr54_vgpr55
                                        ; implicit-def: $vgpr52_vgpr53
	s_delay_alu instid0(VALU_DEP_1) | instskip(NEXT) | instid1(SALU_CYCLE_1)
	s_or_b32 s0, vcc_lo, s0
	s_and_saveexec_b32 s6, s0
	s_delay_alu instid0(SALU_CYCLE_1)
	s_xor_b32 s0, exec_lo, s6
	s_cbranch_execz .LBB128_128
; %bb.127:                              ;   in Loop: Header=BB128_114 Depth=1
	v_div_scale_f64 v[52:53], null, v[44:45], v[44:45], v[46:47]
	v_div_scale_f64 v[58:59], vcc_lo, v[46:47], v[44:45], v[46:47]
	s_delay_alu instid0(VALU_DEP_2) | instskip(SKIP_2) | instid1(VALU_DEP_1)
	v_rcp_f64_e32 v[54:55], v[52:53]
	s_waitcnt_depctr 0xfff
	v_fma_f64 v[56:57], -v[52:53], v[54:55], 1.0
	v_fma_f64 v[54:55], v[54:55], v[56:57], v[54:55]
	s_delay_alu instid0(VALU_DEP_1) | instskip(NEXT) | instid1(VALU_DEP_1)
	v_fma_f64 v[56:57], -v[52:53], v[54:55], 1.0
	v_fma_f64 v[54:55], v[54:55], v[56:57], v[54:55]
	s_delay_alu instid0(VALU_DEP_1) | instskip(NEXT) | instid1(VALU_DEP_1)
	v_mul_f64 v[56:57], v[58:59], v[54:55]
	v_fma_f64 v[52:53], -v[52:53], v[56:57], v[58:59]
	s_delay_alu instid0(VALU_DEP_1) | instskip(NEXT) | instid1(VALU_DEP_1)
	v_div_fmas_f64 v[52:53], v[52:53], v[54:55], v[56:57]
	v_div_fixup_f64 v[52:53], v[52:53], v[44:45], v[46:47]
	s_delay_alu instid0(VALU_DEP_1) | instskip(NEXT) | instid1(VALU_DEP_1)
	v_fma_f64 v[44:45], v[46:47], v[52:53], v[44:45]
	v_div_scale_f64 v[46:47], null, v[44:45], v[44:45], 1.0
	v_div_scale_f64 v[58:59], vcc_lo, 1.0, v[44:45], 1.0
	s_delay_alu instid0(VALU_DEP_2) | instskip(SKIP_2) | instid1(VALU_DEP_1)
	v_rcp_f64_e32 v[54:55], v[46:47]
	s_waitcnt_depctr 0xfff
	v_fma_f64 v[56:57], -v[46:47], v[54:55], 1.0
	v_fma_f64 v[54:55], v[54:55], v[56:57], v[54:55]
	s_delay_alu instid0(VALU_DEP_1) | instskip(NEXT) | instid1(VALU_DEP_1)
	v_fma_f64 v[56:57], -v[46:47], v[54:55], 1.0
	v_fma_f64 v[54:55], v[54:55], v[56:57], v[54:55]
	s_delay_alu instid0(VALU_DEP_1) | instskip(NEXT) | instid1(VALU_DEP_1)
	v_mul_f64 v[56:57], v[58:59], v[54:55]
	v_fma_f64 v[46:47], -v[46:47], v[56:57], v[58:59]
                                        ; implicit-def: $vgpr58_vgpr59
	s_delay_alu instid0(VALU_DEP_1) | instskip(SKIP_3) | instid1(VALU_DEP_3)
	v_div_fmas_f64 v[46:47], v[46:47], v[54:55], v[56:57]
	s_waitcnt vmcnt(2)
	v_fma_f64 v[54:55], v[42:43], v[52:53], v[40:41]
	v_fma_f64 v[40:41], -v[40:41], v[52:53], v[42:43]
                                        ; implicit-def: $vgpr56_vgpr57
	v_div_fixup_f64 v[44:45], v[46:47], v[44:45], 1.0
	s_delay_alu instid0(VALU_DEP_1) | instskip(NEXT) | instid1(VALU_DEP_3)
	v_mul_f64 v[52:53], v[54:55], v[44:45]
	v_mul_f64 v[54:55], v[40:41], v[44:45]
                                        ; implicit-def: $vgpr40_vgpr41
.LBB128_128:                            ;   in Loop: Header=BB128_114 Depth=1
	s_and_not1_saveexec_b32 s6, s0
	s_cbranch_execz .LBB128_130
; %bb.129:                              ;   in Loop: Header=BB128_114 Depth=1
	s_waitcnt vmcnt(2)
	v_div_scale_f64 v[44:45], null, v[56:57], v[56:57], v[40:41]
	v_div_scale_f64 v[46:47], null, v[58:59], v[58:59], v[42:43]
	v_div_scale_f64 v[65:66], vcc_lo, v[40:41], v[56:57], v[40:41]
	s_delay_alu instid0(VALU_DEP_3) | instskip(NEXT) | instid1(VALU_DEP_2)
	v_rcp_f64_e32 v[52:53], v[44:45]
	v_rcp_f64_e32 v[54:55], v[46:47]
	s_waitcnt_depctr 0xfff
	v_fma_f64 v[61:62], -v[44:45], v[52:53], 1.0
	v_fma_f64 v[63:64], -v[46:47], v[54:55], 1.0
	s_delay_alu instid0(VALU_DEP_2) | instskip(NEXT) | instid1(VALU_DEP_2)
	v_fma_f64 v[52:53], v[52:53], v[61:62], v[52:53]
	v_fma_f64 v[54:55], v[54:55], v[63:64], v[54:55]
	s_delay_alu instid0(VALU_DEP_2) | instskip(NEXT) | instid1(VALU_DEP_2)
	v_fma_f64 v[61:62], -v[44:45], v[52:53], 1.0
	v_fma_f64 v[63:64], -v[46:47], v[54:55], 1.0
	s_delay_alu instid0(VALU_DEP_2) | instskip(SKIP_1) | instid1(VALU_DEP_3)
	v_fma_f64 v[52:53], v[52:53], v[61:62], v[52:53]
	v_div_scale_f64 v[61:62], s0, v[42:43], v[58:59], v[42:43]
	v_fma_f64 v[54:55], v[54:55], v[63:64], v[54:55]
	s_delay_alu instid0(VALU_DEP_3) | instskip(NEXT) | instid1(VALU_DEP_2)
	v_mul_f64 v[63:64], v[65:66], v[52:53]
	v_mul_f64 v[67:68], v[61:62], v[54:55]
	s_delay_alu instid0(VALU_DEP_2) | instskip(NEXT) | instid1(VALU_DEP_2)
	v_fma_f64 v[44:45], -v[44:45], v[63:64], v[65:66]
	v_fma_f64 v[46:47], -v[46:47], v[67:68], v[61:62]
	s_delay_alu instid0(VALU_DEP_2) | instskip(SKIP_1) | instid1(VALU_DEP_2)
	v_div_fmas_f64 v[44:45], v[44:45], v[52:53], v[63:64]
	s_mov_b32 vcc_lo, s0
	v_div_fmas_f64 v[46:47], v[46:47], v[54:55], v[67:68]
	s_delay_alu instid0(VALU_DEP_2) | instskip(NEXT) | instid1(VALU_DEP_2)
	v_div_fixup_f64 v[52:53], v[44:45], v[56:57], v[40:41]
	v_div_fixup_f64 v[54:55], v[46:47], v[58:59], v[42:43]
.LBB128_130:                            ;   in Loop: Header=BB128_114 Depth=1
	s_or_b32 exec_lo, exec_lo, s6
                                        ; implicit-def: $vgpr46_vgpr47
                                        ; implicit-def: $vgpr40_vgpr41
.LBB128_131:                            ;   in Loop: Header=BB128_114 Depth=1
	s_and_not1_saveexec_b32 s0, s1
	s_cbranch_execz .LBB128_133
; %bb.132:                              ;   in Loop: Header=BB128_114 Depth=1
	v_div_scale_f64 v[52:53], null, v[46:47], v[46:47], v[44:45]
	v_div_scale_f64 v[58:59], vcc_lo, v[44:45], v[46:47], v[44:45]
	s_delay_alu instid0(VALU_DEP_2) | instskip(SKIP_2) | instid1(VALU_DEP_1)
	v_rcp_f64_e32 v[54:55], v[52:53]
	s_waitcnt_depctr 0xfff
	v_fma_f64 v[56:57], -v[52:53], v[54:55], 1.0
	v_fma_f64 v[54:55], v[54:55], v[56:57], v[54:55]
	s_delay_alu instid0(VALU_DEP_1) | instskip(NEXT) | instid1(VALU_DEP_1)
	v_fma_f64 v[56:57], -v[52:53], v[54:55], 1.0
	v_fma_f64 v[54:55], v[54:55], v[56:57], v[54:55]
	s_delay_alu instid0(VALU_DEP_1) | instskip(NEXT) | instid1(VALU_DEP_1)
	v_mul_f64 v[56:57], v[58:59], v[54:55]
	v_fma_f64 v[52:53], -v[52:53], v[56:57], v[58:59]
	s_delay_alu instid0(VALU_DEP_1) | instskip(NEXT) | instid1(VALU_DEP_1)
	v_div_fmas_f64 v[52:53], v[52:53], v[54:55], v[56:57]
	v_div_fixup_f64 v[52:53], v[52:53], v[46:47], v[44:45]
	s_delay_alu instid0(VALU_DEP_1) | instskip(NEXT) | instid1(VALU_DEP_1)
	v_fma_f64 v[44:45], v[44:45], v[52:53], v[46:47]
	v_div_scale_f64 v[46:47], null, v[44:45], v[44:45], 1.0
	v_div_scale_f64 v[58:59], vcc_lo, 1.0, v[44:45], 1.0
	s_delay_alu instid0(VALU_DEP_2) | instskip(SKIP_2) | instid1(VALU_DEP_1)
	v_rcp_f64_e32 v[54:55], v[46:47]
	s_waitcnt_depctr 0xfff
	v_fma_f64 v[56:57], -v[46:47], v[54:55], 1.0
	v_fma_f64 v[54:55], v[54:55], v[56:57], v[54:55]
	s_delay_alu instid0(VALU_DEP_1) | instskip(NEXT) | instid1(VALU_DEP_1)
	v_fma_f64 v[56:57], -v[46:47], v[54:55], 1.0
	v_fma_f64 v[54:55], v[54:55], v[56:57], v[54:55]
	s_delay_alu instid0(VALU_DEP_1) | instskip(NEXT) | instid1(VALU_DEP_1)
	v_mul_f64 v[56:57], v[58:59], v[54:55]
	v_fma_f64 v[46:47], -v[46:47], v[56:57], v[58:59]
	s_delay_alu instid0(VALU_DEP_1) | instskip(SKIP_3) | instid1(VALU_DEP_3)
	v_div_fmas_f64 v[46:47], v[46:47], v[54:55], v[56:57]
	s_waitcnt vmcnt(2)
	v_fma_f64 v[54:55], v[40:41], v[52:53], v[42:43]
	v_fma_f64 v[40:41], v[42:43], v[52:53], -v[40:41]
	v_div_fixup_f64 v[44:45], v[46:47], v[44:45], 1.0
	s_delay_alu instid0(VALU_DEP_1) | instskip(NEXT) | instid1(VALU_DEP_3)
	v_mul_f64 v[52:53], v[54:55], v[44:45]
	v_mul_f64 v[54:55], v[40:41], v[44:45]
.LBB128_133:                            ;   in Loop: Header=BB128_114 Depth=1
	s_or_b32 exec_lo, exec_lo, s0
.LBB128_134:                            ;   in Loop: Header=BB128_114 Depth=1
	s_waitcnt vmcnt(10)
	v_cmp_gt_f64_e32 vcc_lo, 0, v[36:37]
	s_waitcnt vmcnt(2)
	v_xor_b32_e32 v40, 0x80000000, v37
	v_mov_b32_e32 v44, v36
	v_xor_b32_e32 v41, 0x80000000, v39
	s_delay_alu instid0(VALU_DEP_3) | instskip(SKIP_1) | instid1(VALU_DEP_3)
	v_dual_mov_b32 v46, v38 :: v_dual_cndmask_b32 v45, v37, v40
	v_cmp_gt_f64_e32 vcc_lo, 0, v[38:39]
	v_cndmask_b32_e32 v47, v39, v41, vcc_lo
	s_and_not1_b32 vcc_lo, exec_lo, s4
	s_delay_alu instid0(VALU_DEP_1)
	v_cmp_ge_f64_e64 s0, v[44:45], v[46:47]
	s_cbranch_vccnz .LBB128_144
; %bb.135:                              ;   in Loop: Header=BB128_114 Depth=1
                                        ; implicit-def: $vgpr40_vgpr41
                                        ; implicit-def: $vgpr42_vgpr43
	s_delay_alu instid0(VALU_DEP_1) | instskip(NEXT) | instid1(SALU_CYCLE_1)
	s_and_saveexec_b32 s1, s0
	s_xor_b32 s6, exec_lo, s1
	s_cbranch_execz .LBB128_141
; %bb.136:                              ;   in Loop: Header=BB128_114 Depth=1
	v_cmp_neq_f64_e32 vcc_lo, 0, v[36:37]
	v_cmp_neq_f64_e64 s1, 0, v[38:39]
                                        ; implicit-def: $vgpr40_vgpr41
                                        ; implicit-def: $vgpr42_vgpr43
	s_delay_alu instid0(VALU_DEP_1) | instskip(NEXT) | instid1(SALU_CYCLE_1)
	s_or_b32 s1, vcc_lo, s1
	s_and_saveexec_b32 s7, s1
	s_delay_alu instid0(SALU_CYCLE_1)
	s_xor_b32 s1, exec_lo, s7
	s_cbranch_execz .LBB128_138
; %bb.137:                              ;   in Loop: Header=BB128_114 Depth=1
	v_div_scale_f64 v[40:41], null, v[36:37], v[36:37], v[38:39]
	v_div_scale_f64 v[58:59], vcc_lo, v[38:39], v[36:37], v[38:39]
	s_delay_alu instid0(VALU_DEP_2) | instskip(SKIP_2) | instid1(VALU_DEP_1)
	v_rcp_f64_e32 v[42:43], v[40:41]
	s_waitcnt_depctr 0xfff
	v_fma_f64 v[56:57], -v[40:41], v[42:43], 1.0
	v_fma_f64 v[42:43], v[42:43], v[56:57], v[42:43]
	s_delay_alu instid0(VALU_DEP_1) | instskip(NEXT) | instid1(VALU_DEP_1)
	v_fma_f64 v[56:57], -v[40:41], v[42:43], 1.0
	v_fma_f64 v[42:43], v[42:43], v[56:57], v[42:43]
	s_delay_alu instid0(VALU_DEP_1) | instskip(NEXT) | instid1(VALU_DEP_1)
	v_mul_f64 v[56:57], v[58:59], v[42:43]
	v_fma_f64 v[40:41], -v[40:41], v[56:57], v[58:59]
	s_delay_alu instid0(VALU_DEP_1) | instskip(NEXT) | instid1(VALU_DEP_1)
	v_div_fmas_f64 v[40:41], v[40:41], v[42:43], v[56:57]
	v_div_fixup_f64 v[40:41], v[40:41], v[36:37], v[38:39]
	s_delay_alu instid0(VALU_DEP_1) | instskip(NEXT) | instid1(VALU_DEP_1)
	v_fma_f64 v[42:43], v[38:39], v[40:41], v[36:37]
	v_div_scale_f64 v[56:57], null, v[42:43], v[42:43], 1.0
	v_div_scale_f64 v[63:64], vcc_lo, 1.0, v[42:43], 1.0
	s_delay_alu instid0(VALU_DEP_2) | instskip(SKIP_2) | instid1(VALU_DEP_1)
	v_rcp_f64_e32 v[58:59], v[56:57]
	s_waitcnt_depctr 0xfff
	v_fma_f64 v[61:62], -v[56:57], v[58:59], 1.0
	v_fma_f64 v[58:59], v[58:59], v[61:62], v[58:59]
	s_delay_alu instid0(VALU_DEP_1) | instskip(NEXT) | instid1(VALU_DEP_1)
	v_fma_f64 v[61:62], -v[56:57], v[58:59], 1.0
	v_fma_f64 v[58:59], v[58:59], v[61:62], v[58:59]
	s_delay_alu instid0(VALU_DEP_1) | instskip(NEXT) | instid1(VALU_DEP_1)
	v_mul_f64 v[61:62], v[63:64], v[58:59]
	v_fma_f64 v[56:57], -v[56:57], v[61:62], v[63:64]
	s_delay_alu instid0(VALU_DEP_1) | instskip(SKIP_2) | instid1(VALU_DEP_3)
	v_div_fmas_f64 v[56:57], v[56:57], v[58:59], v[61:62]
	v_fma_f64 v[58:59], v[34:35], v[40:41], v[32:33]
	v_fma_f64 v[40:41], -v[32:33], v[40:41], v[34:35]
	v_div_fixup_f64 v[56:57], v[56:57], v[42:43], 1.0
	s_delay_alu instid0(VALU_DEP_1) | instskip(NEXT) | instid1(VALU_DEP_3)
	v_mul_f64 v[42:43], v[58:59], v[56:57]
	v_mul_f64 v[40:41], v[40:41], v[56:57]
.LBB128_138:                            ;   in Loop: Header=BB128_114 Depth=1
	s_and_not1_saveexec_b32 s7, s1
	s_cbranch_execz .LBB128_140
; %bb.139:                              ;   in Loop: Header=BB128_114 Depth=1
	v_div_scale_f64 v[40:41], null, v[44:45], v[44:45], v[32:33]
	v_div_scale_f64 v[42:43], null, v[46:47], v[46:47], v[34:35]
	v_div_scale_f64 v[65:66], vcc_lo, v[32:33], v[44:45], v[32:33]
	s_delay_alu instid0(VALU_DEP_3) | instskip(NEXT) | instid1(VALU_DEP_2)
	v_rcp_f64_e32 v[56:57], v[40:41]
	v_rcp_f64_e32 v[58:59], v[42:43]
	s_waitcnt_depctr 0xfff
	v_fma_f64 v[61:62], -v[40:41], v[56:57], 1.0
	v_fma_f64 v[63:64], -v[42:43], v[58:59], 1.0
	s_delay_alu instid0(VALU_DEP_2) | instskip(NEXT) | instid1(VALU_DEP_2)
	v_fma_f64 v[56:57], v[56:57], v[61:62], v[56:57]
	v_fma_f64 v[58:59], v[58:59], v[63:64], v[58:59]
	s_delay_alu instid0(VALU_DEP_2) | instskip(NEXT) | instid1(VALU_DEP_2)
	v_fma_f64 v[61:62], -v[40:41], v[56:57], 1.0
	v_fma_f64 v[63:64], -v[42:43], v[58:59], 1.0
	s_delay_alu instid0(VALU_DEP_2) | instskip(SKIP_1) | instid1(VALU_DEP_3)
	v_fma_f64 v[56:57], v[56:57], v[61:62], v[56:57]
	v_div_scale_f64 v[61:62], s1, v[34:35], v[46:47], v[34:35]
	v_fma_f64 v[58:59], v[58:59], v[63:64], v[58:59]
	s_delay_alu instid0(VALU_DEP_3) | instskip(NEXT) | instid1(VALU_DEP_2)
	v_mul_f64 v[63:64], v[65:66], v[56:57]
	v_mul_f64 v[67:68], v[61:62], v[58:59]
	s_delay_alu instid0(VALU_DEP_2) | instskip(NEXT) | instid1(VALU_DEP_2)
	v_fma_f64 v[40:41], -v[40:41], v[63:64], v[65:66]
	v_fma_f64 v[42:43], -v[42:43], v[67:68], v[61:62]
	s_delay_alu instid0(VALU_DEP_2) | instskip(SKIP_1) | instid1(VALU_DEP_2)
	v_div_fmas_f64 v[40:41], v[40:41], v[56:57], v[63:64]
	s_mov_b32 vcc_lo, s1
	v_div_fmas_f64 v[56:57], v[42:43], v[58:59], v[67:68]
	s_delay_alu instid0(VALU_DEP_2) | instskip(NEXT) | instid1(VALU_DEP_2)
	v_div_fixup_f64 v[42:43], v[40:41], v[44:45], v[32:33]
	v_div_fixup_f64 v[40:41], v[56:57], v[46:47], v[34:35]
.LBB128_140:                            ;   in Loop: Header=BB128_114 Depth=1
	s_or_b32 exec_lo, exec_lo, s7
.LBB128_141:                            ;   in Loop: Header=BB128_114 Depth=1
	s_and_not1_saveexec_b32 s1, s6
	s_cbranch_execz .LBB128_143
; %bb.142:                              ;   in Loop: Header=BB128_114 Depth=1
	v_div_scale_f64 v[40:41], null, v[38:39], v[38:39], v[36:37]
	v_div_scale_f64 v[58:59], vcc_lo, v[36:37], v[38:39], v[36:37]
	s_delay_alu instid0(VALU_DEP_2) | instskip(SKIP_2) | instid1(VALU_DEP_1)
	v_rcp_f64_e32 v[42:43], v[40:41]
	s_waitcnt_depctr 0xfff
	v_fma_f64 v[56:57], -v[40:41], v[42:43], 1.0
	v_fma_f64 v[42:43], v[42:43], v[56:57], v[42:43]
	s_delay_alu instid0(VALU_DEP_1) | instskip(NEXT) | instid1(VALU_DEP_1)
	v_fma_f64 v[56:57], -v[40:41], v[42:43], 1.0
	v_fma_f64 v[42:43], v[42:43], v[56:57], v[42:43]
	s_delay_alu instid0(VALU_DEP_1) | instskip(NEXT) | instid1(VALU_DEP_1)
	v_mul_f64 v[56:57], v[58:59], v[42:43]
	v_fma_f64 v[40:41], -v[40:41], v[56:57], v[58:59]
	s_delay_alu instid0(VALU_DEP_1) | instskip(NEXT) | instid1(VALU_DEP_1)
	v_div_fmas_f64 v[40:41], v[40:41], v[42:43], v[56:57]
	v_div_fixup_f64 v[40:41], v[40:41], v[38:39], v[36:37]
	s_delay_alu instid0(VALU_DEP_1) | instskip(NEXT) | instid1(VALU_DEP_1)
	v_fma_f64 v[42:43], v[36:37], v[40:41], v[38:39]
	v_div_scale_f64 v[56:57], null, v[42:43], v[42:43], 1.0
	v_div_scale_f64 v[63:64], vcc_lo, 1.0, v[42:43], 1.0
	s_delay_alu instid0(VALU_DEP_2) | instskip(SKIP_2) | instid1(VALU_DEP_1)
	v_rcp_f64_e32 v[58:59], v[56:57]
	s_waitcnt_depctr 0xfff
	v_fma_f64 v[61:62], -v[56:57], v[58:59], 1.0
	v_fma_f64 v[58:59], v[58:59], v[61:62], v[58:59]
	s_delay_alu instid0(VALU_DEP_1) | instskip(NEXT) | instid1(VALU_DEP_1)
	v_fma_f64 v[61:62], -v[56:57], v[58:59], 1.0
	v_fma_f64 v[58:59], v[58:59], v[61:62], v[58:59]
	s_delay_alu instid0(VALU_DEP_1) | instskip(NEXT) | instid1(VALU_DEP_1)
	v_mul_f64 v[61:62], v[63:64], v[58:59]
	v_fma_f64 v[56:57], -v[56:57], v[61:62], v[63:64]
	s_delay_alu instid0(VALU_DEP_1) | instskip(SKIP_2) | instid1(VALU_DEP_3)
	v_div_fmas_f64 v[56:57], v[56:57], v[58:59], v[61:62]
	v_fma_f64 v[58:59], v[32:33], v[40:41], v[34:35]
	v_fma_f64 v[40:41], v[34:35], v[40:41], -v[32:33]
	v_div_fixup_f64 v[56:57], v[56:57], v[42:43], 1.0
	s_delay_alu instid0(VALU_DEP_1) | instskip(NEXT) | instid1(VALU_DEP_3)
	v_mul_f64 v[42:43], v[58:59], v[56:57]
	v_mul_f64 v[40:41], v[40:41], v[56:57]
.LBB128_143:                            ;   in Loop: Header=BB128_114 Depth=1
	s_or_b32 exec_lo, exec_lo, s1
	s_delay_alu instid0(VALU_DEP_1) | instskip(SKIP_1) | instid1(VALU_DEP_2)
	v_mul_f64 v[56:57], s[10:11], v[40:41]
	v_mul_f64 v[58:59], s[8:9], v[40:41]
	v_fma_f64 v[40:41], s[8:9], v[42:43], -v[56:57]
	s_delay_alu instid0(VALU_DEP_2)
	v_fma_f64 v[42:43], s[10:11], v[42:43], v[58:59]
	s_branch .LBB128_154
.LBB128_144:                            ;   in Loop: Header=BB128_114 Depth=1
                                        ; implicit-def: $vgpr42_vgpr43
                                        ; implicit-def: $vgpr40_vgpr41
	s_cbranch_execz .LBB128_154
; %bb.145:                              ;   in Loop: Header=BB128_114 Depth=1
                                        ; implicit-def: $vgpr42_vgpr43
                                        ; implicit-def: $vgpr40_vgpr41
	s_delay_alu instid0(VALU_DEP_1) | instskip(NEXT) | instid1(SALU_CYCLE_1)
	s_and_saveexec_b32 s1, s0
	s_xor_b32 s1, exec_lo, s1
	s_cbranch_execz .LBB128_151
; %bb.146:                              ;   in Loop: Header=BB128_114 Depth=1
	v_cmp_neq_f64_e32 vcc_lo, 0, v[36:37]
	v_cmp_neq_f64_e64 s0, 0, v[38:39]
                                        ; implicit-def: $vgpr42_vgpr43
                                        ; implicit-def: $vgpr40_vgpr41
	s_delay_alu instid0(VALU_DEP_1) | instskip(NEXT) | instid1(SALU_CYCLE_1)
	s_or_b32 s0, vcc_lo, s0
	s_and_saveexec_b32 s6, s0
	s_delay_alu instid0(SALU_CYCLE_1)
	s_xor_b32 s0, exec_lo, s6
	s_cbranch_execz .LBB128_148
; %bb.147:                              ;   in Loop: Header=BB128_114 Depth=1
	v_div_scale_f64 v[40:41], null, v[36:37], v[36:37], v[38:39]
	v_div_scale_f64 v[46:47], vcc_lo, v[38:39], v[36:37], v[38:39]
	s_delay_alu instid0(VALU_DEP_2) | instskip(SKIP_2) | instid1(VALU_DEP_1)
	v_rcp_f64_e32 v[42:43], v[40:41]
	s_waitcnt_depctr 0xfff
	v_fma_f64 v[44:45], -v[40:41], v[42:43], 1.0
	v_fma_f64 v[42:43], v[42:43], v[44:45], v[42:43]
	s_delay_alu instid0(VALU_DEP_1) | instskip(NEXT) | instid1(VALU_DEP_1)
	v_fma_f64 v[44:45], -v[40:41], v[42:43], 1.0
	v_fma_f64 v[42:43], v[42:43], v[44:45], v[42:43]
	s_delay_alu instid0(VALU_DEP_1) | instskip(NEXT) | instid1(VALU_DEP_1)
	v_mul_f64 v[44:45], v[46:47], v[42:43]
	v_fma_f64 v[40:41], -v[40:41], v[44:45], v[46:47]
	s_delay_alu instid0(VALU_DEP_1) | instskip(NEXT) | instid1(VALU_DEP_1)
	v_div_fmas_f64 v[40:41], v[40:41], v[42:43], v[44:45]
	v_div_fixup_f64 v[40:41], v[40:41], v[36:37], v[38:39]
	s_delay_alu instid0(VALU_DEP_1) | instskip(NEXT) | instid1(VALU_DEP_1)
	v_fma_f64 v[36:37], v[38:39], v[40:41], v[36:37]
	v_div_scale_f64 v[38:39], null, v[36:37], v[36:37], 1.0
	v_div_scale_f64 v[46:47], vcc_lo, 1.0, v[36:37], 1.0
	s_delay_alu instid0(VALU_DEP_2) | instskip(SKIP_2) | instid1(VALU_DEP_1)
	v_rcp_f64_e32 v[42:43], v[38:39]
	s_waitcnt_depctr 0xfff
	v_fma_f64 v[44:45], -v[38:39], v[42:43], 1.0
	v_fma_f64 v[42:43], v[42:43], v[44:45], v[42:43]
	s_delay_alu instid0(VALU_DEP_1) | instskip(NEXT) | instid1(VALU_DEP_1)
	v_fma_f64 v[44:45], -v[38:39], v[42:43], 1.0
	v_fma_f64 v[42:43], v[42:43], v[44:45], v[42:43]
	s_delay_alu instid0(VALU_DEP_1) | instskip(NEXT) | instid1(VALU_DEP_1)
	v_mul_f64 v[44:45], v[46:47], v[42:43]
	v_fma_f64 v[38:39], -v[38:39], v[44:45], v[46:47]
                                        ; implicit-def: $vgpr46_vgpr47
	s_delay_alu instid0(VALU_DEP_1) | instskip(SKIP_2) | instid1(VALU_DEP_3)
	v_div_fmas_f64 v[38:39], v[38:39], v[42:43], v[44:45]
	v_fma_f64 v[42:43], v[34:35], v[40:41], v[32:33]
	v_fma_f64 v[32:33], -v[32:33], v[40:41], v[34:35]
                                        ; implicit-def: $vgpr44_vgpr45
	v_div_fixup_f64 v[36:37], v[38:39], v[36:37], 1.0
	s_delay_alu instid0(VALU_DEP_1) | instskip(NEXT) | instid1(VALU_DEP_3)
	v_mul_f64 v[40:41], v[42:43], v[36:37]
	v_mul_f64 v[42:43], v[32:33], v[36:37]
                                        ; implicit-def: $vgpr32_vgpr33
.LBB128_148:                            ;   in Loop: Header=BB128_114 Depth=1
	s_and_not1_saveexec_b32 s6, s0
	s_cbranch_execz .LBB128_150
; %bb.149:                              ;   in Loop: Header=BB128_114 Depth=1
	v_div_scale_f64 v[36:37], null, v[44:45], v[44:45], v[32:33]
	v_div_scale_f64 v[38:39], null, v[46:47], v[46:47], v[34:35]
	v_div_scale_f64 v[61:62], vcc_lo, v[32:33], v[44:45], v[32:33]
	s_delay_alu instid0(VALU_DEP_3) | instskip(NEXT) | instid1(VALU_DEP_2)
	v_rcp_f64_e32 v[40:41], v[36:37]
	v_rcp_f64_e32 v[42:43], v[38:39]
	s_waitcnt_depctr 0xfff
	v_fma_f64 v[56:57], -v[36:37], v[40:41], 1.0
	v_fma_f64 v[58:59], -v[38:39], v[42:43], 1.0
	s_delay_alu instid0(VALU_DEP_2) | instskip(NEXT) | instid1(VALU_DEP_2)
	v_fma_f64 v[40:41], v[40:41], v[56:57], v[40:41]
	v_fma_f64 v[42:43], v[42:43], v[58:59], v[42:43]
	s_delay_alu instid0(VALU_DEP_2) | instskip(NEXT) | instid1(VALU_DEP_2)
	v_fma_f64 v[56:57], -v[36:37], v[40:41], 1.0
	v_fma_f64 v[58:59], -v[38:39], v[42:43], 1.0
	s_delay_alu instid0(VALU_DEP_2) | instskip(SKIP_1) | instid1(VALU_DEP_3)
	v_fma_f64 v[40:41], v[40:41], v[56:57], v[40:41]
	v_div_scale_f64 v[56:57], s0, v[34:35], v[46:47], v[34:35]
	v_fma_f64 v[42:43], v[42:43], v[58:59], v[42:43]
	s_delay_alu instid0(VALU_DEP_3) | instskip(NEXT) | instid1(VALU_DEP_2)
	v_mul_f64 v[58:59], v[61:62], v[40:41]
	v_mul_f64 v[63:64], v[56:57], v[42:43]
	s_delay_alu instid0(VALU_DEP_2) | instskip(NEXT) | instid1(VALU_DEP_2)
	v_fma_f64 v[36:37], -v[36:37], v[58:59], v[61:62]
	v_fma_f64 v[38:39], -v[38:39], v[63:64], v[56:57]
	s_delay_alu instid0(VALU_DEP_2) | instskip(SKIP_1) | instid1(VALU_DEP_2)
	v_div_fmas_f64 v[36:37], v[36:37], v[40:41], v[58:59]
	s_mov_b32 vcc_lo, s0
	v_div_fmas_f64 v[38:39], v[38:39], v[42:43], v[63:64]
	s_delay_alu instid0(VALU_DEP_2) | instskip(NEXT) | instid1(VALU_DEP_2)
	v_div_fixup_f64 v[40:41], v[36:37], v[44:45], v[32:33]
	v_div_fixup_f64 v[42:43], v[38:39], v[46:47], v[34:35]
.LBB128_150:                            ;   in Loop: Header=BB128_114 Depth=1
	s_or_b32 exec_lo, exec_lo, s6
                                        ; implicit-def: $vgpr38_vgpr39
                                        ; implicit-def: $vgpr32_vgpr33
.LBB128_151:                            ;   in Loop: Header=BB128_114 Depth=1
	s_and_not1_saveexec_b32 s0, s1
	s_cbranch_execz .LBB128_153
; %bb.152:                              ;   in Loop: Header=BB128_114 Depth=1
	v_div_scale_f64 v[40:41], null, v[38:39], v[38:39], v[36:37]
	v_div_scale_f64 v[46:47], vcc_lo, v[36:37], v[38:39], v[36:37]
	s_delay_alu instid0(VALU_DEP_2) | instskip(SKIP_2) | instid1(VALU_DEP_1)
	v_rcp_f64_e32 v[42:43], v[40:41]
	s_waitcnt_depctr 0xfff
	v_fma_f64 v[44:45], -v[40:41], v[42:43], 1.0
	v_fma_f64 v[42:43], v[42:43], v[44:45], v[42:43]
	s_delay_alu instid0(VALU_DEP_1) | instskip(NEXT) | instid1(VALU_DEP_1)
	v_fma_f64 v[44:45], -v[40:41], v[42:43], 1.0
	v_fma_f64 v[42:43], v[42:43], v[44:45], v[42:43]
	s_delay_alu instid0(VALU_DEP_1) | instskip(NEXT) | instid1(VALU_DEP_1)
	v_mul_f64 v[44:45], v[46:47], v[42:43]
	v_fma_f64 v[40:41], -v[40:41], v[44:45], v[46:47]
	s_delay_alu instid0(VALU_DEP_1) | instskip(NEXT) | instid1(VALU_DEP_1)
	v_div_fmas_f64 v[40:41], v[40:41], v[42:43], v[44:45]
	v_div_fixup_f64 v[40:41], v[40:41], v[38:39], v[36:37]
	s_delay_alu instid0(VALU_DEP_1) | instskip(NEXT) | instid1(VALU_DEP_1)
	v_fma_f64 v[36:37], v[36:37], v[40:41], v[38:39]
	v_div_scale_f64 v[38:39], null, v[36:37], v[36:37], 1.0
	v_div_scale_f64 v[46:47], vcc_lo, 1.0, v[36:37], 1.0
	s_delay_alu instid0(VALU_DEP_2) | instskip(SKIP_2) | instid1(VALU_DEP_1)
	v_rcp_f64_e32 v[42:43], v[38:39]
	s_waitcnt_depctr 0xfff
	v_fma_f64 v[44:45], -v[38:39], v[42:43], 1.0
	v_fma_f64 v[42:43], v[42:43], v[44:45], v[42:43]
	s_delay_alu instid0(VALU_DEP_1) | instskip(NEXT) | instid1(VALU_DEP_1)
	v_fma_f64 v[44:45], -v[38:39], v[42:43], 1.0
	v_fma_f64 v[42:43], v[42:43], v[44:45], v[42:43]
	s_delay_alu instid0(VALU_DEP_1) | instskip(NEXT) | instid1(VALU_DEP_1)
	v_mul_f64 v[44:45], v[46:47], v[42:43]
	v_fma_f64 v[38:39], -v[38:39], v[44:45], v[46:47]
	s_delay_alu instid0(VALU_DEP_1) | instskip(SKIP_2) | instid1(VALU_DEP_3)
	v_div_fmas_f64 v[38:39], v[38:39], v[42:43], v[44:45]
	v_fma_f64 v[42:43], v[32:33], v[40:41], v[34:35]
	v_fma_f64 v[32:33], v[34:35], v[40:41], -v[32:33]
	v_div_fixup_f64 v[36:37], v[38:39], v[36:37], 1.0
	s_delay_alu instid0(VALU_DEP_1) | instskip(NEXT) | instid1(VALU_DEP_3)
	v_mul_f64 v[40:41], v[42:43], v[36:37]
	v_mul_f64 v[42:43], v[32:33], v[36:37]
.LBB128_153:                            ;   in Loop: Header=BB128_114 Depth=1
	s_or_b32 exec_lo, exec_lo, s0
.LBB128_154:                            ;   in Loop: Header=BB128_114 Depth=1
	s_waitcnt vmcnt(0)
	v_cmp_gt_f64_e32 vcc_lo, 0, v[28:29]
	v_xor_b32_e32 v32, 0x80000000, v29
	v_mov_b32_e32 v36, v28
	v_xor_b32_e32 v33, 0x80000000, v31
	s_delay_alu instid0(VALU_DEP_3) | instskip(SKIP_1) | instid1(VALU_DEP_3)
	v_dual_mov_b32 v38, v30 :: v_dual_cndmask_b32 v37, v29, v32
	v_cmp_gt_f64_e32 vcc_lo, 0, v[30:31]
	v_cndmask_b32_e32 v39, v31, v33, vcc_lo
	s_and_not1_b32 vcc_lo, exec_lo, s4
	s_delay_alu instid0(VALU_DEP_1)
	v_cmp_ge_f64_e64 s0, v[36:37], v[38:39]
	s_cbranch_vccnz .LBB128_164
; %bb.155:                              ;   in Loop: Header=BB128_114 Depth=1
                                        ; implicit-def: $vgpr32_vgpr33
                                        ; implicit-def: $vgpr34_vgpr35
	s_delay_alu instid0(VALU_DEP_1) | instskip(NEXT) | instid1(SALU_CYCLE_1)
	s_and_saveexec_b32 s1, s0
	s_xor_b32 s6, exec_lo, s1
	s_cbranch_execz .LBB128_161
; %bb.156:                              ;   in Loop: Header=BB128_114 Depth=1
	v_cmp_neq_f64_e32 vcc_lo, 0, v[28:29]
	v_cmp_neq_f64_e64 s1, 0, v[30:31]
                                        ; implicit-def: $vgpr32_vgpr33
                                        ; implicit-def: $vgpr34_vgpr35
	s_delay_alu instid0(VALU_DEP_1) | instskip(NEXT) | instid1(SALU_CYCLE_1)
	s_or_b32 s1, vcc_lo, s1
	s_and_saveexec_b32 s7, s1
	s_delay_alu instid0(SALU_CYCLE_1)
	s_xor_b32 s1, exec_lo, s7
	s_cbranch_execz .LBB128_158
; %bb.157:                              ;   in Loop: Header=BB128_114 Depth=1
	v_div_scale_f64 v[32:33], null, v[28:29], v[28:29], v[30:31]
	v_div_scale_f64 v[46:47], vcc_lo, v[30:31], v[28:29], v[30:31]
	s_delay_alu instid0(VALU_DEP_2) | instskip(SKIP_2) | instid1(VALU_DEP_1)
	v_rcp_f64_e32 v[34:35], v[32:33]
	s_waitcnt_depctr 0xfff
	v_fma_f64 v[44:45], -v[32:33], v[34:35], 1.0
	v_fma_f64 v[34:35], v[34:35], v[44:45], v[34:35]
	s_delay_alu instid0(VALU_DEP_1) | instskip(NEXT) | instid1(VALU_DEP_1)
	v_fma_f64 v[44:45], -v[32:33], v[34:35], 1.0
	v_fma_f64 v[34:35], v[34:35], v[44:45], v[34:35]
	s_delay_alu instid0(VALU_DEP_1) | instskip(NEXT) | instid1(VALU_DEP_1)
	v_mul_f64 v[44:45], v[46:47], v[34:35]
	v_fma_f64 v[32:33], -v[32:33], v[44:45], v[46:47]
	s_delay_alu instid0(VALU_DEP_1) | instskip(NEXT) | instid1(VALU_DEP_1)
	v_div_fmas_f64 v[32:33], v[32:33], v[34:35], v[44:45]
	v_div_fixup_f64 v[32:33], v[32:33], v[28:29], v[30:31]
	s_delay_alu instid0(VALU_DEP_1) | instskip(NEXT) | instid1(VALU_DEP_1)
	v_fma_f64 v[34:35], v[30:31], v[32:33], v[28:29]
	v_div_scale_f64 v[44:45], null, v[34:35], v[34:35], 1.0
	v_div_scale_f64 v[58:59], vcc_lo, 1.0, v[34:35], 1.0
	s_delay_alu instid0(VALU_DEP_2) | instskip(SKIP_2) | instid1(VALU_DEP_1)
	v_rcp_f64_e32 v[46:47], v[44:45]
	s_waitcnt_depctr 0xfff
	v_fma_f64 v[56:57], -v[44:45], v[46:47], 1.0
	v_fma_f64 v[46:47], v[46:47], v[56:57], v[46:47]
	s_delay_alu instid0(VALU_DEP_1) | instskip(NEXT) | instid1(VALU_DEP_1)
	v_fma_f64 v[56:57], -v[44:45], v[46:47], 1.0
	v_fma_f64 v[46:47], v[46:47], v[56:57], v[46:47]
	s_delay_alu instid0(VALU_DEP_1) | instskip(NEXT) | instid1(VALU_DEP_1)
	v_mul_f64 v[56:57], v[58:59], v[46:47]
	v_fma_f64 v[44:45], -v[44:45], v[56:57], v[58:59]
	s_delay_alu instid0(VALU_DEP_1) | instskip(SKIP_2) | instid1(VALU_DEP_3)
	v_div_fmas_f64 v[44:45], v[44:45], v[46:47], v[56:57]
	v_fma_f64 v[46:47], v[26:27], v[32:33], v[24:25]
	v_fma_f64 v[32:33], -v[24:25], v[32:33], v[26:27]
	v_div_fixup_f64 v[44:45], v[44:45], v[34:35], 1.0
	s_delay_alu instid0(VALU_DEP_1) | instskip(NEXT) | instid1(VALU_DEP_3)
	v_mul_f64 v[34:35], v[46:47], v[44:45]
	v_mul_f64 v[32:33], v[32:33], v[44:45]
.LBB128_158:                            ;   in Loop: Header=BB128_114 Depth=1
	s_and_not1_saveexec_b32 s7, s1
	s_cbranch_execz .LBB128_160
; %bb.159:                              ;   in Loop: Header=BB128_114 Depth=1
	v_div_scale_f64 v[32:33], null, v[36:37], v[36:37], v[24:25]
	v_div_scale_f64 v[34:35], null, v[38:39], v[38:39], v[26:27]
	v_div_scale_f64 v[61:62], vcc_lo, v[24:25], v[36:37], v[24:25]
	s_delay_alu instid0(VALU_DEP_3) | instskip(NEXT) | instid1(VALU_DEP_2)
	v_rcp_f64_e32 v[44:45], v[32:33]
	v_rcp_f64_e32 v[46:47], v[34:35]
	s_waitcnt_depctr 0xfff
	v_fma_f64 v[56:57], -v[32:33], v[44:45], 1.0
	v_fma_f64 v[58:59], -v[34:35], v[46:47], 1.0
	s_delay_alu instid0(VALU_DEP_2) | instskip(NEXT) | instid1(VALU_DEP_2)
	v_fma_f64 v[44:45], v[44:45], v[56:57], v[44:45]
	v_fma_f64 v[46:47], v[46:47], v[58:59], v[46:47]
	s_delay_alu instid0(VALU_DEP_2) | instskip(NEXT) | instid1(VALU_DEP_2)
	v_fma_f64 v[56:57], -v[32:33], v[44:45], 1.0
	v_fma_f64 v[58:59], -v[34:35], v[46:47], 1.0
	s_delay_alu instid0(VALU_DEP_2) | instskip(SKIP_1) | instid1(VALU_DEP_3)
	v_fma_f64 v[44:45], v[44:45], v[56:57], v[44:45]
	v_div_scale_f64 v[56:57], s1, v[26:27], v[38:39], v[26:27]
	v_fma_f64 v[46:47], v[46:47], v[58:59], v[46:47]
	s_delay_alu instid0(VALU_DEP_3) | instskip(NEXT) | instid1(VALU_DEP_2)
	v_mul_f64 v[58:59], v[61:62], v[44:45]
	v_mul_f64 v[63:64], v[56:57], v[46:47]
	s_delay_alu instid0(VALU_DEP_2) | instskip(NEXT) | instid1(VALU_DEP_2)
	v_fma_f64 v[32:33], -v[32:33], v[58:59], v[61:62]
	v_fma_f64 v[34:35], -v[34:35], v[63:64], v[56:57]
	s_delay_alu instid0(VALU_DEP_2) | instskip(SKIP_1) | instid1(VALU_DEP_2)
	v_div_fmas_f64 v[32:33], v[32:33], v[44:45], v[58:59]
	s_mov_b32 vcc_lo, s1
	v_div_fmas_f64 v[44:45], v[34:35], v[46:47], v[63:64]
	s_delay_alu instid0(VALU_DEP_2) | instskip(NEXT) | instid1(VALU_DEP_2)
	v_div_fixup_f64 v[34:35], v[32:33], v[36:37], v[24:25]
	v_div_fixup_f64 v[32:33], v[44:45], v[38:39], v[26:27]
.LBB128_160:                            ;   in Loop: Header=BB128_114 Depth=1
	s_or_b32 exec_lo, exec_lo, s7
.LBB128_161:                            ;   in Loop: Header=BB128_114 Depth=1
	s_and_not1_saveexec_b32 s1, s6
	s_cbranch_execz .LBB128_163
; %bb.162:                              ;   in Loop: Header=BB128_114 Depth=1
	v_div_scale_f64 v[32:33], null, v[30:31], v[30:31], v[28:29]
	v_div_scale_f64 v[46:47], vcc_lo, v[28:29], v[30:31], v[28:29]
	s_delay_alu instid0(VALU_DEP_2) | instskip(SKIP_2) | instid1(VALU_DEP_1)
	v_rcp_f64_e32 v[34:35], v[32:33]
	s_waitcnt_depctr 0xfff
	v_fma_f64 v[44:45], -v[32:33], v[34:35], 1.0
	v_fma_f64 v[34:35], v[34:35], v[44:45], v[34:35]
	s_delay_alu instid0(VALU_DEP_1) | instskip(NEXT) | instid1(VALU_DEP_1)
	v_fma_f64 v[44:45], -v[32:33], v[34:35], 1.0
	v_fma_f64 v[34:35], v[34:35], v[44:45], v[34:35]
	s_delay_alu instid0(VALU_DEP_1) | instskip(NEXT) | instid1(VALU_DEP_1)
	v_mul_f64 v[44:45], v[46:47], v[34:35]
	v_fma_f64 v[32:33], -v[32:33], v[44:45], v[46:47]
	s_delay_alu instid0(VALU_DEP_1) | instskip(NEXT) | instid1(VALU_DEP_1)
	v_div_fmas_f64 v[32:33], v[32:33], v[34:35], v[44:45]
	v_div_fixup_f64 v[32:33], v[32:33], v[30:31], v[28:29]
	s_delay_alu instid0(VALU_DEP_1) | instskip(NEXT) | instid1(VALU_DEP_1)
	v_fma_f64 v[34:35], v[28:29], v[32:33], v[30:31]
	v_div_scale_f64 v[44:45], null, v[34:35], v[34:35], 1.0
	v_div_scale_f64 v[58:59], vcc_lo, 1.0, v[34:35], 1.0
	s_delay_alu instid0(VALU_DEP_2) | instskip(SKIP_2) | instid1(VALU_DEP_1)
	v_rcp_f64_e32 v[46:47], v[44:45]
	s_waitcnt_depctr 0xfff
	v_fma_f64 v[56:57], -v[44:45], v[46:47], 1.0
	v_fma_f64 v[46:47], v[46:47], v[56:57], v[46:47]
	s_delay_alu instid0(VALU_DEP_1) | instskip(NEXT) | instid1(VALU_DEP_1)
	v_fma_f64 v[56:57], -v[44:45], v[46:47], 1.0
	v_fma_f64 v[46:47], v[46:47], v[56:57], v[46:47]
	s_delay_alu instid0(VALU_DEP_1) | instskip(NEXT) | instid1(VALU_DEP_1)
	v_mul_f64 v[56:57], v[58:59], v[46:47]
	v_fma_f64 v[44:45], -v[44:45], v[56:57], v[58:59]
	s_delay_alu instid0(VALU_DEP_1) | instskip(SKIP_2) | instid1(VALU_DEP_3)
	v_div_fmas_f64 v[44:45], v[44:45], v[46:47], v[56:57]
	v_fma_f64 v[46:47], v[24:25], v[32:33], v[26:27]
	v_fma_f64 v[32:33], v[26:27], v[32:33], -v[24:25]
	v_div_fixup_f64 v[44:45], v[44:45], v[34:35], 1.0
	s_delay_alu instid0(VALU_DEP_1) | instskip(NEXT) | instid1(VALU_DEP_3)
	v_mul_f64 v[34:35], v[46:47], v[44:45]
	v_mul_f64 v[32:33], v[32:33], v[44:45]
.LBB128_163:                            ;   in Loop: Header=BB128_114 Depth=1
	s_or_b32 exec_lo, exec_lo, s1
	s_delay_alu instid0(VALU_DEP_1) | instskip(SKIP_1) | instid1(VALU_DEP_2)
	v_mul_f64 v[44:45], s[10:11], v[32:33]
	v_mul_f64 v[46:47], s[8:9], v[32:33]
	v_fma_f64 v[32:33], s[8:9], v[34:35], -v[44:45]
	s_delay_alu instid0(VALU_DEP_2)
	v_fma_f64 v[34:35], s[10:11], v[34:35], v[46:47]
	s_branch .LBB128_174
.LBB128_164:                            ;   in Loop: Header=BB128_114 Depth=1
                                        ; implicit-def: $vgpr34_vgpr35
                                        ; implicit-def: $vgpr32_vgpr33
	s_cbranch_execz .LBB128_174
; %bb.165:                              ;   in Loop: Header=BB128_114 Depth=1
                                        ; implicit-def: $vgpr34_vgpr35
                                        ; implicit-def: $vgpr32_vgpr33
	s_delay_alu instid0(VALU_DEP_1) | instskip(NEXT) | instid1(SALU_CYCLE_1)
	s_and_saveexec_b32 s1, s0
	s_xor_b32 s1, exec_lo, s1
	s_cbranch_execz .LBB128_171
; %bb.166:                              ;   in Loop: Header=BB128_114 Depth=1
	v_cmp_neq_f64_e32 vcc_lo, 0, v[28:29]
	v_cmp_neq_f64_e64 s0, 0, v[30:31]
                                        ; implicit-def: $vgpr34_vgpr35
                                        ; implicit-def: $vgpr32_vgpr33
	s_delay_alu instid0(VALU_DEP_1) | instskip(NEXT) | instid1(SALU_CYCLE_1)
	s_or_b32 s0, vcc_lo, s0
	s_and_saveexec_b32 s6, s0
	s_delay_alu instid0(SALU_CYCLE_1)
	s_xor_b32 s0, exec_lo, s6
	s_cbranch_execz .LBB128_168
; %bb.167:                              ;   in Loop: Header=BB128_114 Depth=1
	v_div_scale_f64 v[32:33], null, v[28:29], v[28:29], v[30:31]
	v_div_scale_f64 v[38:39], vcc_lo, v[30:31], v[28:29], v[30:31]
	s_delay_alu instid0(VALU_DEP_2) | instskip(SKIP_2) | instid1(VALU_DEP_1)
	v_rcp_f64_e32 v[34:35], v[32:33]
	s_waitcnt_depctr 0xfff
	v_fma_f64 v[36:37], -v[32:33], v[34:35], 1.0
	v_fma_f64 v[34:35], v[34:35], v[36:37], v[34:35]
	s_delay_alu instid0(VALU_DEP_1) | instskip(NEXT) | instid1(VALU_DEP_1)
	v_fma_f64 v[36:37], -v[32:33], v[34:35], 1.0
	v_fma_f64 v[34:35], v[34:35], v[36:37], v[34:35]
	s_delay_alu instid0(VALU_DEP_1) | instskip(NEXT) | instid1(VALU_DEP_1)
	v_mul_f64 v[36:37], v[38:39], v[34:35]
	v_fma_f64 v[32:33], -v[32:33], v[36:37], v[38:39]
	s_delay_alu instid0(VALU_DEP_1) | instskip(NEXT) | instid1(VALU_DEP_1)
	v_div_fmas_f64 v[32:33], v[32:33], v[34:35], v[36:37]
	v_div_fixup_f64 v[32:33], v[32:33], v[28:29], v[30:31]
	s_delay_alu instid0(VALU_DEP_1) | instskip(NEXT) | instid1(VALU_DEP_1)
	v_fma_f64 v[28:29], v[30:31], v[32:33], v[28:29]
	v_div_scale_f64 v[30:31], null, v[28:29], v[28:29], 1.0
	v_div_scale_f64 v[38:39], vcc_lo, 1.0, v[28:29], 1.0
	s_delay_alu instid0(VALU_DEP_2) | instskip(SKIP_2) | instid1(VALU_DEP_1)
	v_rcp_f64_e32 v[34:35], v[30:31]
	s_waitcnt_depctr 0xfff
	v_fma_f64 v[36:37], -v[30:31], v[34:35], 1.0
	v_fma_f64 v[34:35], v[34:35], v[36:37], v[34:35]
	s_delay_alu instid0(VALU_DEP_1) | instskip(NEXT) | instid1(VALU_DEP_1)
	v_fma_f64 v[36:37], -v[30:31], v[34:35], 1.0
	v_fma_f64 v[34:35], v[34:35], v[36:37], v[34:35]
	s_delay_alu instid0(VALU_DEP_1) | instskip(NEXT) | instid1(VALU_DEP_1)
	v_mul_f64 v[36:37], v[38:39], v[34:35]
	v_fma_f64 v[30:31], -v[30:31], v[36:37], v[38:39]
                                        ; implicit-def: $vgpr38_vgpr39
	s_delay_alu instid0(VALU_DEP_1) | instskip(SKIP_2) | instid1(VALU_DEP_3)
	v_div_fmas_f64 v[30:31], v[30:31], v[34:35], v[36:37]
	v_fma_f64 v[34:35], v[26:27], v[32:33], v[24:25]
	v_fma_f64 v[24:25], -v[24:25], v[32:33], v[26:27]
                                        ; implicit-def: $vgpr36_vgpr37
	v_div_fixup_f64 v[28:29], v[30:31], v[28:29], 1.0
	s_delay_alu instid0(VALU_DEP_1) | instskip(NEXT) | instid1(VALU_DEP_3)
	v_mul_f64 v[32:33], v[34:35], v[28:29]
	v_mul_f64 v[34:35], v[24:25], v[28:29]
                                        ; implicit-def: $vgpr24_vgpr25
.LBB128_168:                            ;   in Loop: Header=BB128_114 Depth=1
	s_and_not1_saveexec_b32 s6, s0
	s_cbranch_execz .LBB128_170
; %bb.169:                              ;   in Loop: Header=BB128_114 Depth=1
	v_div_scale_f64 v[28:29], null, v[36:37], v[36:37], v[24:25]
	v_div_scale_f64 v[30:31], null, v[38:39], v[38:39], v[26:27]
	v_div_scale_f64 v[56:57], vcc_lo, v[24:25], v[36:37], v[24:25]
	s_delay_alu instid0(VALU_DEP_3) | instskip(NEXT) | instid1(VALU_DEP_2)
	v_rcp_f64_e32 v[32:33], v[28:29]
	v_rcp_f64_e32 v[34:35], v[30:31]
	s_waitcnt_depctr 0xfff
	v_fma_f64 v[44:45], -v[28:29], v[32:33], 1.0
	v_fma_f64 v[46:47], -v[30:31], v[34:35], 1.0
	s_delay_alu instid0(VALU_DEP_2) | instskip(NEXT) | instid1(VALU_DEP_2)
	v_fma_f64 v[32:33], v[32:33], v[44:45], v[32:33]
	v_fma_f64 v[34:35], v[34:35], v[46:47], v[34:35]
	s_delay_alu instid0(VALU_DEP_2) | instskip(NEXT) | instid1(VALU_DEP_2)
	v_fma_f64 v[44:45], -v[28:29], v[32:33], 1.0
	v_fma_f64 v[46:47], -v[30:31], v[34:35], 1.0
	s_delay_alu instid0(VALU_DEP_2) | instskip(SKIP_1) | instid1(VALU_DEP_3)
	v_fma_f64 v[32:33], v[32:33], v[44:45], v[32:33]
	v_div_scale_f64 v[44:45], s0, v[26:27], v[38:39], v[26:27]
	v_fma_f64 v[34:35], v[34:35], v[46:47], v[34:35]
	s_delay_alu instid0(VALU_DEP_3) | instskip(NEXT) | instid1(VALU_DEP_2)
	v_mul_f64 v[46:47], v[56:57], v[32:33]
	v_mul_f64 v[58:59], v[44:45], v[34:35]
	s_delay_alu instid0(VALU_DEP_2) | instskip(NEXT) | instid1(VALU_DEP_2)
	v_fma_f64 v[28:29], -v[28:29], v[46:47], v[56:57]
	v_fma_f64 v[30:31], -v[30:31], v[58:59], v[44:45]
	s_delay_alu instid0(VALU_DEP_2) | instskip(SKIP_1) | instid1(VALU_DEP_2)
	v_div_fmas_f64 v[28:29], v[28:29], v[32:33], v[46:47]
	s_mov_b32 vcc_lo, s0
	v_div_fmas_f64 v[30:31], v[30:31], v[34:35], v[58:59]
	s_delay_alu instid0(VALU_DEP_2) | instskip(NEXT) | instid1(VALU_DEP_2)
	v_div_fixup_f64 v[32:33], v[28:29], v[36:37], v[24:25]
	v_div_fixup_f64 v[34:35], v[30:31], v[38:39], v[26:27]
.LBB128_170:                            ;   in Loop: Header=BB128_114 Depth=1
	s_or_b32 exec_lo, exec_lo, s6
                                        ; implicit-def: $vgpr30_vgpr31
                                        ; implicit-def: $vgpr24_vgpr25
.LBB128_171:                            ;   in Loop: Header=BB128_114 Depth=1
	s_and_not1_saveexec_b32 s0, s1
	s_cbranch_execz .LBB128_173
; %bb.172:                              ;   in Loop: Header=BB128_114 Depth=1
	v_div_scale_f64 v[32:33], null, v[30:31], v[30:31], v[28:29]
	v_div_scale_f64 v[38:39], vcc_lo, v[28:29], v[30:31], v[28:29]
	s_delay_alu instid0(VALU_DEP_2) | instskip(SKIP_2) | instid1(VALU_DEP_1)
	v_rcp_f64_e32 v[34:35], v[32:33]
	s_waitcnt_depctr 0xfff
	v_fma_f64 v[36:37], -v[32:33], v[34:35], 1.0
	v_fma_f64 v[34:35], v[34:35], v[36:37], v[34:35]
	s_delay_alu instid0(VALU_DEP_1) | instskip(NEXT) | instid1(VALU_DEP_1)
	v_fma_f64 v[36:37], -v[32:33], v[34:35], 1.0
	v_fma_f64 v[34:35], v[34:35], v[36:37], v[34:35]
	s_delay_alu instid0(VALU_DEP_1) | instskip(NEXT) | instid1(VALU_DEP_1)
	v_mul_f64 v[36:37], v[38:39], v[34:35]
	v_fma_f64 v[32:33], -v[32:33], v[36:37], v[38:39]
	s_delay_alu instid0(VALU_DEP_1) | instskip(NEXT) | instid1(VALU_DEP_1)
	v_div_fmas_f64 v[32:33], v[32:33], v[34:35], v[36:37]
	v_div_fixup_f64 v[32:33], v[32:33], v[30:31], v[28:29]
	s_delay_alu instid0(VALU_DEP_1) | instskip(NEXT) | instid1(VALU_DEP_1)
	v_fma_f64 v[28:29], v[28:29], v[32:33], v[30:31]
	v_div_scale_f64 v[30:31], null, v[28:29], v[28:29], 1.0
	v_div_scale_f64 v[38:39], vcc_lo, 1.0, v[28:29], 1.0
	s_delay_alu instid0(VALU_DEP_2) | instskip(SKIP_2) | instid1(VALU_DEP_1)
	v_rcp_f64_e32 v[34:35], v[30:31]
	s_waitcnt_depctr 0xfff
	v_fma_f64 v[36:37], -v[30:31], v[34:35], 1.0
	v_fma_f64 v[34:35], v[34:35], v[36:37], v[34:35]
	s_delay_alu instid0(VALU_DEP_1) | instskip(NEXT) | instid1(VALU_DEP_1)
	v_fma_f64 v[36:37], -v[30:31], v[34:35], 1.0
	v_fma_f64 v[34:35], v[34:35], v[36:37], v[34:35]
	s_delay_alu instid0(VALU_DEP_1) | instskip(NEXT) | instid1(VALU_DEP_1)
	v_mul_f64 v[36:37], v[38:39], v[34:35]
	v_fma_f64 v[30:31], -v[30:31], v[36:37], v[38:39]
	s_delay_alu instid0(VALU_DEP_1) | instskip(SKIP_2) | instid1(VALU_DEP_3)
	v_div_fmas_f64 v[30:31], v[30:31], v[34:35], v[36:37]
	v_fma_f64 v[34:35], v[24:25], v[32:33], v[26:27]
	v_fma_f64 v[24:25], v[26:27], v[32:33], -v[24:25]
	v_div_fixup_f64 v[28:29], v[30:31], v[28:29], 1.0
	s_delay_alu instid0(VALU_DEP_1) | instskip(NEXT) | instid1(VALU_DEP_3)
	v_mul_f64 v[32:33], v[34:35], v[28:29]
	v_mul_f64 v[34:35], v[24:25], v[28:29]
.LBB128_173:                            ;   in Loop: Header=BB128_114 Depth=1
	s_or_b32 exec_lo, exec_lo, s0
.LBB128_174:                            ;   in Loop: Header=BB128_114 Depth=1
	v_cmp_gt_f64_e32 vcc_lo, 0, v[20:21]
	v_xor_b32_e32 v25, 0x80000000, v21
	v_mov_b32_e32 v24, v20
	v_xor_b32_e32 v26, 0x80000000, v23
	s_delay_alu instid0(VALU_DEP_3) | instskip(SKIP_1) | instid1(VALU_DEP_3)
	v_cndmask_b32_e32 v25, v21, v25, vcc_lo
	v_cmp_gt_f64_e32 vcc_lo, 0, v[22:23]
	v_dual_cndmask_b32 v27, v23, v26 :: v_dual_mov_b32 v26, v22
	s_and_not1_b32 vcc_lo, exec_lo, s4
	s_delay_alu instid0(VALU_DEP_1)
	v_cmp_ge_f64_e64 s0, v[24:25], v[26:27]
	s_cbranch_vccnz .LBB128_184
; %bb.175:                              ;   in Loop: Header=BB128_114 Depth=1
                                        ; implicit-def: $vgpr28_vgpr29
                                        ; implicit-def: $vgpr30_vgpr31
	s_delay_alu instid0(VALU_DEP_1) | instskip(NEXT) | instid1(SALU_CYCLE_1)
	s_and_saveexec_b32 s1, s0
	s_xor_b32 s6, exec_lo, s1
	s_cbranch_execz .LBB128_181
; %bb.176:                              ;   in Loop: Header=BB128_114 Depth=1
	v_cmp_neq_f64_e32 vcc_lo, 0, v[20:21]
	v_cmp_neq_f64_e64 s1, 0, v[22:23]
                                        ; implicit-def: $vgpr28_vgpr29
                                        ; implicit-def: $vgpr30_vgpr31
	s_delay_alu instid0(VALU_DEP_1) | instskip(NEXT) | instid1(SALU_CYCLE_1)
	s_or_b32 s1, vcc_lo, s1
	s_and_saveexec_b32 s7, s1
	s_delay_alu instid0(SALU_CYCLE_1)
	s_xor_b32 s1, exec_lo, s7
	s_cbranch_execz .LBB128_178
; %bb.177:                              ;   in Loop: Header=BB128_114 Depth=1
	v_div_scale_f64 v[28:29], null, v[20:21], v[20:21], v[22:23]
	v_div_scale_f64 v[38:39], vcc_lo, v[22:23], v[20:21], v[22:23]
	s_delay_alu instid0(VALU_DEP_2) | instskip(SKIP_2) | instid1(VALU_DEP_1)
	v_rcp_f64_e32 v[30:31], v[28:29]
	s_waitcnt_depctr 0xfff
	v_fma_f64 v[36:37], -v[28:29], v[30:31], 1.0
	v_fma_f64 v[30:31], v[30:31], v[36:37], v[30:31]
	s_delay_alu instid0(VALU_DEP_1) | instskip(NEXT) | instid1(VALU_DEP_1)
	v_fma_f64 v[36:37], -v[28:29], v[30:31], 1.0
	v_fma_f64 v[30:31], v[30:31], v[36:37], v[30:31]
	s_delay_alu instid0(VALU_DEP_1) | instskip(NEXT) | instid1(VALU_DEP_1)
	v_mul_f64 v[36:37], v[38:39], v[30:31]
	v_fma_f64 v[28:29], -v[28:29], v[36:37], v[38:39]
	s_delay_alu instid0(VALU_DEP_1) | instskip(NEXT) | instid1(VALU_DEP_1)
	v_div_fmas_f64 v[28:29], v[28:29], v[30:31], v[36:37]
	v_div_fixup_f64 v[28:29], v[28:29], v[20:21], v[22:23]
	s_delay_alu instid0(VALU_DEP_1) | instskip(NEXT) | instid1(VALU_DEP_1)
	v_fma_f64 v[30:31], v[22:23], v[28:29], v[20:21]
	v_div_scale_f64 v[36:37], null, v[30:31], v[30:31], 1.0
	v_div_scale_f64 v[46:47], vcc_lo, 1.0, v[30:31], 1.0
	s_delay_alu instid0(VALU_DEP_2) | instskip(SKIP_2) | instid1(VALU_DEP_1)
	v_rcp_f64_e32 v[38:39], v[36:37]
	s_waitcnt_depctr 0xfff
	v_fma_f64 v[44:45], -v[36:37], v[38:39], 1.0
	v_fma_f64 v[38:39], v[38:39], v[44:45], v[38:39]
	s_delay_alu instid0(VALU_DEP_1) | instskip(NEXT) | instid1(VALU_DEP_1)
	v_fma_f64 v[44:45], -v[36:37], v[38:39], 1.0
	v_fma_f64 v[38:39], v[38:39], v[44:45], v[38:39]
	s_delay_alu instid0(VALU_DEP_1) | instskip(NEXT) | instid1(VALU_DEP_1)
	v_mul_f64 v[44:45], v[46:47], v[38:39]
	v_fma_f64 v[36:37], -v[36:37], v[44:45], v[46:47]
	s_delay_alu instid0(VALU_DEP_1) | instskip(SKIP_2) | instid1(VALU_DEP_3)
	v_div_fmas_f64 v[36:37], v[36:37], v[38:39], v[44:45]
	v_fma_f64 v[38:39], v[18:19], v[28:29], v[16:17]
	v_fma_f64 v[28:29], -v[16:17], v[28:29], v[18:19]
	v_div_fixup_f64 v[36:37], v[36:37], v[30:31], 1.0
	s_delay_alu instid0(VALU_DEP_1) | instskip(NEXT) | instid1(VALU_DEP_3)
	v_mul_f64 v[30:31], v[38:39], v[36:37]
	v_mul_f64 v[28:29], v[28:29], v[36:37]
.LBB128_178:                            ;   in Loop: Header=BB128_114 Depth=1
	s_and_not1_saveexec_b32 s7, s1
	s_cbranch_execz .LBB128_180
; %bb.179:                              ;   in Loop: Header=BB128_114 Depth=1
	v_div_scale_f64 v[28:29], null, v[24:25], v[24:25], v[16:17]
	v_div_scale_f64 v[30:31], null, v[26:27], v[26:27], v[18:19]
	v_div_scale_f64 v[56:57], vcc_lo, v[16:17], v[24:25], v[16:17]
	s_delay_alu instid0(VALU_DEP_3) | instskip(NEXT) | instid1(VALU_DEP_2)
	v_rcp_f64_e32 v[36:37], v[28:29]
	v_rcp_f64_e32 v[38:39], v[30:31]
	s_waitcnt_depctr 0xfff
	v_fma_f64 v[44:45], -v[28:29], v[36:37], 1.0
	v_fma_f64 v[46:47], -v[30:31], v[38:39], 1.0
	s_delay_alu instid0(VALU_DEP_2) | instskip(NEXT) | instid1(VALU_DEP_2)
	v_fma_f64 v[36:37], v[36:37], v[44:45], v[36:37]
	v_fma_f64 v[38:39], v[38:39], v[46:47], v[38:39]
	s_delay_alu instid0(VALU_DEP_2) | instskip(NEXT) | instid1(VALU_DEP_2)
	v_fma_f64 v[44:45], -v[28:29], v[36:37], 1.0
	v_fma_f64 v[46:47], -v[30:31], v[38:39], 1.0
	s_delay_alu instid0(VALU_DEP_2) | instskip(SKIP_1) | instid1(VALU_DEP_3)
	v_fma_f64 v[36:37], v[36:37], v[44:45], v[36:37]
	v_div_scale_f64 v[44:45], s1, v[18:19], v[26:27], v[18:19]
	v_fma_f64 v[38:39], v[38:39], v[46:47], v[38:39]
	s_delay_alu instid0(VALU_DEP_3) | instskip(NEXT) | instid1(VALU_DEP_2)
	v_mul_f64 v[46:47], v[56:57], v[36:37]
	v_mul_f64 v[58:59], v[44:45], v[38:39]
	s_delay_alu instid0(VALU_DEP_2) | instskip(NEXT) | instid1(VALU_DEP_2)
	v_fma_f64 v[28:29], -v[28:29], v[46:47], v[56:57]
	v_fma_f64 v[30:31], -v[30:31], v[58:59], v[44:45]
	s_delay_alu instid0(VALU_DEP_2) | instskip(SKIP_1) | instid1(VALU_DEP_2)
	v_div_fmas_f64 v[28:29], v[28:29], v[36:37], v[46:47]
	s_mov_b32 vcc_lo, s1
	v_div_fmas_f64 v[36:37], v[30:31], v[38:39], v[58:59]
	s_delay_alu instid0(VALU_DEP_2) | instskip(NEXT) | instid1(VALU_DEP_2)
	v_div_fixup_f64 v[30:31], v[28:29], v[24:25], v[16:17]
	v_div_fixup_f64 v[28:29], v[36:37], v[26:27], v[18:19]
.LBB128_180:                            ;   in Loop: Header=BB128_114 Depth=1
	s_or_b32 exec_lo, exec_lo, s7
.LBB128_181:                            ;   in Loop: Header=BB128_114 Depth=1
	s_and_not1_saveexec_b32 s1, s6
	s_cbranch_execz .LBB128_183
; %bb.182:                              ;   in Loop: Header=BB128_114 Depth=1
	v_div_scale_f64 v[28:29], null, v[22:23], v[22:23], v[20:21]
	v_div_scale_f64 v[38:39], vcc_lo, v[20:21], v[22:23], v[20:21]
	s_delay_alu instid0(VALU_DEP_2) | instskip(SKIP_2) | instid1(VALU_DEP_1)
	v_rcp_f64_e32 v[30:31], v[28:29]
	s_waitcnt_depctr 0xfff
	v_fma_f64 v[36:37], -v[28:29], v[30:31], 1.0
	v_fma_f64 v[30:31], v[30:31], v[36:37], v[30:31]
	s_delay_alu instid0(VALU_DEP_1) | instskip(NEXT) | instid1(VALU_DEP_1)
	v_fma_f64 v[36:37], -v[28:29], v[30:31], 1.0
	v_fma_f64 v[30:31], v[30:31], v[36:37], v[30:31]
	s_delay_alu instid0(VALU_DEP_1) | instskip(NEXT) | instid1(VALU_DEP_1)
	v_mul_f64 v[36:37], v[38:39], v[30:31]
	v_fma_f64 v[28:29], -v[28:29], v[36:37], v[38:39]
	s_delay_alu instid0(VALU_DEP_1) | instskip(NEXT) | instid1(VALU_DEP_1)
	v_div_fmas_f64 v[28:29], v[28:29], v[30:31], v[36:37]
	v_div_fixup_f64 v[28:29], v[28:29], v[22:23], v[20:21]
	s_delay_alu instid0(VALU_DEP_1) | instskip(NEXT) | instid1(VALU_DEP_1)
	v_fma_f64 v[30:31], v[20:21], v[28:29], v[22:23]
	v_div_scale_f64 v[36:37], null, v[30:31], v[30:31], 1.0
	v_div_scale_f64 v[46:47], vcc_lo, 1.0, v[30:31], 1.0
	s_delay_alu instid0(VALU_DEP_2) | instskip(SKIP_2) | instid1(VALU_DEP_1)
	v_rcp_f64_e32 v[38:39], v[36:37]
	s_waitcnt_depctr 0xfff
	v_fma_f64 v[44:45], -v[36:37], v[38:39], 1.0
	v_fma_f64 v[38:39], v[38:39], v[44:45], v[38:39]
	s_delay_alu instid0(VALU_DEP_1) | instskip(NEXT) | instid1(VALU_DEP_1)
	v_fma_f64 v[44:45], -v[36:37], v[38:39], 1.0
	v_fma_f64 v[38:39], v[38:39], v[44:45], v[38:39]
	s_delay_alu instid0(VALU_DEP_1) | instskip(NEXT) | instid1(VALU_DEP_1)
	v_mul_f64 v[44:45], v[46:47], v[38:39]
	v_fma_f64 v[36:37], -v[36:37], v[44:45], v[46:47]
	s_delay_alu instid0(VALU_DEP_1) | instskip(SKIP_2) | instid1(VALU_DEP_3)
	v_div_fmas_f64 v[36:37], v[36:37], v[38:39], v[44:45]
	v_fma_f64 v[38:39], v[16:17], v[28:29], v[18:19]
	v_fma_f64 v[28:29], v[18:19], v[28:29], -v[16:17]
	v_div_fixup_f64 v[36:37], v[36:37], v[30:31], 1.0
	s_delay_alu instid0(VALU_DEP_1) | instskip(NEXT) | instid1(VALU_DEP_3)
	v_mul_f64 v[30:31], v[38:39], v[36:37]
	v_mul_f64 v[28:29], v[28:29], v[36:37]
.LBB128_183:                            ;   in Loop: Header=BB128_114 Depth=1
	s_or_b32 exec_lo, exec_lo, s1
	s_delay_alu instid0(VALU_DEP_1) | instskip(SKIP_1) | instid1(VALU_DEP_2)
	v_mul_f64 v[36:37], s[10:11], v[28:29]
	v_mul_f64 v[38:39], s[8:9], v[28:29]
	v_fma_f64 v[28:29], s[8:9], v[30:31], -v[36:37]
	s_delay_alu instid0(VALU_DEP_2)
	v_fma_f64 v[30:31], s[10:11], v[30:31], v[38:39]
	s_branch .LBB128_113
.LBB128_184:                            ;   in Loop: Header=BB128_114 Depth=1
                                        ; implicit-def: $vgpr30_vgpr31
                                        ; implicit-def: $vgpr28_vgpr29
	s_cbranch_execz .LBB128_113
; %bb.185:                              ;   in Loop: Header=BB128_114 Depth=1
                                        ; implicit-def: $vgpr30_vgpr31
                                        ; implicit-def: $vgpr28_vgpr29
	s_delay_alu instid0(VALU_DEP_1) | instskip(NEXT) | instid1(SALU_CYCLE_1)
	s_and_saveexec_b32 s1, s0
	s_xor_b32 s1, exec_lo, s1
	s_cbranch_execz .LBB128_191
; %bb.186:                              ;   in Loop: Header=BB128_114 Depth=1
	v_cmp_neq_f64_e32 vcc_lo, 0, v[20:21]
	v_cmp_neq_f64_e64 s0, 0, v[22:23]
                                        ; implicit-def: $vgpr30_vgpr31
                                        ; implicit-def: $vgpr28_vgpr29
	s_delay_alu instid0(VALU_DEP_1) | instskip(NEXT) | instid1(SALU_CYCLE_1)
	s_or_b32 s0, vcc_lo, s0
	s_and_saveexec_b32 s6, s0
	s_delay_alu instid0(SALU_CYCLE_1)
	s_xor_b32 s0, exec_lo, s6
	s_cbranch_execz .LBB128_188
; %bb.187:                              ;   in Loop: Header=BB128_114 Depth=1
	v_div_scale_f64 v[24:25], null, v[20:21], v[20:21], v[22:23]
	v_div_scale_f64 v[30:31], vcc_lo, v[22:23], v[20:21], v[22:23]
	s_delay_alu instid0(VALU_DEP_2) | instskip(SKIP_2) | instid1(VALU_DEP_1)
	v_rcp_f64_e32 v[26:27], v[24:25]
	s_waitcnt_depctr 0xfff
	v_fma_f64 v[28:29], -v[24:25], v[26:27], 1.0
	v_fma_f64 v[26:27], v[26:27], v[28:29], v[26:27]
	s_delay_alu instid0(VALU_DEP_1) | instskip(NEXT) | instid1(VALU_DEP_1)
	v_fma_f64 v[28:29], -v[24:25], v[26:27], 1.0
	v_fma_f64 v[26:27], v[26:27], v[28:29], v[26:27]
	s_delay_alu instid0(VALU_DEP_1) | instskip(NEXT) | instid1(VALU_DEP_1)
	v_mul_f64 v[28:29], v[30:31], v[26:27]
	v_fma_f64 v[24:25], -v[24:25], v[28:29], v[30:31]
	s_delay_alu instid0(VALU_DEP_1) | instskip(NEXT) | instid1(VALU_DEP_1)
	v_div_fmas_f64 v[24:25], v[24:25], v[26:27], v[28:29]
	v_div_fixup_f64 v[24:25], v[24:25], v[20:21], v[22:23]
	s_delay_alu instid0(VALU_DEP_1) | instskip(NEXT) | instid1(VALU_DEP_1)
	v_fma_f64 v[20:21], v[22:23], v[24:25], v[20:21]
	v_div_scale_f64 v[22:23], null, v[20:21], v[20:21], 1.0
	v_div_scale_f64 v[30:31], vcc_lo, 1.0, v[20:21], 1.0
	s_delay_alu instid0(VALU_DEP_2) | instskip(SKIP_2) | instid1(VALU_DEP_1)
	v_rcp_f64_e32 v[26:27], v[22:23]
	s_waitcnt_depctr 0xfff
	v_fma_f64 v[28:29], -v[22:23], v[26:27], 1.0
	v_fma_f64 v[26:27], v[26:27], v[28:29], v[26:27]
	s_delay_alu instid0(VALU_DEP_1) | instskip(NEXT) | instid1(VALU_DEP_1)
	v_fma_f64 v[28:29], -v[22:23], v[26:27], 1.0
	v_fma_f64 v[26:27], v[26:27], v[28:29], v[26:27]
	s_delay_alu instid0(VALU_DEP_1) | instskip(NEXT) | instid1(VALU_DEP_1)
	v_mul_f64 v[28:29], v[30:31], v[26:27]
	v_fma_f64 v[22:23], -v[22:23], v[28:29], v[30:31]
	s_delay_alu instid0(VALU_DEP_1) | instskip(SKIP_2) | instid1(VALU_DEP_3)
	v_div_fmas_f64 v[22:23], v[22:23], v[26:27], v[28:29]
	v_fma_f64 v[26:27], v[18:19], v[24:25], v[16:17]
	v_fma_f64 v[16:17], -v[16:17], v[24:25], v[18:19]
                                        ; implicit-def: $vgpr24_vgpr25
	v_div_fixup_f64 v[20:21], v[22:23], v[20:21], 1.0
	s_delay_alu instid0(VALU_DEP_1) | instskip(NEXT) | instid1(VALU_DEP_3)
	v_mul_f64 v[28:29], v[26:27], v[20:21]
	v_mul_f64 v[30:31], v[16:17], v[20:21]
                                        ; implicit-def: $vgpr16_vgpr17
                                        ; implicit-def: $vgpr26_vgpr27
.LBB128_188:                            ;   in Loop: Header=BB128_114 Depth=1
	s_and_not1_saveexec_b32 s6, s0
	s_cbranch_execz .LBB128_190
; %bb.189:                              ;   in Loop: Header=BB128_114 Depth=1
	v_div_scale_f64 v[20:21], null, v[24:25], v[24:25], v[16:17]
	v_div_scale_f64 v[22:23], null, v[26:27], v[26:27], v[18:19]
	v_div_scale_f64 v[44:45], vcc_lo, v[16:17], v[24:25], v[16:17]
	s_delay_alu instid0(VALU_DEP_3) | instskip(NEXT) | instid1(VALU_DEP_2)
	v_rcp_f64_e32 v[28:29], v[20:21]
	v_rcp_f64_e32 v[30:31], v[22:23]
	s_waitcnt_depctr 0xfff
	v_fma_f64 v[36:37], -v[20:21], v[28:29], 1.0
	v_fma_f64 v[38:39], -v[22:23], v[30:31], 1.0
	s_delay_alu instid0(VALU_DEP_2) | instskip(NEXT) | instid1(VALU_DEP_2)
	v_fma_f64 v[28:29], v[28:29], v[36:37], v[28:29]
	v_fma_f64 v[30:31], v[30:31], v[38:39], v[30:31]
	s_delay_alu instid0(VALU_DEP_2) | instskip(NEXT) | instid1(VALU_DEP_2)
	v_fma_f64 v[36:37], -v[20:21], v[28:29], 1.0
	v_fma_f64 v[38:39], -v[22:23], v[30:31], 1.0
	s_delay_alu instid0(VALU_DEP_2) | instskip(SKIP_1) | instid1(VALU_DEP_3)
	v_fma_f64 v[28:29], v[28:29], v[36:37], v[28:29]
	v_div_scale_f64 v[36:37], s0, v[18:19], v[26:27], v[18:19]
	v_fma_f64 v[30:31], v[30:31], v[38:39], v[30:31]
	s_delay_alu instid0(VALU_DEP_3) | instskip(NEXT) | instid1(VALU_DEP_2)
	v_mul_f64 v[38:39], v[44:45], v[28:29]
	v_mul_f64 v[46:47], v[36:37], v[30:31]
	s_delay_alu instid0(VALU_DEP_2) | instskip(NEXT) | instid1(VALU_DEP_2)
	v_fma_f64 v[20:21], -v[20:21], v[38:39], v[44:45]
	v_fma_f64 v[22:23], -v[22:23], v[46:47], v[36:37]
	s_delay_alu instid0(VALU_DEP_2) | instskip(SKIP_1) | instid1(VALU_DEP_2)
	v_div_fmas_f64 v[20:21], v[20:21], v[28:29], v[38:39]
	s_mov_b32 vcc_lo, s0
	v_div_fmas_f64 v[22:23], v[22:23], v[30:31], v[46:47]
	s_delay_alu instid0(VALU_DEP_2) | instskip(NEXT) | instid1(VALU_DEP_2)
	v_div_fixup_f64 v[28:29], v[20:21], v[24:25], v[16:17]
	v_div_fixup_f64 v[30:31], v[22:23], v[26:27], v[18:19]
.LBB128_190:                            ;   in Loop: Header=BB128_114 Depth=1
	s_or_b32 exec_lo, exec_lo, s6
                                        ; implicit-def: $vgpr22_vgpr23
                                        ; implicit-def: $vgpr16_vgpr17
.LBB128_191:                            ;   in Loop: Header=BB128_114 Depth=1
	s_and_not1_saveexec_b32 s0, s1
	s_cbranch_execz .LBB128_112
; %bb.192:                              ;   in Loop: Header=BB128_114 Depth=1
	v_div_scale_f64 v[24:25], null, v[22:23], v[22:23], v[20:21]
	v_div_scale_f64 v[30:31], vcc_lo, v[20:21], v[22:23], v[20:21]
	s_delay_alu instid0(VALU_DEP_2) | instskip(SKIP_2) | instid1(VALU_DEP_1)
	v_rcp_f64_e32 v[26:27], v[24:25]
	s_waitcnt_depctr 0xfff
	v_fma_f64 v[28:29], -v[24:25], v[26:27], 1.0
	v_fma_f64 v[26:27], v[26:27], v[28:29], v[26:27]
	s_delay_alu instid0(VALU_DEP_1) | instskip(NEXT) | instid1(VALU_DEP_1)
	v_fma_f64 v[28:29], -v[24:25], v[26:27], 1.0
	v_fma_f64 v[26:27], v[26:27], v[28:29], v[26:27]
	s_delay_alu instid0(VALU_DEP_1) | instskip(NEXT) | instid1(VALU_DEP_1)
	v_mul_f64 v[28:29], v[30:31], v[26:27]
	v_fma_f64 v[24:25], -v[24:25], v[28:29], v[30:31]
	s_delay_alu instid0(VALU_DEP_1) | instskip(NEXT) | instid1(VALU_DEP_1)
	v_div_fmas_f64 v[24:25], v[24:25], v[26:27], v[28:29]
	v_div_fixup_f64 v[24:25], v[24:25], v[22:23], v[20:21]
	s_delay_alu instid0(VALU_DEP_1) | instskip(NEXT) | instid1(VALU_DEP_1)
	v_fma_f64 v[20:21], v[20:21], v[24:25], v[22:23]
	v_div_scale_f64 v[22:23], null, v[20:21], v[20:21], 1.0
	v_div_scale_f64 v[30:31], vcc_lo, 1.0, v[20:21], 1.0
	s_delay_alu instid0(VALU_DEP_2) | instskip(SKIP_2) | instid1(VALU_DEP_1)
	v_rcp_f64_e32 v[26:27], v[22:23]
	s_waitcnt_depctr 0xfff
	v_fma_f64 v[28:29], -v[22:23], v[26:27], 1.0
	v_fma_f64 v[26:27], v[26:27], v[28:29], v[26:27]
	s_delay_alu instid0(VALU_DEP_1) | instskip(NEXT) | instid1(VALU_DEP_1)
	v_fma_f64 v[28:29], -v[22:23], v[26:27], 1.0
	v_fma_f64 v[26:27], v[26:27], v[28:29], v[26:27]
	s_delay_alu instid0(VALU_DEP_1) | instskip(NEXT) | instid1(VALU_DEP_1)
	v_mul_f64 v[28:29], v[30:31], v[26:27]
	v_fma_f64 v[22:23], -v[22:23], v[28:29], v[30:31]
	s_delay_alu instid0(VALU_DEP_1) | instskip(SKIP_2) | instid1(VALU_DEP_3)
	v_div_fmas_f64 v[22:23], v[22:23], v[26:27], v[28:29]
	v_fma_f64 v[26:27], v[16:17], v[24:25], v[18:19]
	v_fma_f64 v[16:17], v[18:19], v[24:25], -v[16:17]
	v_div_fixup_f64 v[20:21], v[22:23], v[20:21], 1.0
	s_delay_alu instid0(VALU_DEP_1) | instskip(NEXT) | instid1(VALU_DEP_3)
	v_mul_f64 v[28:29], v[26:27], v[20:21]
	v_mul_f64 v[30:31], v[16:17], v[20:21]
	s_branch .LBB128_112
.LBB128_193:
	s_nop 0
	s_sendmsg sendmsg(MSG_DEALLOC_VGPRS)
	s_endpgm
	.section	.rodata,"a",@progbits
	.p2align	6, 0x0
	.amdhsa_kernel _ZN2at6native12_GLOBAL__N_125multi_tensor_apply_kernelINS1_28TensorListScalarListMetadataIN3c107complexIdEELi3EEENS1_28PointwiseOpScalarListFunctorIS6_Li3ELi3ELi0EEEJSt7dividesIS6_EEEEvT_T0_DpT1_
		.amdhsa_group_segment_fixed_size 0
		.amdhsa_private_segment_fixed_size 0
		.amdhsa_kernarg_size 4168
		.amdhsa_user_sgpr_count 15
		.amdhsa_user_sgpr_dispatch_ptr 0
		.amdhsa_user_sgpr_queue_ptr 0
		.amdhsa_user_sgpr_kernarg_segment_ptr 1
		.amdhsa_user_sgpr_dispatch_id 0
		.amdhsa_user_sgpr_private_segment_size 0
		.amdhsa_wavefront_size32 1
		.amdhsa_uses_dynamic_stack 0
		.amdhsa_enable_private_segment 0
		.amdhsa_system_sgpr_workgroup_id_x 1
		.amdhsa_system_sgpr_workgroup_id_y 0
		.amdhsa_system_sgpr_workgroup_id_z 0
		.amdhsa_system_sgpr_workgroup_info 0
		.amdhsa_system_vgpr_workitem_id 0
		.amdhsa_next_free_vgpr 95
		.amdhsa_next_free_sgpr 35
		.amdhsa_reserve_vcc 1
		.amdhsa_float_round_mode_32 0
		.amdhsa_float_round_mode_16_64 0
		.amdhsa_float_denorm_mode_32 3
		.amdhsa_float_denorm_mode_16_64 3
		.amdhsa_dx10_clamp 1
		.amdhsa_ieee_mode 1
		.amdhsa_fp16_overflow 0
		.amdhsa_workgroup_processor_mode 1
		.amdhsa_memory_ordered 1
		.amdhsa_forward_progress 0
		.amdhsa_shared_vgpr_count 0
		.amdhsa_exception_fp_ieee_invalid_op 0
		.amdhsa_exception_fp_denorm_src 0
		.amdhsa_exception_fp_ieee_div_zero 0
		.amdhsa_exception_fp_ieee_overflow 0
		.amdhsa_exception_fp_ieee_underflow 0
		.amdhsa_exception_fp_ieee_inexact 0
		.amdhsa_exception_int_div_zero 0
	.end_amdhsa_kernel
	.section	.text._ZN2at6native12_GLOBAL__N_125multi_tensor_apply_kernelINS1_28TensorListScalarListMetadataIN3c107complexIdEELi3EEENS1_28PointwiseOpScalarListFunctorIS6_Li3ELi3ELi0EEEJSt7dividesIS6_EEEEvT_T0_DpT1_,"axG",@progbits,_ZN2at6native12_GLOBAL__N_125multi_tensor_apply_kernelINS1_28TensorListScalarListMetadataIN3c107complexIdEELi3EEENS1_28PointwiseOpScalarListFunctorIS6_Li3ELi3ELi0EEEJSt7dividesIS6_EEEEvT_T0_DpT1_,comdat
.Lfunc_end128:
	.size	_ZN2at6native12_GLOBAL__N_125multi_tensor_apply_kernelINS1_28TensorListScalarListMetadataIN3c107complexIdEELi3EEENS1_28PointwiseOpScalarListFunctorIS6_Li3ELi3ELi0EEEJSt7dividesIS6_EEEEvT_T0_DpT1_, .Lfunc_end128-_ZN2at6native12_GLOBAL__N_125multi_tensor_apply_kernelINS1_28TensorListScalarListMetadataIN3c107complexIdEELi3EEENS1_28PointwiseOpScalarListFunctorIS6_Li3ELi3ELi0EEEJSt7dividesIS6_EEEEvT_T0_DpT1_
                                        ; -- End function
	.section	.AMDGPU.csdata,"",@progbits
; Kernel info:
; codeLenInByte = 15880
; NumSgprs: 37
; NumVgprs: 95
; ScratchSize: 0
; MemoryBound: 1
; FloatMode: 240
; IeeeMode: 1
; LDSByteSize: 0 bytes/workgroup (compile time only)
; SGPRBlocks: 4
; VGPRBlocks: 11
; NumSGPRsForWavesPerEU: 37
; NumVGPRsForWavesPerEU: 95
; Occupancy: 16
; WaveLimiterHint : 0
; COMPUTE_PGM_RSRC2:SCRATCH_EN: 0
; COMPUTE_PGM_RSRC2:USER_SGPR: 15
; COMPUTE_PGM_RSRC2:TRAP_HANDLER: 0
; COMPUTE_PGM_RSRC2:TGID_X_EN: 1
; COMPUTE_PGM_RSRC2:TGID_Y_EN: 0
; COMPUTE_PGM_RSRC2:TGID_Z_EN: 0
; COMPUTE_PGM_RSRC2:TIDIG_COMP_CNT: 0
	.section	.text._ZN2at6native12_GLOBAL__N_125multi_tensor_apply_kernelINS1_28TensorListScalarListMetadataIN3c107complexIfEELi3EEENS1_28PointwiseOpScalarListFunctorIS6_Li3ELi3ELi0EEEJSt7dividesIS6_EEEEvT_T0_DpT1_,"axG",@progbits,_ZN2at6native12_GLOBAL__N_125multi_tensor_apply_kernelINS1_28TensorListScalarListMetadataIN3c107complexIfEELi3EEENS1_28PointwiseOpScalarListFunctorIS6_Li3ELi3ELi0EEEJSt7dividesIS6_EEEEvT_T0_DpT1_,comdat
	.globl	_ZN2at6native12_GLOBAL__N_125multi_tensor_apply_kernelINS1_28TensorListScalarListMetadataIN3c107complexIfEELi3EEENS1_28PointwiseOpScalarListFunctorIS6_Li3ELi3ELi0EEEJSt7dividesIS6_EEEEvT_T0_DpT1_ ; -- Begin function _ZN2at6native12_GLOBAL__N_125multi_tensor_apply_kernelINS1_28TensorListScalarListMetadataIN3c107complexIfEELi3EEENS1_28PointwiseOpScalarListFunctorIS6_Li3ELi3ELi0EEEJSt7dividesIS6_EEEEvT_T0_DpT1_
	.p2align	8
	.type	_ZN2at6native12_GLOBAL__N_125multi_tensor_apply_kernelINS1_28TensorListScalarListMetadataIN3c107complexIfEELi3EEENS1_28PointwiseOpScalarListFunctorIS6_Li3ELi3ELi0EEEJSt7dividesIS6_EEEEvT_T0_DpT1_,@function
_ZN2at6native12_GLOBAL__N_125multi_tensor_apply_kernelINS1_28TensorListScalarListMetadataIN3c107complexIfEELi3EEENS1_28PointwiseOpScalarListFunctorIS6_Li3ELi3ELi0EEEJSt7dividesIS6_EEEEvT_T0_DpT1_: ; @_ZN2at6native12_GLOBAL__N_125multi_tensor_apply_kernelINS1_28TensorListScalarListMetadataIN3c107complexIfEELi3EEENS1_28PointwiseOpScalarListFunctorIS6_Li3ELi3ELi0EEEJSt7dividesIS6_EEEEvT_T0_DpT1_
; %bb.0:
	v_mov_b32_e32 v1, s15
	s_add_u32 s2, s0, s15
	s_mul_hi_u32 s3, s15, 3
	s_mul_i32 s15, s15, 3
	s_addc_u32 s4, s1, 0
	global_load_u8 v1, v1, s[0:1] offset:1920
	s_add_u32 s2, s2, s15
	s_addc_u32 s3, s4, s3
	s_load_b32 s10, s[2:3], 0x8c0
	s_waitcnt lgkmcnt(0)
	s_ashr_i32 s11, s10, 31
	s_delay_alu instid0(SALU_CYCLE_1) | instskip(SKIP_2) | instid1(VALU_DEP_1)
	s_lshl_b64 s[12:13], s[10:11], 19
	s_waitcnt vmcnt(0)
	v_readfirstlane_b32 s5, v1
	s_lshl_b32 s8, s5, 3
	s_clause 0x4
	s_load_b64 s[2:3], s[0:1], s8 offset:0x0
	s_load_b64 s[4:5], s[0:1], s8 offset:0x180
	;; [unrolled: 1-line block ×5, first 2 shown]
	s_waitcnt lgkmcnt(0)
	s_add_u32 s18, s2, s12
	s_addc_u32 s19, s3, s13
	s_add_u32 s20, s4, s12
	s_addc_u32 s21, s5, s13
	;; [unrolled: 2-line block ×3, first 2 shown]
	s_or_b32 s16, s22, s20
	s_delay_alu instid0(SALU_CYCLE_1)
	s_and_b32 s17, s16, 31
	s_and_b32 s16, s18, 31
	s_cmp_eq_u32 s17, 0
	s_mov_b32 s17, 0
	s_cselect_b32 s24, -1, 0
	s_lshl_b64 s[10:11], s[10:11], 16
	s_delay_alu instid0(SALU_CYCLE_1) | instskip(SKIP_3) | instid1(SALU_CYCLE_1)
	s_sub_u32 s10, s14, s10
	s_subb_u32 s11, s15, s11
	s_and_b32 s14, s14, 3
	s_mov_b32 s15, s17
	s_or_b64 s[14:15], s[16:17], s[14:15]
	s_delay_alu instid0(SALU_CYCLE_1) | instskip(SKIP_1) | instid1(SALU_CYCLE_1)
	s_cmp_eq_u64 s[14:15], 0
	s_cselect_b32 s14, -1, 0
	s_and_b32 s14, s24, s14
	s_delay_alu instid0(SALU_CYCLE_1)
	s_and_b32 vcc_lo, exec_lo, s14
	s_mov_b32 s14, -1
	s_cbranch_vccnz .LBB129_109
; %bb.1:
	v_cmp_lt_i64_e64 s14, s[10:11], 1
	s_delay_alu instid0(VALU_DEP_1)
	s_and_b32 vcc_lo, exec_lo, s14
	s_cbranch_vccnz .LBB129_108
; %bb.2:
	s_load_b32 s14, s[0:1], 0xdd4
	v_dual_mov_b32 v2, 0 :: v_dual_lshlrev_b32 v1, 3, v0
	v_cmp_gt_u64_e64 s15, 0x10000, s[10:11]
	v_cmp_neq_f32_e64 s16, s8, 1.0
	s_delay_alu instid0(VALU_DEP_3) | instskip(NEXT) | instid1(VALU_DEP_1)
	v_add_co_u32 v25, s17, s2, v1
	v_add_co_ci_u32_e64 v26, null, s3, 0, s17
	v_add_co_u32 v27, s17, s4, v1
	s_delay_alu instid0(VALU_DEP_1)
	v_add_co_ci_u32_e64 v28, null, s5, 0, s17
	s_waitcnt lgkmcnt(0)
	s_and_b32 s17, s14, 0xffff
	s_and_b32 s14, s15, exec_lo
	v_mad_u64_u32 v[3:4], null, s17, 24, v[1:2]
	s_cselect_b32 s15, s11, 0
	s_cselect_b32 s14, s10, 0x10000
	s_and_b32 s24, s9, 0x7fffffff
	s_lshl_b32 s25, s17, 1
	s_cmp_lg_u32 s24, 0
	v_add_co_u32 v29, s24, s6, v1
	s_delay_alu instid0(VALU_DEP_1)
	v_add_co_ci_u32_e64 v30, null, s7, 0, s24
	s_cselect_b32 s24, -1, 0
	v_add_co_u32 v31, vcc_lo, s2, v3
	s_or_b32 s24, s16, s24
	v_add_co_ci_u32_e32 v32, vcc_lo, s3, v4, vcc_lo
	s_lshl_b32 s16, s17, 4
	v_add_co_u32 v33, vcc_lo, s4, v3
	v_add_co_u32 v1, s16, s16, v1
	v_add_co_ci_u32_e32 v34, vcc_lo, s5, v4, vcc_lo
	s_mul_i32 s26, s17, 3
	v_add_co_u32 v35, vcc_lo, s6, v3
	v_add_co_ci_u32_e64 v2, null, 0, 0, s16
	v_add_co_ci_u32_e32 v36, vcc_lo, s7, v4, vcc_lo
	v_add_co_u32 v37, s16, s26, v0
	v_add_co_u32 v39, vcc_lo, s2, v1
	v_add_co_ci_u32_e64 v38, null, 0, 0, s16
	v_add_co_u32 v43, s16, v0, s17
	v_add_co_ci_u32_e32 v40, vcc_lo, s3, v2, vcc_lo
	v_add_co_u32 v41, vcc_lo, s4, v1
	v_add_co_ci_u32_e32 v42, vcc_lo, s5, v2, vcc_lo
	v_add_co_u32 v44, vcc_lo, s6, v1
	v_lshlrev_b32_e32 v1, 3, v43
	v_add_co_ci_u32_e64 v46, null, 0, 0, s16
	v_add_co_u32 v47, s16, s25, v0
	s_delay_alu instid0(VALU_DEP_3) | instskip(NEXT) | instid1(VALU_DEP_1)
	v_add_co_u32 v49, s2, s2, v1
	v_add_co_ci_u32_e64 v50, null, s3, 0, s2
	v_add_co_u32 v51, s2, s4, v1
	s_delay_alu instid0(VALU_DEP_1)
	v_add_co_ci_u32_e64 v52, null, s5, 0, s2
	v_add_co_u32 v53, s2, s6, v1
	v_add_co_ci_u32_e32 v45, vcc_lo, s7, v2, vcc_lo
	v_add_co_ci_u32_e64 v48, null, 0, 0, s16
	v_add_co_ci_u32_e64 v54, null, s7, 0, s2
	s_lshl_b32 s25, s17, 2
	s_lshl_b32 s26, s17, 5
	s_mov_b64 s[16:17], 0
	s_branch .LBB129_4
.LBB129_3:                              ;   in Loop: Header=BB129_4 Depth=1
	s_or_b32 exec_lo, exec_lo, s2
	v_add_co_u32 v25, vcc_lo, v25, s26
	v_add_co_ci_u32_e32 v26, vcc_lo, 0, v26, vcc_lo
	v_add_co_u32 v27, vcc_lo, v27, s26
	v_add_co_ci_u32_e32 v28, vcc_lo, 0, v28, vcc_lo
	;; [unrolled: 2-line block ×9, first 2 shown]
	s_add_u32 s16, s16, s25
	v_add_co_u32 v49, vcc_lo, v49, s26
	s_addc_u32 s17, s17, 0
	v_add_co_ci_u32_e32 v50, vcc_lo, 0, v50, vcc_lo
	v_cmp_ge_i64_e64 s2, s[16:17], s[10:11]
	v_cmp_lt_u64_e64 s3, 0xffff, s[16:17]
	v_add_co_u32 v51, vcc_lo, v51, s26
	v_add_co_ci_u32_e32 v52, vcc_lo, 0, v52, vcc_lo
	v_add_co_u32 v53, vcc_lo, v53, s26
	v_add_co_ci_u32_e32 v54, vcc_lo, 0, v54, vcc_lo
	s_or_b32 s2, s2, s3
	s_delay_alu instid0(SALU_CYCLE_1)
	s_and_b32 vcc_lo, exec_lo, s2
	s_cbranch_vccnz .LBB129_108
.LBB129_4:                              ; =>This Inner Loop Header: Depth=1
	v_add_co_u32 v1, s2, v0, s16
	s_delay_alu instid0(VALU_DEP_1) | instskip(SKIP_1) | instid1(VALU_DEP_2)
	v_add_co_ci_u32_e64 v2, null, 0, s17, s2
	v_dual_mov_b32 v22, 0 :: v_dual_mov_b32 v21, 0
	v_cmp_gt_u64_e64 s2, s[14:15], v[1:2]
	v_dual_mov_b32 v2, 0 :: v_dual_mov_b32 v1, 0
	s_delay_alu instid0(VALU_DEP_2)
	s_and_saveexec_b32 s3, s2
	s_cbranch_execz .LBB129_6
; %bb.5:                                ;   in Loop: Header=BB129_4 Depth=1
	v_add_co_u32 v1, vcc_lo, v25, s12
	v_add_co_ci_u32_e32 v2, vcc_lo, s13, v26, vcc_lo
	v_add_co_u32 v3, vcc_lo, v27, s12
	v_add_co_ci_u32_e32 v4, vcc_lo, s13, v28, vcc_lo
	global_load_b64 v[1:2], v[1:2], off
	global_load_b64 v[21:22], v[3:4], off
.LBB129_6:                              ;   in Loop: Header=BB129_4 Depth=1
	s_or_b32 exec_lo, exec_lo, s3
	v_dual_mov_b32 v18, 0 :: v_dual_mov_b32 v23, 0
	v_mov_b32_e32 v24, 0
	s_and_saveexec_b32 s3, s2
	s_cbranch_execz .LBB129_8
; %bb.7:                                ;   in Loop: Header=BB129_4 Depth=1
	v_add_co_u32 v3, vcc_lo, v29, s12
	v_add_co_ci_u32_e32 v4, vcc_lo, s13, v30, vcc_lo
	global_load_b64 v[23:24], v[3:4], off
.LBB129_8:                              ;   in Loop: Header=BB129_4 Depth=1
	s_or_b32 exec_lo, exec_lo, s3
	v_add_co_u32 v3, vcc_lo, v43, s16
	v_add_co_ci_u32_e32 v4, vcc_lo, s17, v46, vcc_lo
	v_mov_b32_e32 v17, 0
	s_delay_alu instid0(VALU_DEP_2) | instskip(SKIP_1) | instid1(VALU_DEP_2)
	v_cmp_gt_u64_e64 s3, s[14:15], v[3:4]
	v_dual_mov_b32 v4, 0 :: v_dual_mov_b32 v3, 0
	s_and_saveexec_b32 s4, s3
	s_cbranch_execz .LBB129_10
; %bb.9:                                ;   in Loop: Header=BB129_4 Depth=1
	v_add_co_u32 v3, vcc_lo, v49, s12
	v_add_co_ci_u32_e32 v4, vcc_lo, s13, v50, vcc_lo
	v_add_co_u32 v5, vcc_lo, v51, s12
	v_add_co_ci_u32_e32 v6, vcc_lo, s13, v52, vcc_lo
	global_load_b64 v[3:4], v[3:4], off
	global_load_b64 v[17:18], v[5:6], off
.LBB129_10:                             ;   in Loop: Header=BB129_4 Depth=1
	s_or_b32 exec_lo, exec_lo, s4
	v_dual_mov_b32 v14, 0 :: v_dual_mov_b32 v19, 0
	v_mov_b32_e32 v20, 0
	s_and_saveexec_b32 s4, s3
	s_cbranch_execz .LBB129_12
; %bb.11:                               ;   in Loop: Header=BB129_4 Depth=1
	v_add_co_u32 v5, vcc_lo, v53, s12
	v_add_co_ci_u32_e32 v6, vcc_lo, s13, v54, vcc_lo
	global_load_b64 v[19:20], v[5:6], off
.LBB129_12:                             ;   in Loop: Header=BB129_4 Depth=1
	s_or_b32 exec_lo, exec_lo, s4
	v_add_co_u32 v5, vcc_lo, v47, s16
	v_add_co_ci_u32_e32 v6, vcc_lo, s17, v48, vcc_lo
	v_mov_b32_e32 v13, 0
	s_delay_alu instid0(VALU_DEP_2) | instskip(SKIP_1) | instid1(VALU_DEP_2)
	v_cmp_gt_u64_e64 s4, s[14:15], v[5:6]
	v_dual_mov_b32 v6, 0 :: v_dual_mov_b32 v5, 0
	s_and_saveexec_b32 s5, s4
	s_cbranch_execz .LBB129_14
; %bb.13:                               ;   in Loop: Header=BB129_4 Depth=1
	v_add_co_u32 v5, vcc_lo, v39, s12
	v_add_co_ci_u32_e32 v6, vcc_lo, s13, v40, vcc_lo
	v_add_co_u32 v7, vcc_lo, v41, s12
	v_add_co_ci_u32_e32 v8, vcc_lo, s13, v42, vcc_lo
	global_load_b64 v[5:6], v[5:6], off
	global_load_b64 v[13:14], v[7:8], off
.LBB129_14:                             ;   in Loop: Header=BB129_4 Depth=1
	s_or_b32 exec_lo, exec_lo, s5
	v_dual_mov_b32 v10, 0 :: v_dual_mov_b32 v15, 0
	v_mov_b32_e32 v16, 0
	s_and_saveexec_b32 s5, s4
	s_cbranch_execz .LBB129_16
; %bb.15:                               ;   in Loop: Header=BB129_4 Depth=1
	v_add_co_u32 v7, vcc_lo, v44, s12
	v_add_co_ci_u32_e32 v8, vcc_lo, s13, v45, vcc_lo
	global_load_b64 v[15:16], v[7:8], off
.LBB129_16:                             ;   in Loop: Header=BB129_4 Depth=1
	s_or_b32 exec_lo, exec_lo, s5
	v_add_co_u32 v7, vcc_lo, v37, s16
	v_add_co_ci_u32_e32 v8, vcc_lo, s17, v38, vcc_lo
	v_mov_b32_e32 v9, 0
	s_delay_alu instid0(VALU_DEP_2) | instskip(SKIP_1) | instid1(VALU_DEP_2)
	v_cmp_gt_u64_e64 s5, s[14:15], v[7:8]
	v_dual_mov_b32 v8, 0 :: v_dual_mov_b32 v7, 0
	s_and_saveexec_b32 s6, s5
	s_cbranch_execz .LBB129_18
; %bb.17:                               ;   in Loop: Header=BB129_4 Depth=1
	v_add_co_u32 v7, vcc_lo, v31, s12
	v_add_co_ci_u32_e32 v8, vcc_lo, s13, v32, vcc_lo
	v_add_co_u32 v9, vcc_lo, v33, s12
	v_add_co_ci_u32_e32 v10, vcc_lo, s13, v34, vcc_lo
	global_load_b64 v[7:8], v[7:8], off
	global_load_b64 v[9:10], v[9:10], off
.LBB129_18:                             ;   in Loop: Header=BB129_4 Depth=1
	s_or_b32 exec_lo, exec_lo, s6
	v_dual_mov_b32 v12, 0 :: v_dual_mov_b32 v11, 0
	s_and_saveexec_b32 s6, s5
	s_cbranch_execz .LBB129_20
; %bb.19:                               ;   in Loop: Header=BB129_4 Depth=1
	v_add_co_u32 v11, vcc_lo, v35, s12
	v_add_co_ci_u32_e32 v12, vcc_lo, s13, v36, vcc_lo
	global_load_b64 v[11:12], v[11:12], off
.LBB129_20:                             ;   in Loop: Header=BB129_4 Depth=1
	s_or_b32 exec_lo, exec_lo, s6
	s_waitcnt vmcnt(0)
	v_cmp_gt_f32_e32 vcc_lo, 0, v23
	v_cndmask_b32_e64 v57, v23, -v23, vcc_lo
	v_cmp_gt_f32_e32 vcc_lo, 0, v24
	v_cndmask_b32_e64 v58, v24, -v24, vcc_lo
	s_and_b32 vcc_lo, exec_lo, s24
	s_delay_alu instid0(VALU_DEP_1)
	v_cmp_ge_f32_e64 s6, v57, v58
	s_cbranch_vccz .LBB129_30
; %bb.21:                               ;   in Loop: Header=BB129_4 Depth=1
                                        ; implicit-def: $vgpr55
                                        ; implicit-def: $vgpr59
	s_delay_alu instid0(VALU_DEP_1) | instskip(NEXT) | instid1(SALU_CYCLE_1)
	s_and_saveexec_b32 s7, s6
	s_xor_b32 s27, exec_lo, s7
	s_cbranch_execz .LBB129_27
; %bb.22:                               ;   in Loop: Header=BB129_4 Depth=1
	v_cmp_neq_f32_e32 vcc_lo, 0, v23
	v_cmp_neq_f32_e64 s7, 0, v24
                                        ; implicit-def: $vgpr55
                                        ; implicit-def: $vgpr59
	s_delay_alu instid0(VALU_DEP_1) | instskip(NEXT) | instid1(SALU_CYCLE_1)
	s_or_b32 s7, s7, vcc_lo
	s_and_saveexec_b32 s28, s7
	s_delay_alu instid0(SALU_CYCLE_1)
	s_xor_b32 s7, exec_lo, s28
	s_cbranch_execz .LBB129_24
; %bb.23:                               ;   in Loop: Header=BB129_4 Depth=1
	v_div_scale_f32 v55, null, v23, v23, v24
	v_div_scale_f32 v60, vcc_lo, v24, v23, v24
	s_delay_alu instid0(VALU_DEP_2) | instskip(SKIP_2) | instid1(VALU_DEP_1)
	v_rcp_f32_e32 v56, v55
	s_waitcnt_depctr 0xfff
	v_fma_f32 v59, -v55, v56, 1.0
	v_fmac_f32_e32 v56, v59, v56
	s_delay_alu instid0(VALU_DEP_1) | instskip(NEXT) | instid1(VALU_DEP_1)
	v_mul_f32_e32 v59, v60, v56
	v_fma_f32 v61, -v55, v59, v60
	s_delay_alu instid0(VALU_DEP_1) | instskip(NEXT) | instid1(VALU_DEP_1)
	v_fmac_f32_e32 v59, v61, v56
	v_fma_f32 v55, -v55, v59, v60
	s_delay_alu instid0(VALU_DEP_1) | instskip(NEXT) | instid1(VALU_DEP_1)
	v_div_fmas_f32 v55, v55, v56, v59
	v_div_fixup_f32 v55, v55, v23, v24
	s_delay_alu instid0(VALU_DEP_1) | instskip(NEXT) | instid1(VALU_DEP_1)
	v_fma_f32 v56, v24, v55, v23
	v_div_scale_f32 v59, null, v56, v56, 1.0
	v_div_scale_f32 v62, vcc_lo, 1.0, v56, 1.0
	s_delay_alu instid0(VALU_DEP_2) | instskip(SKIP_2) | instid1(VALU_DEP_1)
	v_rcp_f32_e32 v60, v59
	s_waitcnt_depctr 0xfff
	v_fma_f32 v61, -v59, v60, 1.0
	v_fmac_f32_e32 v60, v61, v60
	s_delay_alu instid0(VALU_DEP_1) | instskip(NEXT) | instid1(VALU_DEP_1)
	v_mul_f32_e32 v61, v62, v60
	v_fma_f32 v63, -v59, v61, v62
	s_delay_alu instid0(VALU_DEP_1) | instskip(NEXT) | instid1(VALU_DEP_1)
	v_fmac_f32_e32 v61, v63, v60
	v_fma_f32 v59, -v59, v61, v62
	s_delay_alu instid0(VALU_DEP_1) | instskip(SKIP_2) | instid1(VALU_DEP_3)
	v_div_fmas_f32 v59, v59, v60, v61
	v_fma_f32 v60, v22, v55, v21
	v_fma_f32 v55, -v21, v55, v22
	v_div_fixup_f32 v56, v59, v56, 1.0
	s_delay_alu instid0(VALU_DEP_1) | instskip(NEXT) | instid1(VALU_DEP_3)
	v_mul_f32_e32 v59, v60, v56
	v_mul_f32_e32 v55, v55, v56
.LBB129_24:                             ;   in Loop: Header=BB129_4 Depth=1
	s_and_not1_saveexec_b32 s28, s7
	s_cbranch_execz .LBB129_26
; %bb.25:                               ;   in Loop: Header=BB129_4 Depth=1
	v_div_scale_f32 v55, null, v57, v57, v21
	v_div_scale_f32 v56, null, v58, v58, v22
	v_div_scale_f32 v63, vcc_lo, v21, v57, v21
	s_delay_alu instid0(VALU_DEP_3) | instskip(NEXT) | instid1(VALU_DEP_2)
	v_rcp_f32_e32 v59, v55
	v_rcp_f32_e32 v60, v56
	s_waitcnt_depctr 0xfff
	v_fma_f32 v61, -v55, v59, 1.0
	v_fma_f32 v62, -v56, v60, 1.0
	s_delay_alu instid0(VALU_DEP_1) | instskip(SKIP_1) | instid1(VALU_DEP_2)
	v_dual_fmac_f32 v59, v61, v59 :: v_dual_fmac_f32 v60, v62, v60
	v_div_scale_f32 v61, s7, v22, v58, v22
	v_mul_f32_e32 v62, v63, v59
	s_delay_alu instid0(VALU_DEP_2) | instskip(NEXT) | instid1(VALU_DEP_2)
	v_mul_f32_e32 v64, v61, v60
	v_fma_f32 v65, -v55, v62, v63
	s_delay_alu instid0(VALU_DEP_2) | instskip(NEXT) | instid1(VALU_DEP_2)
	v_fma_f32 v66, -v56, v64, v61
	v_fmac_f32_e32 v62, v65, v59
	s_delay_alu instid0(VALU_DEP_2) | instskip(NEXT) | instid1(VALU_DEP_2)
	v_fmac_f32_e32 v64, v66, v60
	v_fma_f32 v55, -v55, v62, v63
	s_delay_alu instid0(VALU_DEP_2) | instskip(NEXT) | instid1(VALU_DEP_2)
	v_fma_f32 v56, -v56, v64, v61
	v_div_fmas_f32 v55, v55, v59, v62
	s_mov_b32 vcc_lo, s7
	s_delay_alu instid0(VALU_DEP_2) | instskip(NEXT) | instid1(VALU_DEP_2)
	v_div_fmas_f32 v56, v56, v60, v64
	v_div_fixup_f32 v59, v55, v57, v21
	s_delay_alu instid0(VALU_DEP_2)
	v_div_fixup_f32 v55, v56, v58, v22
.LBB129_26:                             ;   in Loop: Header=BB129_4 Depth=1
	s_or_b32 exec_lo, exec_lo, s28
.LBB129_27:                             ;   in Loop: Header=BB129_4 Depth=1
	s_and_not1_saveexec_b32 s7, s27
	s_cbranch_execz .LBB129_29
; %bb.28:                               ;   in Loop: Header=BB129_4 Depth=1
	v_div_scale_f32 v55, null, v24, v24, v23
	v_div_scale_f32 v60, vcc_lo, v23, v24, v23
	s_delay_alu instid0(VALU_DEP_2) | instskip(SKIP_2) | instid1(VALU_DEP_1)
	v_rcp_f32_e32 v56, v55
	s_waitcnt_depctr 0xfff
	v_fma_f32 v59, -v55, v56, 1.0
	v_fmac_f32_e32 v56, v59, v56
	s_delay_alu instid0(VALU_DEP_1) | instskip(NEXT) | instid1(VALU_DEP_1)
	v_mul_f32_e32 v59, v60, v56
	v_fma_f32 v61, -v55, v59, v60
	s_delay_alu instid0(VALU_DEP_1) | instskip(NEXT) | instid1(VALU_DEP_1)
	v_fmac_f32_e32 v59, v61, v56
	v_fma_f32 v55, -v55, v59, v60
	s_delay_alu instid0(VALU_DEP_1) | instskip(NEXT) | instid1(VALU_DEP_1)
	v_div_fmas_f32 v55, v55, v56, v59
	v_div_fixup_f32 v55, v55, v24, v23
	s_delay_alu instid0(VALU_DEP_1) | instskip(NEXT) | instid1(VALU_DEP_1)
	v_fma_f32 v56, v23, v55, v24
	v_div_scale_f32 v59, null, v56, v56, 1.0
	v_div_scale_f32 v62, vcc_lo, 1.0, v56, 1.0
	s_delay_alu instid0(VALU_DEP_2) | instskip(SKIP_2) | instid1(VALU_DEP_1)
	v_rcp_f32_e32 v60, v59
	s_waitcnt_depctr 0xfff
	v_fma_f32 v61, -v59, v60, 1.0
	v_fmac_f32_e32 v60, v61, v60
	s_delay_alu instid0(VALU_DEP_1) | instskip(NEXT) | instid1(VALU_DEP_1)
	v_mul_f32_e32 v61, v62, v60
	v_fma_f32 v63, -v59, v61, v62
	s_delay_alu instid0(VALU_DEP_1) | instskip(NEXT) | instid1(VALU_DEP_1)
	v_fmac_f32_e32 v61, v63, v60
	v_fma_f32 v59, -v59, v61, v62
	s_delay_alu instid0(VALU_DEP_1) | instskip(SKIP_2) | instid1(VALU_DEP_3)
	v_div_fmas_f32 v59, v59, v60, v61
	v_fma_f32 v60, v21, v55, v22
	v_fma_f32 v55, v22, v55, -v21
	v_div_fixup_f32 v56, v59, v56, 1.0
	s_delay_alu instid0(VALU_DEP_1) | instskip(NEXT) | instid1(VALU_DEP_3)
	v_mul_f32_e32 v59, v60, v56
	v_mul_f32_e32 v55, v55, v56
.LBB129_29:                             ;   in Loop: Header=BB129_4 Depth=1
	s_or_b32 exec_lo, exec_lo, s7
	s_delay_alu instid0(VALU_DEP_1) | instskip(SKIP_1) | instid1(VALU_DEP_2)
	v_mul_f32_e32 v56, s9, v55
	v_mul_f32_e32 v55, s8, v55
	v_fma_f32 v56, v59, s8, -v56
	s_delay_alu instid0(VALU_DEP_2)
	v_fmac_f32_e32 v55, s9, v59
	s_branch .LBB129_40
.LBB129_30:                             ;   in Loop: Header=BB129_4 Depth=1
                                        ; implicit-def: $vgpr55
                                        ; implicit-def: $vgpr56
	s_cbranch_execz .LBB129_40
; %bb.31:                               ;   in Loop: Header=BB129_4 Depth=1
                                        ; implicit-def: $vgpr55
                                        ; implicit-def: $vgpr56
	s_delay_alu instid0(VALU_DEP_1) | instskip(NEXT) | instid1(SALU_CYCLE_1)
	s_and_saveexec_b32 s7, s6
	s_xor_b32 s7, exec_lo, s7
	s_cbranch_execz .LBB129_37
; %bb.32:                               ;   in Loop: Header=BB129_4 Depth=1
	v_cmp_neq_f32_e32 vcc_lo, 0, v23
	v_cmp_neq_f32_e64 s6, 0, v24
                                        ; implicit-def: $vgpr55
                                        ; implicit-def: $vgpr56
	s_delay_alu instid0(VALU_DEP_1) | instskip(NEXT) | instid1(SALU_CYCLE_1)
	s_or_b32 s6, s6, vcc_lo
	s_and_saveexec_b32 s27, s6
	s_delay_alu instid0(SALU_CYCLE_1)
	s_xor_b32 s6, exec_lo, s27
	s_cbranch_execz .LBB129_34
; %bb.33:                               ;   in Loop: Header=BB129_4 Depth=1
	v_div_scale_f32 v55, null, v23, v23, v24
	v_div_scale_f32 v58, vcc_lo, v24, v23, v24
	s_delay_alu instid0(VALU_DEP_2) | instskip(SKIP_2) | instid1(VALU_DEP_1)
	v_rcp_f32_e32 v56, v55
	s_waitcnt_depctr 0xfff
	v_fma_f32 v57, -v55, v56, 1.0
	v_fmac_f32_e32 v56, v57, v56
	s_delay_alu instid0(VALU_DEP_1) | instskip(NEXT) | instid1(VALU_DEP_1)
	v_mul_f32_e32 v57, v58, v56
	v_fma_f32 v59, -v55, v57, v58
	s_delay_alu instid0(VALU_DEP_1) | instskip(NEXT) | instid1(VALU_DEP_1)
	v_fmac_f32_e32 v57, v59, v56
	v_fma_f32 v55, -v55, v57, v58
	s_delay_alu instid0(VALU_DEP_1) | instskip(NEXT) | instid1(VALU_DEP_1)
	v_div_fmas_f32 v55, v55, v56, v57
	v_div_fixup_f32 v55, v55, v23, v24
	s_delay_alu instid0(VALU_DEP_1) | instskip(NEXT) | instid1(VALU_DEP_1)
	v_fmac_f32_e32 v23, v24, v55
	v_div_scale_f32 v24, null, v23, v23, 1.0
	v_div_scale_f32 v58, vcc_lo, 1.0, v23, 1.0
	s_delay_alu instid0(VALU_DEP_2) | instskip(SKIP_2) | instid1(VALU_DEP_1)
	v_rcp_f32_e32 v56, v24
	s_waitcnt_depctr 0xfff
	v_fma_f32 v57, -v24, v56, 1.0
	v_fmac_f32_e32 v56, v57, v56
	s_delay_alu instid0(VALU_DEP_1) | instskip(NEXT) | instid1(VALU_DEP_1)
	v_mul_f32_e32 v57, v58, v56
	v_fma_f32 v59, -v24, v57, v58
	s_delay_alu instid0(VALU_DEP_1) | instskip(NEXT) | instid1(VALU_DEP_1)
	v_fmac_f32_e32 v57, v59, v56
	v_fma_f32 v24, -v24, v57, v58
                                        ; implicit-def: $vgpr58
	s_delay_alu instid0(VALU_DEP_1) | instskip(SKIP_2) | instid1(VALU_DEP_3)
	v_div_fmas_f32 v24, v24, v56, v57
	v_fma_f32 v56, v22, v55, v21
	v_fma_f32 v21, -v21, v55, v22
                                        ; implicit-def: $vgpr57
	v_div_fixup_f32 v23, v24, v23, 1.0
	s_delay_alu instid0(VALU_DEP_1) | instskip(NEXT) | instid1(VALU_DEP_3)
	v_mul_f32_e32 v56, v56, v23
	v_mul_f32_e32 v55, v21, v23
                                        ; implicit-def: $vgpr21
.LBB129_34:                             ;   in Loop: Header=BB129_4 Depth=1
	s_and_not1_saveexec_b32 s27, s6
	s_cbranch_execz .LBB129_36
; %bb.35:                               ;   in Loop: Header=BB129_4 Depth=1
	v_div_scale_f32 v23, null, v57, v57, v21
	v_div_scale_f32 v24, null, v58, v58, v22
	v_div_scale_f32 v61, vcc_lo, v21, v57, v21
	s_delay_alu instid0(VALU_DEP_3) | instskip(NEXT) | instid1(VALU_DEP_2)
	v_rcp_f32_e32 v55, v23
	v_rcp_f32_e32 v56, v24
	s_waitcnt_depctr 0xfff
	v_fma_f32 v59, -v23, v55, 1.0
	v_fma_f32 v60, -v24, v56, 1.0
	s_delay_alu instid0(VALU_DEP_1) | instskip(SKIP_1) | instid1(VALU_DEP_2)
	v_dual_fmac_f32 v55, v59, v55 :: v_dual_fmac_f32 v56, v60, v56
	v_div_scale_f32 v59, s6, v22, v58, v22
	v_mul_f32_e32 v60, v61, v55
	s_delay_alu instid0(VALU_DEP_2) | instskip(NEXT) | instid1(VALU_DEP_2)
	v_mul_f32_e32 v62, v59, v56
	v_fma_f32 v63, -v23, v60, v61
	s_delay_alu instid0(VALU_DEP_2) | instskip(NEXT) | instid1(VALU_DEP_2)
	v_fma_f32 v64, -v24, v62, v59
	v_fmac_f32_e32 v60, v63, v55
	s_delay_alu instid0(VALU_DEP_2) | instskip(NEXT) | instid1(VALU_DEP_2)
	v_fmac_f32_e32 v62, v64, v56
	v_fma_f32 v23, -v23, v60, v61
	s_delay_alu instid0(VALU_DEP_2) | instskip(NEXT) | instid1(VALU_DEP_2)
	v_fma_f32 v24, -v24, v62, v59
	v_div_fmas_f32 v23, v23, v55, v60
	s_mov_b32 vcc_lo, s6
	s_delay_alu instid0(VALU_DEP_2) | instskip(NEXT) | instid1(VALU_DEP_2)
	v_div_fmas_f32 v24, v24, v56, v62
	v_div_fixup_f32 v56, v23, v57, v21
	s_delay_alu instid0(VALU_DEP_2)
	v_div_fixup_f32 v55, v24, v58, v22
.LBB129_36:                             ;   in Loop: Header=BB129_4 Depth=1
	s_or_b32 exec_lo, exec_lo, s27
                                        ; implicit-def: $vgpr24
                                        ; implicit-def: $vgpr21
.LBB129_37:                             ;   in Loop: Header=BB129_4 Depth=1
	s_and_not1_saveexec_b32 s6, s7
	s_cbranch_execz .LBB129_39
; %bb.38:                               ;   in Loop: Header=BB129_4 Depth=1
	v_div_scale_f32 v55, null, v24, v24, v23
	v_div_scale_f32 v58, vcc_lo, v23, v24, v23
	s_delay_alu instid0(VALU_DEP_2) | instskip(SKIP_2) | instid1(VALU_DEP_1)
	v_rcp_f32_e32 v56, v55
	s_waitcnt_depctr 0xfff
	v_fma_f32 v57, -v55, v56, 1.0
	v_fmac_f32_e32 v56, v57, v56
	s_delay_alu instid0(VALU_DEP_1) | instskip(NEXT) | instid1(VALU_DEP_1)
	v_mul_f32_e32 v57, v58, v56
	v_fma_f32 v59, -v55, v57, v58
	s_delay_alu instid0(VALU_DEP_1) | instskip(NEXT) | instid1(VALU_DEP_1)
	v_fmac_f32_e32 v57, v59, v56
	v_fma_f32 v55, -v55, v57, v58
	s_delay_alu instid0(VALU_DEP_1) | instskip(NEXT) | instid1(VALU_DEP_1)
	v_div_fmas_f32 v55, v55, v56, v57
	v_div_fixup_f32 v55, v55, v24, v23
	s_delay_alu instid0(VALU_DEP_1) | instskip(NEXT) | instid1(VALU_DEP_1)
	v_fmac_f32_e32 v24, v23, v55
	v_div_scale_f32 v23, null, v24, v24, 1.0
	v_div_scale_f32 v58, vcc_lo, 1.0, v24, 1.0
	s_delay_alu instid0(VALU_DEP_2) | instskip(SKIP_2) | instid1(VALU_DEP_1)
	v_rcp_f32_e32 v56, v23
	s_waitcnt_depctr 0xfff
	v_fma_f32 v57, -v23, v56, 1.0
	v_fmac_f32_e32 v56, v57, v56
	s_delay_alu instid0(VALU_DEP_1) | instskip(NEXT) | instid1(VALU_DEP_1)
	v_mul_f32_e32 v57, v58, v56
	v_fma_f32 v59, -v23, v57, v58
	s_delay_alu instid0(VALU_DEP_1) | instskip(NEXT) | instid1(VALU_DEP_1)
	v_fmac_f32_e32 v57, v59, v56
	v_fma_f32 v23, -v23, v57, v58
	s_delay_alu instid0(VALU_DEP_1) | instskip(SKIP_2) | instid1(VALU_DEP_3)
	v_div_fmas_f32 v23, v23, v56, v57
	v_fma_f32 v56, v21, v55, v22
	v_fma_f32 v21, v22, v55, -v21
	v_div_fixup_f32 v23, v23, v24, 1.0
	s_delay_alu instid0(VALU_DEP_1) | instskip(NEXT) | instid1(VALU_DEP_3)
	v_mul_f32_e32 v56, v56, v23
	v_mul_f32_e32 v55, v21, v23
.LBB129_39:                             ;   in Loop: Header=BB129_4 Depth=1
	s_or_b32 exec_lo, exec_lo, s6
.LBB129_40:                             ;   in Loop: Header=BB129_4 Depth=1
	v_cmp_gt_f32_e32 vcc_lo, 0, v19
	v_cndmask_b32_e64 v23, v19, -v19, vcc_lo
	v_cmp_gt_f32_e32 vcc_lo, 0, v20
	v_cndmask_b32_e64 v24, v20, -v20, vcc_lo
	s_and_not1_b32 vcc_lo, exec_lo, s24
	s_delay_alu instid0(VALU_DEP_1)
	v_cmp_ge_f32_e64 s6, v23, v24
	s_cbranch_vccnz .LBB129_50
; %bb.41:                               ;   in Loop: Header=BB129_4 Depth=1
                                        ; implicit-def: $vgpr21
                                        ; implicit-def: $vgpr57
	s_delay_alu instid0(VALU_DEP_1) | instskip(NEXT) | instid1(SALU_CYCLE_1)
	s_and_saveexec_b32 s7, s6
	s_xor_b32 s27, exec_lo, s7
	s_cbranch_execz .LBB129_47
; %bb.42:                               ;   in Loop: Header=BB129_4 Depth=1
	v_cmp_neq_f32_e32 vcc_lo, 0, v19
	v_cmp_neq_f32_e64 s7, 0, v20
                                        ; implicit-def: $vgpr21
                                        ; implicit-def: $vgpr57
	s_delay_alu instid0(VALU_DEP_1) | instskip(NEXT) | instid1(SALU_CYCLE_1)
	s_or_b32 s7, s7, vcc_lo
	s_and_saveexec_b32 s28, s7
	s_delay_alu instid0(SALU_CYCLE_1)
	s_xor_b32 s7, exec_lo, s28
	s_cbranch_execz .LBB129_44
; %bb.43:                               ;   in Loop: Header=BB129_4 Depth=1
	v_div_scale_f32 v21, null, v19, v19, v20
	v_div_scale_f32 v58, vcc_lo, v20, v19, v20
	s_delay_alu instid0(VALU_DEP_2) | instskip(SKIP_2) | instid1(VALU_DEP_1)
	v_rcp_f32_e32 v22, v21
	s_waitcnt_depctr 0xfff
	v_fma_f32 v57, -v21, v22, 1.0
	v_fmac_f32_e32 v22, v57, v22
	s_delay_alu instid0(VALU_DEP_1) | instskip(NEXT) | instid1(VALU_DEP_1)
	v_mul_f32_e32 v57, v58, v22
	v_fma_f32 v59, -v21, v57, v58
	s_delay_alu instid0(VALU_DEP_1) | instskip(NEXT) | instid1(VALU_DEP_1)
	v_fmac_f32_e32 v57, v59, v22
	v_fma_f32 v21, -v21, v57, v58
	s_delay_alu instid0(VALU_DEP_1) | instskip(NEXT) | instid1(VALU_DEP_1)
	v_div_fmas_f32 v21, v21, v22, v57
	v_div_fixup_f32 v21, v21, v19, v20
	s_delay_alu instid0(VALU_DEP_1) | instskip(NEXT) | instid1(VALU_DEP_1)
	v_fma_f32 v22, v20, v21, v19
	v_div_scale_f32 v57, null, v22, v22, 1.0
	v_div_scale_f32 v60, vcc_lo, 1.0, v22, 1.0
	s_delay_alu instid0(VALU_DEP_2) | instskip(SKIP_2) | instid1(VALU_DEP_1)
	v_rcp_f32_e32 v58, v57
	s_waitcnt_depctr 0xfff
	v_fma_f32 v59, -v57, v58, 1.0
	v_fmac_f32_e32 v58, v59, v58
	s_delay_alu instid0(VALU_DEP_1) | instskip(NEXT) | instid1(VALU_DEP_1)
	v_mul_f32_e32 v59, v60, v58
	v_fma_f32 v61, -v57, v59, v60
	s_delay_alu instid0(VALU_DEP_1) | instskip(NEXT) | instid1(VALU_DEP_1)
	v_fmac_f32_e32 v59, v61, v58
	v_fma_f32 v57, -v57, v59, v60
	s_delay_alu instid0(VALU_DEP_1) | instskip(SKIP_2) | instid1(VALU_DEP_3)
	v_div_fmas_f32 v57, v57, v58, v59
	v_fma_f32 v58, v18, v21, v17
	v_fma_f32 v21, -v17, v21, v18
	v_div_fixup_f32 v22, v57, v22, 1.0
	s_delay_alu instid0(VALU_DEP_1) | instskip(NEXT) | instid1(VALU_DEP_3)
	v_mul_f32_e32 v57, v58, v22
	v_mul_f32_e32 v21, v21, v22
.LBB129_44:                             ;   in Loop: Header=BB129_4 Depth=1
	s_and_not1_saveexec_b32 s28, s7
	s_cbranch_execz .LBB129_46
; %bb.45:                               ;   in Loop: Header=BB129_4 Depth=1
	v_div_scale_f32 v21, null, v23, v23, v17
	v_div_scale_f32 v22, null, v24, v24, v18
	v_div_scale_f32 v61, vcc_lo, v17, v23, v17
	s_delay_alu instid0(VALU_DEP_3) | instskip(NEXT) | instid1(VALU_DEP_2)
	v_rcp_f32_e32 v57, v21
	v_rcp_f32_e32 v58, v22
	s_waitcnt_depctr 0xfff
	v_fma_f32 v59, -v21, v57, 1.0
	v_fma_f32 v60, -v22, v58, 1.0
	s_delay_alu instid0(VALU_DEP_1) | instskip(SKIP_1) | instid1(VALU_DEP_2)
	v_dual_fmac_f32 v57, v59, v57 :: v_dual_fmac_f32 v58, v60, v58
	v_div_scale_f32 v59, s7, v18, v24, v18
	v_mul_f32_e32 v60, v61, v57
	s_delay_alu instid0(VALU_DEP_2) | instskip(NEXT) | instid1(VALU_DEP_2)
	v_mul_f32_e32 v62, v59, v58
	v_fma_f32 v63, -v21, v60, v61
	s_delay_alu instid0(VALU_DEP_2) | instskip(NEXT) | instid1(VALU_DEP_2)
	v_fma_f32 v64, -v22, v62, v59
	v_fmac_f32_e32 v60, v63, v57
	s_delay_alu instid0(VALU_DEP_2) | instskip(NEXT) | instid1(VALU_DEP_2)
	v_fmac_f32_e32 v62, v64, v58
	v_fma_f32 v21, -v21, v60, v61
	s_delay_alu instid0(VALU_DEP_2) | instskip(NEXT) | instid1(VALU_DEP_2)
	v_fma_f32 v22, -v22, v62, v59
	v_div_fmas_f32 v21, v21, v57, v60
	s_mov_b32 vcc_lo, s7
	s_delay_alu instid0(VALU_DEP_2) | instskip(NEXT) | instid1(VALU_DEP_2)
	v_div_fmas_f32 v22, v22, v58, v62
	v_div_fixup_f32 v57, v21, v23, v17
	s_delay_alu instid0(VALU_DEP_2)
	v_div_fixup_f32 v21, v22, v24, v18
.LBB129_46:                             ;   in Loop: Header=BB129_4 Depth=1
	s_or_b32 exec_lo, exec_lo, s28
.LBB129_47:                             ;   in Loop: Header=BB129_4 Depth=1
	s_and_not1_saveexec_b32 s7, s27
	s_cbranch_execz .LBB129_49
; %bb.48:                               ;   in Loop: Header=BB129_4 Depth=1
	v_div_scale_f32 v21, null, v20, v20, v19
	v_div_scale_f32 v58, vcc_lo, v19, v20, v19
	s_delay_alu instid0(VALU_DEP_2) | instskip(SKIP_2) | instid1(VALU_DEP_1)
	v_rcp_f32_e32 v22, v21
	s_waitcnt_depctr 0xfff
	v_fma_f32 v57, -v21, v22, 1.0
	v_fmac_f32_e32 v22, v57, v22
	s_delay_alu instid0(VALU_DEP_1) | instskip(NEXT) | instid1(VALU_DEP_1)
	v_mul_f32_e32 v57, v58, v22
	v_fma_f32 v59, -v21, v57, v58
	s_delay_alu instid0(VALU_DEP_1) | instskip(NEXT) | instid1(VALU_DEP_1)
	v_fmac_f32_e32 v57, v59, v22
	v_fma_f32 v21, -v21, v57, v58
	s_delay_alu instid0(VALU_DEP_1) | instskip(NEXT) | instid1(VALU_DEP_1)
	v_div_fmas_f32 v21, v21, v22, v57
	v_div_fixup_f32 v21, v21, v20, v19
	s_delay_alu instid0(VALU_DEP_1) | instskip(NEXT) | instid1(VALU_DEP_1)
	v_fma_f32 v22, v19, v21, v20
	v_div_scale_f32 v57, null, v22, v22, 1.0
	v_div_scale_f32 v60, vcc_lo, 1.0, v22, 1.0
	s_delay_alu instid0(VALU_DEP_2) | instskip(SKIP_2) | instid1(VALU_DEP_1)
	v_rcp_f32_e32 v58, v57
	s_waitcnt_depctr 0xfff
	v_fma_f32 v59, -v57, v58, 1.0
	v_fmac_f32_e32 v58, v59, v58
	s_delay_alu instid0(VALU_DEP_1) | instskip(NEXT) | instid1(VALU_DEP_1)
	v_mul_f32_e32 v59, v60, v58
	v_fma_f32 v61, -v57, v59, v60
	s_delay_alu instid0(VALU_DEP_1) | instskip(NEXT) | instid1(VALU_DEP_1)
	v_fmac_f32_e32 v59, v61, v58
	v_fma_f32 v57, -v57, v59, v60
	s_delay_alu instid0(VALU_DEP_1) | instskip(SKIP_2) | instid1(VALU_DEP_3)
	v_div_fmas_f32 v57, v57, v58, v59
	v_fma_f32 v58, v17, v21, v18
	v_fma_f32 v21, v18, v21, -v17
	v_div_fixup_f32 v22, v57, v22, 1.0
	s_delay_alu instid0(VALU_DEP_1) | instskip(NEXT) | instid1(VALU_DEP_3)
	v_mul_f32_e32 v57, v58, v22
	v_mul_f32_e32 v21, v21, v22
.LBB129_49:                             ;   in Loop: Header=BB129_4 Depth=1
	s_or_b32 exec_lo, exec_lo, s7
	s_delay_alu instid0(VALU_DEP_1) | instskip(SKIP_1) | instid1(VALU_DEP_2)
	v_mul_f32_e32 v22, s9, v21
	v_mul_f32_e32 v21, s8, v21
	v_fma_f32 v22, v57, s8, -v22
	s_delay_alu instid0(VALU_DEP_2)
	v_fmac_f32_e32 v21, s9, v57
	s_branch .LBB129_60
.LBB129_50:                             ;   in Loop: Header=BB129_4 Depth=1
                                        ; implicit-def: $vgpr21
                                        ; implicit-def: $vgpr22
	s_cbranch_execz .LBB129_60
; %bb.51:                               ;   in Loop: Header=BB129_4 Depth=1
                                        ; implicit-def: $vgpr21
                                        ; implicit-def: $vgpr22
	s_delay_alu instid0(VALU_DEP_1) | instskip(NEXT) | instid1(SALU_CYCLE_1)
	s_and_saveexec_b32 s7, s6
	s_xor_b32 s7, exec_lo, s7
	s_cbranch_execz .LBB129_57
; %bb.52:                               ;   in Loop: Header=BB129_4 Depth=1
	v_cmp_neq_f32_e32 vcc_lo, 0, v19
	v_cmp_neq_f32_e64 s6, 0, v20
                                        ; implicit-def: $vgpr21
                                        ; implicit-def: $vgpr22
	s_delay_alu instid0(VALU_DEP_1) | instskip(NEXT) | instid1(SALU_CYCLE_1)
	s_or_b32 s6, s6, vcc_lo
	s_and_saveexec_b32 s27, s6
	s_delay_alu instid0(SALU_CYCLE_1)
	s_xor_b32 s6, exec_lo, s27
	s_cbranch_execz .LBB129_54
; %bb.53:                               ;   in Loop: Header=BB129_4 Depth=1
	v_div_scale_f32 v21, null, v19, v19, v20
	v_div_scale_f32 v24, vcc_lo, v20, v19, v20
	s_delay_alu instid0(VALU_DEP_2) | instskip(SKIP_2) | instid1(VALU_DEP_1)
	v_rcp_f32_e32 v22, v21
	s_waitcnt_depctr 0xfff
	v_fma_f32 v23, -v21, v22, 1.0
	v_fmac_f32_e32 v22, v23, v22
	s_delay_alu instid0(VALU_DEP_1) | instskip(NEXT) | instid1(VALU_DEP_1)
	v_mul_f32_e32 v23, v24, v22
	v_fma_f32 v57, -v21, v23, v24
	s_delay_alu instid0(VALU_DEP_1) | instskip(NEXT) | instid1(VALU_DEP_1)
	v_fmac_f32_e32 v23, v57, v22
	v_fma_f32 v21, -v21, v23, v24
	s_delay_alu instid0(VALU_DEP_1) | instskip(NEXT) | instid1(VALU_DEP_1)
	v_div_fmas_f32 v21, v21, v22, v23
	v_div_fixup_f32 v21, v21, v19, v20
	s_delay_alu instid0(VALU_DEP_1) | instskip(NEXT) | instid1(VALU_DEP_1)
	v_fmac_f32_e32 v19, v20, v21
	v_div_scale_f32 v20, null, v19, v19, 1.0
	v_div_scale_f32 v24, vcc_lo, 1.0, v19, 1.0
	s_delay_alu instid0(VALU_DEP_2) | instskip(SKIP_2) | instid1(VALU_DEP_1)
	v_rcp_f32_e32 v22, v20
	s_waitcnt_depctr 0xfff
	v_fma_f32 v23, -v20, v22, 1.0
	v_fmac_f32_e32 v22, v23, v22
	s_delay_alu instid0(VALU_DEP_1) | instskip(NEXT) | instid1(VALU_DEP_1)
	v_mul_f32_e32 v23, v24, v22
	v_fma_f32 v57, -v20, v23, v24
	s_delay_alu instid0(VALU_DEP_1) | instskip(NEXT) | instid1(VALU_DEP_1)
	v_fmac_f32_e32 v23, v57, v22
	v_fma_f32 v20, -v20, v23, v24
                                        ; implicit-def: $vgpr24
	s_delay_alu instid0(VALU_DEP_1) | instskip(SKIP_2) | instid1(VALU_DEP_3)
	v_div_fmas_f32 v20, v20, v22, v23
	v_fma_f32 v22, v18, v21, v17
	v_fma_f32 v17, -v17, v21, v18
                                        ; implicit-def: $vgpr23
	v_div_fixup_f32 v19, v20, v19, 1.0
	s_delay_alu instid0(VALU_DEP_1) | instskip(NEXT) | instid1(VALU_DEP_4)
	v_mul_f32_e32 v21, v17, v19
	v_mul_f32_e32 v22, v22, v19
                                        ; implicit-def: $vgpr17
.LBB129_54:                             ;   in Loop: Header=BB129_4 Depth=1
	s_and_not1_saveexec_b32 s27, s6
	s_cbranch_execz .LBB129_56
; %bb.55:                               ;   in Loop: Header=BB129_4 Depth=1
	v_div_scale_f32 v19, null, v23, v23, v17
	v_div_scale_f32 v20, null, v24, v24, v18
	v_div_scale_f32 v59, vcc_lo, v17, v23, v17
	s_delay_alu instid0(VALU_DEP_3) | instskip(NEXT) | instid1(VALU_DEP_2)
	v_rcp_f32_e32 v21, v19
	v_rcp_f32_e32 v22, v20
	s_waitcnt_depctr 0xfff
	v_fma_f32 v57, -v19, v21, 1.0
	v_fma_f32 v58, -v20, v22, 1.0
	s_delay_alu instid0(VALU_DEP_1) | instskip(SKIP_1) | instid1(VALU_DEP_2)
	v_dual_fmac_f32 v21, v57, v21 :: v_dual_fmac_f32 v22, v58, v22
	v_div_scale_f32 v57, s6, v18, v24, v18
	v_mul_f32_e32 v58, v59, v21
	s_delay_alu instid0(VALU_DEP_2) | instskip(NEXT) | instid1(VALU_DEP_2)
	v_mul_f32_e32 v60, v57, v22
	v_fma_f32 v61, -v19, v58, v59
	s_delay_alu instid0(VALU_DEP_2) | instskip(NEXT) | instid1(VALU_DEP_2)
	v_fma_f32 v62, -v20, v60, v57
	v_fmac_f32_e32 v58, v61, v21
	s_delay_alu instid0(VALU_DEP_2) | instskip(NEXT) | instid1(VALU_DEP_2)
	v_fmac_f32_e32 v60, v62, v22
	v_fma_f32 v19, -v19, v58, v59
	s_delay_alu instid0(VALU_DEP_2) | instskip(NEXT) | instid1(VALU_DEP_2)
	v_fma_f32 v20, -v20, v60, v57
	v_div_fmas_f32 v19, v19, v21, v58
	s_mov_b32 vcc_lo, s6
	s_delay_alu instid0(VALU_DEP_2) | instskip(NEXT) | instid1(VALU_DEP_2)
	v_div_fmas_f32 v20, v20, v22, v60
	v_div_fixup_f32 v22, v19, v23, v17
	s_delay_alu instid0(VALU_DEP_2)
	v_div_fixup_f32 v21, v20, v24, v18
.LBB129_56:                             ;   in Loop: Header=BB129_4 Depth=1
	s_or_b32 exec_lo, exec_lo, s27
                                        ; implicit-def: $vgpr20
                                        ; implicit-def: $vgpr17
.LBB129_57:                             ;   in Loop: Header=BB129_4 Depth=1
	s_and_not1_saveexec_b32 s6, s7
	s_cbranch_execz .LBB129_59
; %bb.58:                               ;   in Loop: Header=BB129_4 Depth=1
	v_div_scale_f32 v21, null, v20, v20, v19
	v_div_scale_f32 v24, vcc_lo, v19, v20, v19
	s_delay_alu instid0(VALU_DEP_2) | instskip(SKIP_2) | instid1(VALU_DEP_1)
	v_rcp_f32_e32 v22, v21
	s_waitcnt_depctr 0xfff
	v_fma_f32 v23, -v21, v22, 1.0
	v_fmac_f32_e32 v22, v23, v22
	s_delay_alu instid0(VALU_DEP_1) | instskip(NEXT) | instid1(VALU_DEP_1)
	v_mul_f32_e32 v23, v24, v22
	v_fma_f32 v57, -v21, v23, v24
	s_delay_alu instid0(VALU_DEP_1) | instskip(NEXT) | instid1(VALU_DEP_1)
	v_fmac_f32_e32 v23, v57, v22
	v_fma_f32 v21, -v21, v23, v24
	s_delay_alu instid0(VALU_DEP_1) | instskip(NEXT) | instid1(VALU_DEP_1)
	v_div_fmas_f32 v21, v21, v22, v23
	v_div_fixup_f32 v21, v21, v20, v19
	s_delay_alu instid0(VALU_DEP_1) | instskip(NEXT) | instid1(VALU_DEP_1)
	v_fmac_f32_e32 v20, v19, v21
	v_div_scale_f32 v19, null, v20, v20, 1.0
	v_div_scale_f32 v24, vcc_lo, 1.0, v20, 1.0
	s_delay_alu instid0(VALU_DEP_2) | instskip(SKIP_2) | instid1(VALU_DEP_1)
	v_rcp_f32_e32 v22, v19
	s_waitcnt_depctr 0xfff
	v_fma_f32 v23, -v19, v22, 1.0
	v_fmac_f32_e32 v22, v23, v22
	s_delay_alu instid0(VALU_DEP_1) | instskip(NEXT) | instid1(VALU_DEP_1)
	v_mul_f32_e32 v23, v24, v22
	v_fma_f32 v57, -v19, v23, v24
	s_delay_alu instid0(VALU_DEP_1) | instskip(NEXT) | instid1(VALU_DEP_1)
	v_fmac_f32_e32 v23, v57, v22
	v_fma_f32 v19, -v19, v23, v24
	s_delay_alu instid0(VALU_DEP_1) | instskip(SKIP_2) | instid1(VALU_DEP_3)
	v_div_fmas_f32 v19, v19, v22, v23
	v_fma_f32 v22, v17, v21, v18
	v_fma_f32 v17, v18, v21, -v17
	v_div_fixup_f32 v19, v19, v20, 1.0
	s_delay_alu instid0(VALU_DEP_1) | instskip(NEXT) | instid1(VALU_DEP_3)
	v_mul_f32_e32 v22, v22, v19
	v_mul_f32_e32 v21, v17, v19
.LBB129_59:                             ;   in Loop: Header=BB129_4 Depth=1
	s_or_b32 exec_lo, exec_lo, s6
.LBB129_60:                             ;   in Loop: Header=BB129_4 Depth=1
	v_cmp_gt_f32_e32 vcc_lo, 0, v15
	v_cndmask_b32_e64 v19, v15, -v15, vcc_lo
	v_cmp_gt_f32_e32 vcc_lo, 0, v16
	v_cndmask_b32_e64 v20, v16, -v16, vcc_lo
	s_and_not1_b32 vcc_lo, exec_lo, s24
	s_delay_alu instid0(VALU_DEP_1)
	v_cmp_ge_f32_e64 s6, v19, v20
	s_cbranch_vccnz .LBB129_70
; %bb.61:                               ;   in Loop: Header=BB129_4 Depth=1
                                        ; implicit-def: $vgpr17
                                        ; implicit-def: $vgpr23
	s_delay_alu instid0(VALU_DEP_1) | instskip(NEXT) | instid1(SALU_CYCLE_1)
	s_and_saveexec_b32 s7, s6
	s_xor_b32 s27, exec_lo, s7
	s_cbranch_execz .LBB129_67
; %bb.62:                               ;   in Loop: Header=BB129_4 Depth=1
	v_cmp_neq_f32_e32 vcc_lo, 0, v15
	v_cmp_neq_f32_e64 s7, 0, v16
                                        ; implicit-def: $vgpr17
                                        ; implicit-def: $vgpr23
	s_delay_alu instid0(VALU_DEP_1) | instskip(NEXT) | instid1(SALU_CYCLE_1)
	s_or_b32 s7, s7, vcc_lo
	s_and_saveexec_b32 s28, s7
	s_delay_alu instid0(SALU_CYCLE_1)
	s_xor_b32 s7, exec_lo, s28
	s_cbranch_execz .LBB129_64
; %bb.63:                               ;   in Loop: Header=BB129_4 Depth=1
	v_div_scale_f32 v17, null, v15, v15, v16
	v_div_scale_f32 v24, vcc_lo, v16, v15, v16
	s_delay_alu instid0(VALU_DEP_2) | instskip(SKIP_2) | instid1(VALU_DEP_1)
	v_rcp_f32_e32 v18, v17
	s_waitcnt_depctr 0xfff
	v_fma_f32 v23, -v17, v18, 1.0
	v_fmac_f32_e32 v18, v23, v18
	s_delay_alu instid0(VALU_DEP_1) | instskip(NEXT) | instid1(VALU_DEP_1)
	v_mul_f32_e32 v23, v24, v18
	v_fma_f32 v57, -v17, v23, v24
	s_delay_alu instid0(VALU_DEP_1) | instskip(NEXT) | instid1(VALU_DEP_1)
	v_fmac_f32_e32 v23, v57, v18
	v_fma_f32 v17, -v17, v23, v24
	s_delay_alu instid0(VALU_DEP_1) | instskip(NEXT) | instid1(VALU_DEP_1)
	v_div_fmas_f32 v17, v17, v18, v23
	v_div_fixup_f32 v17, v17, v15, v16
	s_delay_alu instid0(VALU_DEP_1) | instskip(NEXT) | instid1(VALU_DEP_1)
	v_fma_f32 v18, v16, v17, v15
	v_div_scale_f32 v23, null, v18, v18, 1.0
	v_div_scale_f32 v58, vcc_lo, 1.0, v18, 1.0
	s_delay_alu instid0(VALU_DEP_2) | instskip(SKIP_2) | instid1(VALU_DEP_1)
	v_rcp_f32_e32 v24, v23
	s_waitcnt_depctr 0xfff
	v_fma_f32 v57, -v23, v24, 1.0
	v_fmac_f32_e32 v24, v57, v24
	s_delay_alu instid0(VALU_DEP_1) | instskip(NEXT) | instid1(VALU_DEP_1)
	v_mul_f32_e32 v57, v58, v24
	v_fma_f32 v59, -v23, v57, v58
	s_delay_alu instid0(VALU_DEP_1) | instskip(NEXT) | instid1(VALU_DEP_1)
	v_fmac_f32_e32 v57, v59, v24
	v_fma_f32 v23, -v23, v57, v58
	s_delay_alu instid0(VALU_DEP_1) | instskip(SKIP_2) | instid1(VALU_DEP_3)
	v_div_fmas_f32 v23, v23, v24, v57
	v_fma_f32 v24, v14, v17, v13
	v_fma_f32 v17, -v13, v17, v14
	v_div_fixup_f32 v18, v23, v18, 1.0
	s_delay_alu instid0(VALU_DEP_1) | instskip(NEXT) | instid1(VALU_DEP_3)
	v_mul_f32_e32 v23, v24, v18
	v_mul_f32_e32 v17, v17, v18
.LBB129_64:                             ;   in Loop: Header=BB129_4 Depth=1
	s_and_not1_saveexec_b32 s28, s7
	s_cbranch_execz .LBB129_66
; %bb.65:                               ;   in Loop: Header=BB129_4 Depth=1
	v_div_scale_f32 v17, null, v19, v19, v13
	v_div_scale_f32 v18, null, v20, v20, v14
	v_div_scale_f32 v59, vcc_lo, v13, v19, v13
	s_delay_alu instid0(VALU_DEP_3) | instskip(NEXT) | instid1(VALU_DEP_2)
	v_rcp_f32_e32 v23, v17
	v_rcp_f32_e32 v24, v18
	s_waitcnt_depctr 0xfff
	v_fma_f32 v57, -v17, v23, 1.0
	v_fma_f32 v58, -v18, v24, 1.0
	s_delay_alu instid0(VALU_DEP_1) | instskip(SKIP_1) | instid1(VALU_DEP_2)
	v_dual_fmac_f32 v23, v57, v23 :: v_dual_fmac_f32 v24, v58, v24
	v_div_scale_f32 v57, s7, v14, v20, v14
	v_mul_f32_e32 v58, v59, v23
	s_delay_alu instid0(VALU_DEP_2) | instskip(NEXT) | instid1(VALU_DEP_2)
	v_mul_f32_e32 v60, v57, v24
	v_fma_f32 v61, -v17, v58, v59
	s_delay_alu instid0(VALU_DEP_2) | instskip(NEXT) | instid1(VALU_DEP_2)
	v_fma_f32 v62, -v18, v60, v57
	v_fmac_f32_e32 v58, v61, v23
	s_delay_alu instid0(VALU_DEP_2) | instskip(NEXT) | instid1(VALU_DEP_2)
	v_fmac_f32_e32 v60, v62, v24
	v_fma_f32 v17, -v17, v58, v59
	s_delay_alu instid0(VALU_DEP_2) | instskip(NEXT) | instid1(VALU_DEP_2)
	v_fma_f32 v18, -v18, v60, v57
	v_div_fmas_f32 v17, v17, v23, v58
	s_mov_b32 vcc_lo, s7
	s_delay_alu instid0(VALU_DEP_2) | instskip(NEXT) | instid1(VALU_DEP_2)
	v_div_fmas_f32 v18, v18, v24, v60
	v_div_fixup_f32 v23, v17, v19, v13
	s_delay_alu instid0(VALU_DEP_2)
	v_div_fixup_f32 v17, v18, v20, v14
.LBB129_66:                             ;   in Loop: Header=BB129_4 Depth=1
	s_or_b32 exec_lo, exec_lo, s28
.LBB129_67:                             ;   in Loop: Header=BB129_4 Depth=1
	s_and_not1_saveexec_b32 s7, s27
	s_cbranch_execz .LBB129_69
; %bb.68:                               ;   in Loop: Header=BB129_4 Depth=1
	v_div_scale_f32 v17, null, v16, v16, v15
	v_div_scale_f32 v24, vcc_lo, v15, v16, v15
	s_delay_alu instid0(VALU_DEP_2) | instskip(SKIP_2) | instid1(VALU_DEP_1)
	v_rcp_f32_e32 v18, v17
	s_waitcnt_depctr 0xfff
	v_fma_f32 v23, -v17, v18, 1.0
	v_fmac_f32_e32 v18, v23, v18
	s_delay_alu instid0(VALU_DEP_1) | instskip(NEXT) | instid1(VALU_DEP_1)
	v_mul_f32_e32 v23, v24, v18
	v_fma_f32 v57, -v17, v23, v24
	s_delay_alu instid0(VALU_DEP_1) | instskip(NEXT) | instid1(VALU_DEP_1)
	v_fmac_f32_e32 v23, v57, v18
	v_fma_f32 v17, -v17, v23, v24
	s_delay_alu instid0(VALU_DEP_1) | instskip(NEXT) | instid1(VALU_DEP_1)
	v_div_fmas_f32 v17, v17, v18, v23
	v_div_fixup_f32 v17, v17, v16, v15
	s_delay_alu instid0(VALU_DEP_1) | instskip(NEXT) | instid1(VALU_DEP_1)
	v_fma_f32 v18, v15, v17, v16
	v_div_scale_f32 v23, null, v18, v18, 1.0
	v_div_scale_f32 v58, vcc_lo, 1.0, v18, 1.0
	s_delay_alu instid0(VALU_DEP_2) | instskip(SKIP_2) | instid1(VALU_DEP_1)
	v_rcp_f32_e32 v24, v23
	s_waitcnt_depctr 0xfff
	v_fma_f32 v57, -v23, v24, 1.0
	v_fmac_f32_e32 v24, v57, v24
	s_delay_alu instid0(VALU_DEP_1) | instskip(NEXT) | instid1(VALU_DEP_1)
	v_mul_f32_e32 v57, v58, v24
	v_fma_f32 v59, -v23, v57, v58
	s_delay_alu instid0(VALU_DEP_1) | instskip(NEXT) | instid1(VALU_DEP_1)
	v_fmac_f32_e32 v57, v59, v24
	v_fma_f32 v23, -v23, v57, v58
	s_delay_alu instid0(VALU_DEP_1) | instskip(SKIP_2) | instid1(VALU_DEP_3)
	v_div_fmas_f32 v23, v23, v24, v57
	v_fma_f32 v24, v13, v17, v14
	v_fma_f32 v17, v14, v17, -v13
	v_div_fixup_f32 v18, v23, v18, 1.0
	s_delay_alu instid0(VALU_DEP_1) | instskip(NEXT) | instid1(VALU_DEP_3)
	v_mul_f32_e32 v23, v24, v18
	v_mul_f32_e32 v17, v17, v18
.LBB129_69:                             ;   in Loop: Header=BB129_4 Depth=1
	s_or_b32 exec_lo, exec_lo, s7
	s_delay_alu instid0(VALU_DEP_1) | instskip(SKIP_1) | instid1(VALU_DEP_1)
	v_mul_f32_e32 v18, s9, v17
	v_mul_f32_e32 v17, s8, v17
	v_fmac_f32_e32 v17, s9, v23
	s_delay_alu instid0(VALU_DEP_3)
	v_fma_f32 v18, v23, s8, -v18
	s_branch .LBB129_80
.LBB129_70:                             ;   in Loop: Header=BB129_4 Depth=1
                                        ; implicit-def: $vgpr17
                                        ; implicit-def: $vgpr18
	s_cbranch_execz .LBB129_80
; %bb.71:                               ;   in Loop: Header=BB129_4 Depth=1
                                        ; implicit-def: $vgpr17
                                        ; implicit-def: $vgpr18
	s_delay_alu instid0(VALU_DEP_1) | instskip(NEXT) | instid1(SALU_CYCLE_1)
	s_and_saveexec_b32 s7, s6
	s_xor_b32 s7, exec_lo, s7
	s_cbranch_execz .LBB129_77
; %bb.72:                               ;   in Loop: Header=BB129_4 Depth=1
	v_cmp_neq_f32_e32 vcc_lo, 0, v15
	v_cmp_neq_f32_e64 s6, 0, v16
                                        ; implicit-def: $vgpr17
                                        ; implicit-def: $vgpr18
	s_delay_alu instid0(VALU_DEP_1) | instskip(NEXT) | instid1(SALU_CYCLE_1)
	s_or_b32 s6, s6, vcc_lo
	s_and_saveexec_b32 s27, s6
	s_delay_alu instid0(SALU_CYCLE_1)
	s_xor_b32 s6, exec_lo, s27
	s_cbranch_execz .LBB129_74
; %bb.73:                               ;   in Loop: Header=BB129_4 Depth=1
	v_div_scale_f32 v17, null, v15, v15, v16
	v_div_scale_f32 v20, vcc_lo, v16, v15, v16
	s_delay_alu instid0(VALU_DEP_2) | instskip(SKIP_2) | instid1(VALU_DEP_1)
	v_rcp_f32_e32 v18, v17
	s_waitcnt_depctr 0xfff
	v_fma_f32 v19, -v17, v18, 1.0
	v_fmac_f32_e32 v18, v19, v18
	s_delay_alu instid0(VALU_DEP_1) | instskip(NEXT) | instid1(VALU_DEP_1)
	v_mul_f32_e32 v19, v20, v18
	v_fma_f32 v23, -v17, v19, v20
	s_delay_alu instid0(VALU_DEP_1) | instskip(NEXT) | instid1(VALU_DEP_1)
	v_fmac_f32_e32 v19, v23, v18
	v_fma_f32 v17, -v17, v19, v20
	s_delay_alu instid0(VALU_DEP_1) | instskip(NEXT) | instid1(VALU_DEP_1)
	v_div_fmas_f32 v17, v17, v18, v19
	v_div_fixup_f32 v17, v17, v15, v16
	s_delay_alu instid0(VALU_DEP_1) | instskip(NEXT) | instid1(VALU_DEP_1)
	v_fmac_f32_e32 v15, v16, v17
	v_div_scale_f32 v16, null, v15, v15, 1.0
	v_div_scale_f32 v20, vcc_lo, 1.0, v15, 1.0
	s_delay_alu instid0(VALU_DEP_2) | instskip(SKIP_2) | instid1(VALU_DEP_1)
	v_rcp_f32_e32 v18, v16
	s_waitcnt_depctr 0xfff
	v_fma_f32 v19, -v16, v18, 1.0
	v_fmac_f32_e32 v18, v19, v18
	s_delay_alu instid0(VALU_DEP_1) | instskip(NEXT) | instid1(VALU_DEP_1)
	v_mul_f32_e32 v19, v20, v18
	v_fma_f32 v23, -v16, v19, v20
	s_delay_alu instid0(VALU_DEP_1) | instskip(NEXT) | instid1(VALU_DEP_1)
	v_fmac_f32_e32 v19, v23, v18
	v_fma_f32 v16, -v16, v19, v20
                                        ; implicit-def: $vgpr20
	s_delay_alu instid0(VALU_DEP_1) | instskip(SKIP_2) | instid1(VALU_DEP_3)
	v_div_fmas_f32 v16, v16, v18, v19
	v_fma_f32 v18, v14, v17, v13
	v_fma_f32 v13, -v13, v17, v14
                                        ; implicit-def: $vgpr19
	v_div_fixup_f32 v15, v16, v15, 1.0
	s_delay_alu instid0(VALU_DEP_1) | instskip(NEXT) | instid1(VALU_DEP_4)
	v_mul_f32_e32 v17, v13, v15
	v_mul_f32_e32 v18, v18, v15
                                        ; implicit-def: $vgpr13
.LBB129_74:                             ;   in Loop: Header=BB129_4 Depth=1
	s_and_not1_saveexec_b32 s27, s6
	s_cbranch_execz .LBB129_76
; %bb.75:                               ;   in Loop: Header=BB129_4 Depth=1
	v_div_scale_f32 v15, null, v19, v19, v13
	v_div_scale_f32 v16, null, v20, v20, v14
	v_div_scale_f32 v57, vcc_lo, v13, v19, v13
	s_delay_alu instid0(VALU_DEP_3) | instskip(NEXT) | instid1(VALU_DEP_2)
	v_rcp_f32_e32 v17, v15
	v_rcp_f32_e32 v18, v16
	s_waitcnt_depctr 0xfff
	v_fma_f32 v23, -v15, v17, 1.0
	v_fma_f32 v24, -v16, v18, 1.0
	s_delay_alu instid0(VALU_DEP_1) | instskip(SKIP_1) | instid1(VALU_DEP_2)
	v_dual_fmac_f32 v17, v23, v17 :: v_dual_fmac_f32 v18, v24, v18
	v_div_scale_f32 v23, s6, v14, v20, v14
	v_mul_f32_e32 v24, v57, v17
	s_delay_alu instid0(VALU_DEP_2) | instskip(NEXT) | instid1(VALU_DEP_2)
	v_mul_f32_e32 v58, v23, v18
	v_fma_f32 v59, -v15, v24, v57
	s_delay_alu instid0(VALU_DEP_2) | instskip(NEXT) | instid1(VALU_DEP_2)
	v_fma_f32 v60, -v16, v58, v23
	v_fmac_f32_e32 v24, v59, v17
	s_delay_alu instid0(VALU_DEP_2) | instskip(NEXT) | instid1(VALU_DEP_2)
	v_fmac_f32_e32 v58, v60, v18
	v_fma_f32 v15, -v15, v24, v57
	s_delay_alu instid0(VALU_DEP_2) | instskip(NEXT) | instid1(VALU_DEP_2)
	v_fma_f32 v16, -v16, v58, v23
	v_div_fmas_f32 v15, v15, v17, v24
	s_mov_b32 vcc_lo, s6
	s_delay_alu instid0(VALU_DEP_2) | instskip(NEXT) | instid1(VALU_DEP_2)
	v_div_fmas_f32 v16, v16, v18, v58
	v_div_fixup_f32 v18, v15, v19, v13
	s_delay_alu instid0(VALU_DEP_2)
	v_div_fixup_f32 v17, v16, v20, v14
.LBB129_76:                             ;   in Loop: Header=BB129_4 Depth=1
	s_or_b32 exec_lo, exec_lo, s27
                                        ; implicit-def: $vgpr16
                                        ; implicit-def: $vgpr13
.LBB129_77:                             ;   in Loop: Header=BB129_4 Depth=1
	s_and_not1_saveexec_b32 s6, s7
	s_cbranch_execz .LBB129_79
; %bb.78:                               ;   in Loop: Header=BB129_4 Depth=1
	v_div_scale_f32 v17, null, v16, v16, v15
	v_div_scale_f32 v20, vcc_lo, v15, v16, v15
	s_delay_alu instid0(VALU_DEP_2) | instskip(SKIP_2) | instid1(VALU_DEP_1)
	v_rcp_f32_e32 v18, v17
	s_waitcnt_depctr 0xfff
	v_fma_f32 v19, -v17, v18, 1.0
	v_fmac_f32_e32 v18, v19, v18
	s_delay_alu instid0(VALU_DEP_1) | instskip(NEXT) | instid1(VALU_DEP_1)
	v_mul_f32_e32 v19, v20, v18
	v_fma_f32 v23, -v17, v19, v20
	s_delay_alu instid0(VALU_DEP_1) | instskip(NEXT) | instid1(VALU_DEP_1)
	v_fmac_f32_e32 v19, v23, v18
	v_fma_f32 v17, -v17, v19, v20
	s_delay_alu instid0(VALU_DEP_1) | instskip(NEXT) | instid1(VALU_DEP_1)
	v_div_fmas_f32 v17, v17, v18, v19
	v_div_fixup_f32 v17, v17, v16, v15
	s_delay_alu instid0(VALU_DEP_1) | instskip(NEXT) | instid1(VALU_DEP_1)
	v_fmac_f32_e32 v16, v15, v17
	v_div_scale_f32 v15, null, v16, v16, 1.0
	v_div_scale_f32 v20, vcc_lo, 1.0, v16, 1.0
	s_delay_alu instid0(VALU_DEP_2) | instskip(SKIP_2) | instid1(VALU_DEP_1)
	v_rcp_f32_e32 v18, v15
	s_waitcnt_depctr 0xfff
	v_fma_f32 v19, -v15, v18, 1.0
	v_fmac_f32_e32 v18, v19, v18
	s_delay_alu instid0(VALU_DEP_1) | instskip(NEXT) | instid1(VALU_DEP_1)
	v_mul_f32_e32 v19, v20, v18
	v_fma_f32 v23, -v15, v19, v20
	s_delay_alu instid0(VALU_DEP_1) | instskip(NEXT) | instid1(VALU_DEP_1)
	v_fmac_f32_e32 v19, v23, v18
	v_fma_f32 v15, -v15, v19, v20
	s_delay_alu instid0(VALU_DEP_1) | instskip(SKIP_2) | instid1(VALU_DEP_3)
	v_div_fmas_f32 v15, v15, v18, v19
	v_fma_f32 v18, v13, v17, v14
	v_fma_f32 v13, v14, v17, -v13
	v_div_fixup_f32 v15, v15, v16, 1.0
	s_delay_alu instid0(VALU_DEP_1) | instskip(NEXT) | instid1(VALU_DEP_3)
	v_mul_f32_e32 v18, v18, v15
	v_mul_f32_e32 v17, v13, v15
.LBB129_79:                             ;   in Loop: Header=BB129_4 Depth=1
	s_or_b32 exec_lo, exec_lo, s6
.LBB129_80:                             ;   in Loop: Header=BB129_4 Depth=1
	v_cmp_gt_f32_e32 vcc_lo, 0, v11
	v_cndmask_b32_e64 v13, v11, -v11, vcc_lo
	v_cmp_gt_f32_e32 vcc_lo, 0, v12
	v_cndmask_b32_e64 v14, v12, -v12, vcc_lo
	s_and_not1_b32 vcc_lo, exec_lo, s24
	s_delay_alu instid0(VALU_DEP_1)
	v_cmp_ge_f32_e64 s6, v13, v14
	s_cbranch_vccnz .LBB129_90
; %bb.81:                               ;   in Loop: Header=BB129_4 Depth=1
                                        ; implicit-def: $vgpr15
                                        ; implicit-def: $vgpr19
	s_delay_alu instid0(VALU_DEP_1) | instskip(NEXT) | instid1(SALU_CYCLE_1)
	s_and_saveexec_b32 s7, s6
	s_xor_b32 s27, exec_lo, s7
	s_cbranch_execz .LBB129_87
; %bb.82:                               ;   in Loop: Header=BB129_4 Depth=1
	v_cmp_neq_f32_e32 vcc_lo, 0, v11
	v_cmp_neq_f32_e64 s7, 0, v12
                                        ; implicit-def: $vgpr15
                                        ; implicit-def: $vgpr19
	s_delay_alu instid0(VALU_DEP_1) | instskip(NEXT) | instid1(SALU_CYCLE_1)
	s_or_b32 s7, s7, vcc_lo
	s_and_saveexec_b32 s28, s7
	s_delay_alu instid0(SALU_CYCLE_1)
	s_xor_b32 s7, exec_lo, s28
	s_cbranch_execz .LBB129_84
; %bb.83:                               ;   in Loop: Header=BB129_4 Depth=1
	v_div_scale_f32 v15, null, v11, v11, v12
	v_div_scale_f32 v20, vcc_lo, v12, v11, v12
	s_delay_alu instid0(VALU_DEP_2) | instskip(SKIP_2) | instid1(VALU_DEP_1)
	v_rcp_f32_e32 v16, v15
	s_waitcnt_depctr 0xfff
	v_fma_f32 v19, -v15, v16, 1.0
	v_fmac_f32_e32 v16, v19, v16
	s_delay_alu instid0(VALU_DEP_1) | instskip(NEXT) | instid1(VALU_DEP_1)
	v_mul_f32_e32 v19, v20, v16
	v_fma_f32 v23, -v15, v19, v20
	s_delay_alu instid0(VALU_DEP_1) | instskip(NEXT) | instid1(VALU_DEP_1)
	v_fmac_f32_e32 v19, v23, v16
	v_fma_f32 v15, -v15, v19, v20
	s_delay_alu instid0(VALU_DEP_1) | instskip(NEXT) | instid1(VALU_DEP_1)
	v_div_fmas_f32 v15, v15, v16, v19
	v_div_fixup_f32 v15, v15, v11, v12
	s_delay_alu instid0(VALU_DEP_1) | instskip(NEXT) | instid1(VALU_DEP_1)
	v_fma_f32 v16, v12, v15, v11
	v_div_scale_f32 v19, null, v16, v16, 1.0
	v_div_scale_f32 v24, vcc_lo, 1.0, v16, 1.0
	s_delay_alu instid0(VALU_DEP_2) | instskip(SKIP_2) | instid1(VALU_DEP_1)
	v_rcp_f32_e32 v20, v19
	s_waitcnt_depctr 0xfff
	v_fma_f32 v23, -v19, v20, 1.0
	v_fmac_f32_e32 v20, v23, v20
	s_delay_alu instid0(VALU_DEP_1) | instskip(NEXT) | instid1(VALU_DEP_1)
	v_mul_f32_e32 v23, v24, v20
	v_fma_f32 v57, -v19, v23, v24
	s_delay_alu instid0(VALU_DEP_1) | instskip(NEXT) | instid1(VALU_DEP_1)
	v_fmac_f32_e32 v23, v57, v20
	v_fma_f32 v19, -v19, v23, v24
	s_delay_alu instid0(VALU_DEP_1) | instskip(SKIP_2) | instid1(VALU_DEP_3)
	v_div_fmas_f32 v19, v19, v20, v23
	v_fma_f32 v20, v10, v15, v9
	v_fma_f32 v15, -v9, v15, v10
	v_div_fixup_f32 v16, v19, v16, 1.0
	s_delay_alu instid0(VALU_DEP_1) | instskip(NEXT) | instid1(VALU_DEP_3)
	v_mul_f32_e32 v19, v20, v16
	v_mul_f32_e32 v15, v15, v16
.LBB129_84:                             ;   in Loop: Header=BB129_4 Depth=1
	s_and_not1_saveexec_b32 s28, s7
	s_cbranch_execz .LBB129_86
; %bb.85:                               ;   in Loop: Header=BB129_4 Depth=1
	v_div_scale_f32 v15, null, v13, v13, v9
	v_div_scale_f32 v16, null, v14, v14, v10
	v_div_scale_f32 v57, vcc_lo, v9, v13, v9
	s_delay_alu instid0(VALU_DEP_3) | instskip(NEXT) | instid1(VALU_DEP_2)
	v_rcp_f32_e32 v19, v15
	v_rcp_f32_e32 v20, v16
	s_waitcnt_depctr 0xfff
	v_fma_f32 v23, -v15, v19, 1.0
	v_fma_f32 v24, -v16, v20, 1.0
	s_delay_alu instid0(VALU_DEP_1) | instskip(SKIP_1) | instid1(VALU_DEP_2)
	v_dual_fmac_f32 v19, v23, v19 :: v_dual_fmac_f32 v20, v24, v20
	v_div_scale_f32 v23, s7, v10, v14, v10
	v_mul_f32_e32 v24, v57, v19
	s_delay_alu instid0(VALU_DEP_2) | instskip(NEXT) | instid1(VALU_DEP_2)
	v_mul_f32_e32 v58, v23, v20
	v_fma_f32 v59, -v15, v24, v57
	s_delay_alu instid0(VALU_DEP_2) | instskip(NEXT) | instid1(VALU_DEP_2)
	v_fma_f32 v60, -v16, v58, v23
	v_fmac_f32_e32 v24, v59, v19
	s_delay_alu instid0(VALU_DEP_2) | instskip(NEXT) | instid1(VALU_DEP_2)
	v_fmac_f32_e32 v58, v60, v20
	v_fma_f32 v15, -v15, v24, v57
	s_delay_alu instid0(VALU_DEP_2) | instskip(NEXT) | instid1(VALU_DEP_2)
	v_fma_f32 v16, -v16, v58, v23
	v_div_fmas_f32 v15, v15, v19, v24
	s_mov_b32 vcc_lo, s7
	s_delay_alu instid0(VALU_DEP_2) | instskip(NEXT) | instid1(VALU_DEP_2)
	v_div_fmas_f32 v16, v16, v20, v58
	v_div_fixup_f32 v19, v15, v13, v9
	s_delay_alu instid0(VALU_DEP_2)
	v_div_fixup_f32 v15, v16, v14, v10
.LBB129_86:                             ;   in Loop: Header=BB129_4 Depth=1
	s_or_b32 exec_lo, exec_lo, s28
.LBB129_87:                             ;   in Loop: Header=BB129_4 Depth=1
	s_and_not1_saveexec_b32 s7, s27
	s_cbranch_execz .LBB129_89
; %bb.88:                               ;   in Loop: Header=BB129_4 Depth=1
	v_div_scale_f32 v15, null, v12, v12, v11
	v_div_scale_f32 v20, vcc_lo, v11, v12, v11
	s_delay_alu instid0(VALU_DEP_2) | instskip(SKIP_2) | instid1(VALU_DEP_1)
	v_rcp_f32_e32 v16, v15
	s_waitcnt_depctr 0xfff
	v_fma_f32 v19, -v15, v16, 1.0
	v_fmac_f32_e32 v16, v19, v16
	s_delay_alu instid0(VALU_DEP_1) | instskip(NEXT) | instid1(VALU_DEP_1)
	v_mul_f32_e32 v19, v20, v16
	v_fma_f32 v23, -v15, v19, v20
	s_delay_alu instid0(VALU_DEP_1) | instskip(NEXT) | instid1(VALU_DEP_1)
	v_fmac_f32_e32 v19, v23, v16
	v_fma_f32 v15, -v15, v19, v20
	s_delay_alu instid0(VALU_DEP_1) | instskip(NEXT) | instid1(VALU_DEP_1)
	v_div_fmas_f32 v15, v15, v16, v19
	v_div_fixup_f32 v15, v15, v12, v11
	s_delay_alu instid0(VALU_DEP_1) | instskip(NEXT) | instid1(VALU_DEP_1)
	v_fma_f32 v16, v11, v15, v12
	v_div_scale_f32 v19, null, v16, v16, 1.0
	v_div_scale_f32 v24, vcc_lo, 1.0, v16, 1.0
	s_delay_alu instid0(VALU_DEP_2) | instskip(SKIP_2) | instid1(VALU_DEP_1)
	v_rcp_f32_e32 v20, v19
	s_waitcnt_depctr 0xfff
	v_fma_f32 v23, -v19, v20, 1.0
	v_fmac_f32_e32 v20, v23, v20
	s_delay_alu instid0(VALU_DEP_1) | instskip(NEXT) | instid1(VALU_DEP_1)
	v_mul_f32_e32 v23, v24, v20
	v_fma_f32 v57, -v19, v23, v24
	s_delay_alu instid0(VALU_DEP_1) | instskip(NEXT) | instid1(VALU_DEP_1)
	v_fmac_f32_e32 v23, v57, v20
	v_fma_f32 v19, -v19, v23, v24
	s_delay_alu instid0(VALU_DEP_1) | instskip(SKIP_2) | instid1(VALU_DEP_3)
	v_div_fmas_f32 v19, v19, v20, v23
	v_fma_f32 v20, v9, v15, v10
	v_fma_f32 v15, v10, v15, -v9
	v_div_fixup_f32 v16, v19, v16, 1.0
	s_delay_alu instid0(VALU_DEP_1) | instskip(NEXT) | instid1(VALU_DEP_3)
	v_mul_f32_e32 v19, v20, v16
	v_mul_f32_e32 v15, v15, v16
.LBB129_89:                             ;   in Loop: Header=BB129_4 Depth=1
	s_or_b32 exec_lo, exec_lo, s7
	s_delay_alu instid0(VALU_DEP_1) | instskip(SKIP_1) | instid1(VALU_DEP_2)
	v_mul_f32_e32 v16, s9, v15
	v_mul_f32_e32 v15, s8, v15
	v_fma_f32 v16, v19, s8, -v16
	s_delay_alu instid0(VALU_DEP_2)
	v_fmac_f32_e32 v15, s9, v19
	s_branch .LBB129_100
.LBB129_90:                             ;   in Loop: Header=BB129_4 Depth=1
                                        ; implicit-def: $vgpr15
                                        ; implicit-def: $vgpr16
	s_cbranch_execz .LBB129_100
; %bb.91:                               ;   in Loop: Header=BB129_4 Depth=1
                                        ; implicit-def: $vgpr15
                                        ; implicit-def: $vgpr16
	s_delay_alu instid0(VALU_DEP_1) | instskip(NEXT) | instid1(SALU_CYCLE_1)
	s_and_saveexec_b32 s7, s6
	s_xor_b32 s7, exec_lo, s7
	s_cbranch_execz .LBB129_97
; %bb.92:                               ;   in Loop: Header=BB129_4 Depth=1
	v_cmp_neq_f32_e32 vcc_lo, 0, v11
	v_cmp_neq_f32_e64 s6, 0, v12
                                        ; implicit-def: $vgpr15
                                        ; implicit-def: $vgpr16
	s_delay_alu instid0(VALU_DEP_1) | instskip(NEXT) | instid1(SALU_CYCLE_1)
	s_or_b32 s6, s6, vcc_lo
	s_and_saveexec_b32 s27, s6
	s_delay_alu instid0(SALU_CYCLE_1)
	s_xor_b32 s6, exec_lo, s27
	s_cbranch_execz .LBB129_94
; %bb.93:                               ;   in Loop: Header=BB129_4 Depth=1
	v_div_scale_f32 v13, null, v11, v11, v12
	v_div_scale_f32 v16, vcc_lo, v12, v11, v12
	s_delay_alu instid0(VALU_DEP_2) | instskip(SKIP_2) | instid1(VALU_DEP_1)
	v_rcp_f32_e32 v14, v13
	s_waitcnt_depctr 0xfff
	v_fma_f32 v15, -v13, v14, 1.0
	v_fmac_f32_e32 v14, v15, v14
	s_delay_alu instid0(VALU_DEP_1) | instskip(NEXT) | instid1(VALU_DEP_1)
	v_mul_f32_e32 v15, v16, v14
	v_fma_f32 v19, -v13, v15, v16
	s_delay_alu instid0(VALU_DEP_1) | instskip(NEXT) | instid1(VALU_DEP_1)
	v_fmac_f32_e32 v15, v19, v14
	v_fma_f32 v13, -v13, v15, v16
	s_delay_alu instid0(VALU_DEP_1) | instskip(NEXT) | instid1(VALU_DEP_1)
	v_div_fmas_f32 v13, v13, v14, v15
	v_div_fixup_f32 v13, v13, v11, v12
	s_delay_alu instid0(VALU_DEP_1) | instskip(NEXT) | instid1(VALU_DEP_1)
	v_fmac_f32_e32 v11, v12, v13
	v_div_scale_f32 v12, null, v11, v11, 1.0
	v_div_scale_f32 v16, vcc_lo, 1.0, v11, 1.0
	s_delay_alu instid0(VALU_DEP_2) | instskip(SKIP_2) | instid1(VALU_DEP_1)
	v_rcp_f32_e32 v14, v12
	s_waitcnt_depctr 0xfff
	v_fma_f32 v15, -v12, v14, 1.0
	v_fmac_f32_e32 v14, v15, v14
	s_delay_alu instid0(VALU_DEP_1) | instskip(NEXT) | instid1(VALU_DEP_1)
	v_mul_f32_e32 v15, v16, v14
	v_fma_f32 v19, -v12, v15, v16
	s_delay_alu instid0(VALU_DEP_1) | instskip(NEXT) | instid1(VALU_DEP_1)
	v_fmac_f32_e32 v15, v19, v14
	v_fma_f32 v12, -v12, v15, v16
	s_delay_alu instid0(VALU_DEP_1) | instskip(SKIP_2) | instid1(VALU_DEP_3)
	v_div_fmas_f32 v12, v12, v14, v15
	v_fma_f32 v14, v10, v13, v9
	v_fma_f32 v9, -v9, v13, v10
                                        ; implicit-def: $vgpr13
	v_div_fixup_f32 v11, v12, v11, 1.0
	s_delay_alu instid0(VALU_DEP_1) | instskip(NEXT) | instid1(VALU_DEP_4)
	v_mul_f32_e32 v15, v9, v11
	v_mul_f32_e32 v16, v14, v11
                                        ; implicit-def: $vgpr9
                                        ; implicit-def: $vgpr14
.LBB129_94:                             ;   in Loop: Header=BB129_4 Depth=1
	s_and_not1_saveexec_b32 s27, s6
	s_cbranch_execz .LBB129_96
; %bb.95:                               ;   in Loop: Header=BB129_4 Depth=1
	v_div_scale_f32 v11, null, v13, v13, v9
	v_div_scale_f32 v12, null, v14, v14, v10
	v_div_scale_f32 v23, vcc_lo, v9, v13, v9
	s_delay_alu instid0(VALU_DEP_3) | instskip(NEXT) | instid1(VALU_DEP_2)
	v_rcp_f32_e32 v15, v11
	v_rcp_f32_e32 v16, v12
	s_waitcnt_depctr 0xfff
	v_fma_f32 v19, -v11, v15, 1.0
	v_fma_f32 v20, -v12, v16, 1.0
	s_delay_alu instid0(VALU_DEP_1) | instskip(SKIP_1) | instid1(VALU_DEP_2)
	v_dual_fmac_f32 v15, v19, v15 :: v_dual_fmac_f32 v16, v20, v16
	v_div_scale_f32 v19, s6, v10, v14, v10
	v_mul_f32_e32 v20, v23, v15
	s_delay_alu instid0(VALU_DEP_2) | instskip(NEXT) | instid1(VALU_DEP_2)
	v_mul_f32_e32 v24, v19, v16
	v_fma_f32 v57, -v11, v20, v23
	s_delay_alu instid0(VALU_DEP_2) | instskip(NEXT) | instid1(VALU_DEP_2)
	v_fma_f32 v58, -v12, v24, v19
	v_fmac_f32_e32 v20, v57, v15
	s_delay_alu instid0(VALU_DEP_2) | instskip(NEXT) | instid1(VALU_DEP_2)
	v_fmac_f32_e32 v24, v58, v16
	v_fma_f32 v11, -v11, v20, v23
	s_delay_alu instid0(VALU_DEP_2) | instskip(NEXT) | instid1(VALU_DEP_2)
	v_fma_f32 v12, -v12, v24, v19
	v_div_fmas_f32 v11, v11, v15, v20
	s_mov_b32 vcc_lo, s6
	s_delay_alu instid0(VALU_DEP_2) | instskip(NEXT) | instid1(VALU_DEP_2)
	v_div_fmas_f32 v12, v12, v16, v24
	v_div_fixup_f32 v16, v11, v13, v9
	s_delay_alu instid0(VALU_DEP_2)
	v_div_fixup_f32 v15, v12, v14, v10
.LBB129_96:                             ;   in Loop: Header=BB129_4 Depth=1
	s_or_b32 exec_lo, exec_lo, s27
                                        ; implicit-def: $vgpr12
                                        ; implicit-def: $vgpr9
.LBB129_97:                             ;   in Loop: Header=BB129_4 Depth=1
	s_and_not1_saveexec_b32 s6, s7
	s_cbranch_execz .LBB129_99
; %bb.98:                               ;   in Loop: Header=BB129_4 Depth=1
	v_div_scale_f32 v13, null, v12, v12, v11
	v_div_scale_f32 v16, vcc_lo, v11, v12, v11
	s_delay_alu instid0(VALU_DEP_2) | instskip(SKIP_2) | instid1(VALU_DEP_1)
	v_rcp_f32_e32 v14, v13
	s_waitcnt_depctr 0xfff
	v_fma_f32 v15, -v13, v14, 1.0
	v_fmac_f32_e32 v14, v15, v14
	s_delay_alu instid0(VALU_DEP_1) | instskip(NEXT) | instid1(VALU_DEP_1)
	v_mul_f32_e32 v15, v16, v14
	v_fma_f32 v19, -v13, v15, v16
	s_delay_alu instid0(VALU_DEP_1) | instskip(NEXT) | instid1(VALU_DEP_1)
	v_fmac_f32_e32 v15, v19, v14
	v_fma_f32 v13, -v13, v15, v16
	s_delay_alu instid0(VALU_DEP_1) | instskip(NEXT) | instid1(VALU_DEP_1)
	v_div_fmas_f32 v13, v13, v14, v15
	v_div_fixup_f32 v13, v13, v12, v11
	s_delay_alu instid0(VALU_DEP_1) | instskip(NEXT) | instid1(VALU_DEP_1)
	v_fmac_f32_e32 v12, v11, v13
	v_div_scale_f32 v11, null, v12, v12, 1.0
	v_div_scale_f32 v16, vcc_lo, 1.0, v12, 1.0
	s_delay_alu instid0(VALU_DEP_2) | instskip(SKIP_2) | instid1(VALU_DEP_1)
	v_rcp_f32_e32 v14, v11
	s_waitcnt_depctr 0xfff
	v_fma_f32 v15, -v11, v14, 1.0
	v_fmac_f32_e32 v14, v15, v14
	s_delay_alu instid0(VALU_DEP_1) | instskip(NEXT) | instid1(VALU_DEP_1)
	v_mul_f32_e32 v15, v16, v14
	v_fma_f32 v19, -v11, v15, v16
	s_delay_alu instid0(VALU_DEP_1) | instskip(NEXT) | instid1(VALU_DEP_1)
	v_fmac_f32_e32 v15, v19, v14
	v_fma_f32 v11, -v11, v15, v16
	s_delay_alu instid0(VALU_DEP_1) | instskip(SKIP_2) | instid1(VALU_DEP_3)
	v_div_fmas_f32 v11, v11, v14, v15
	v_fma_f32 v14, v9, v13, v10
	v_fma_f32 v9, v10, v13, -v9
	v_div_fixup_f32 v11, v11, v12, 1.0
	s_delay_alu instid0(VALU_DEP_1) | instskip(NEXT) | instid1(VALU_DEP_3)
	v_mul_f32_e32 v16, v14, v11
	v_mul_f32_e32 v15, v9, v11
.LBB129_99:                             ;   in Loop: Header=BB129_4 Depth=1
	s_or_b32 exec_lo, exec_lo, s6
.LBB129_100:                            ;   in Loop: Header=BB129_4 Depth=1
	s_and_saveexec_b32 s6, s2
	s_delay_alu instid0(SALU_CYCLE_1)
	s_xor_b32 s2, exec_lo, s6
	s_cbranch_execnz .LBB129_104
; %bb.101:                              ;   in Loop: Header=BB129_4 Depth=1
	s_or_b32 exec_lo, exec_lo, s2
	s_and_saveexec_b32 s2, s3
	s_cbranch_execnz .LBB129_105
.LBB129_102:                            ;   in Loop: Header=BB129_4 Depth=1
	s_or_b32 exec_lo, exec_lo, s2
	s_and_saveexec_b32 s2, s4
	s_cbranch_execnz .LBB129_106
.LBB129_103:                            ;   in Loop: Header=BB129_4 Depth=1
	s_or_b32 exec_lo, exec_lo, s2
	s_and_saveexec_b32 s2, s5
	s_cbranch_execz .LBB129_3
	s_branch .LBB129_107
.LBB129_104:                            ;   in Loop: Header=BB129_4 Depth=1
	v_add_co_u32 v9, vcc_lo, v25, s12
	v_dual_add_f32 v1, v1, v56 :: v_dual_add_f32 v2, v2, v55
	v_add_co_ci_u32_e32 v10, vcc_lo, s13, v26, vcc_lo
	global_store_b64 v[9:10], v[1:2], off
	s_or_b32 exec_lo, exec_lo, s2
	s_and_saveexec_b32 s2, s3
	s_cbranch_execz .LBB129_102
.LBB129_105:                            ;   in Loop: Header=BB129_4 Depth=1
	v_dual_add_f32 v1, v3, v22 :: v_dual_add_f32 v2, v4, v21
	v_add_co_u32 v3, vcc_lo, v49, s12
	v_add_co_ci_u32_e32 v4, vcc_lo, s13, v50, vcc_lo
	global_store_b64 v[3:4], v[1:2], off
	s_or_b32 exec_lo, exec_lo, s2
	s_and_saveexec_b32 s2, s4
	s_cbranch_execz .LBB129_103
.LBB129_106:                            ;   in Loop: Header=BB129_4 Depth=1
	v_add_co_u32 v3, vcc_lo, v39, s12
	v_dual_add_f32 v1, v5, v18 :: v_dual_add_f32 v2, v6, v17
	v_add_co_ci_u32_e32 v4, vcc_lo, s13, v40, vcc_lo
	global_store_b64 v[3:4], v[1:2], off
	s_or_b32 exec_lo, exec_lo, s2
	s_and_saveexec_b32 s2, s5
	s_cbranch_execz .LBB129_3
.LBB129_107:                            ;   in Loop: Header=BB129_4 Depth=1
	v_add_co_u32 v3, vcc_lo, v31, s12
	v_dual_add_f32 v1, v7, v16 :: v_dual_add_f32 v2, v8, v15
	v_add_co_ci_u32_e32 v4, vcc_lo, s13, v32, vcc_lo
	global_store_b64 v[3:4], v[1:2], off
	s_branch .LBB129_3
.LBB129_108:
	s_mov_b32 s14, 0
.LBB129_109:
	s_delay_alu instid0(SALU_CYCLE_1)
	s_and_not1_b32 vcc_lo, exec_lo, s14
	s_cbranch_vccnz .LBB129_193
; %bb.110:
	v_dual_mov_b32 v25, 0 :: v_dual_lshlrev_b32 v24, 2, v0
	s_mov_b32 s2, 0
	s_mov_b32 s3, exec_lo
	s_delay_alu instid0(VALU_DEP_1)
	v_cmpx_gt_i64_e64 s[10:11], v[24:25]
	s_cbranch_execz .LBB129_193
; %bb.111:
	s_load_b32 s0, s[0:1], 0xdd4
	s_and_b32 s1, s9, 0x7fffffff
	v_lshlrev_b32_e32 v28, 5, v0
	s_cmp_lg_u32 s1, 0
	v_cmp_neq_f32_e64 s1, s8, 1.0
	s_cselect_b32 s3, -1, 0
	s_delay_alu instid0(VALU_DEP_1) | instid1(SALU_CYCLE_1)
	s_or_b32 s3, s1, s3
	s_waitcnt lgkmcnt(0)
	s_and_b32 s0, s0, 0xffff
	s_delay_alu instid0(SALU_CYCLE_1)
	v_add_lshl_u32 v24, v0, s0, 2
	s_lshl_b32 s4, s0, 2
	s_lshl_b32 s5, s0, 5
	s_branch .LBB129_114
.LBB129_112:                            ;   in Loop: Header=BB129_114 Depth=1
	s_or_b32 exec_lo, exec_lo, s0
.LBB129_113:                            ;   in Loop: Header=BB129_114 Depth=1
	v_cmp_le_i64_e32 vcc_lo, s[10:11], v[24:25]
	v_cmp_lt_u64_e64 s0, 0xffff, v[24:25]
	v_dual_add_f32 v6, v6, v32 :: v_dual_add_f32 v7, v7, v31
	v_dual_add_f32 v4, v4, v30 :: v_dual_add_f32 v5, v5, v29
	v_dual_add_f32 v0, v0, v17 :: v_dual_add_f32 v1, v1, v16
	s_delay_alu instid0(VALU_DEP_4)
	s_or_b32 s0, vcc_lo, s0
	s_add_u32 s18, s18, s5
	s_addc_u32 s19, s19, 0
	s_add_u32 s22, s22, s5
	v_add_co_u32 v24, vcc_lo, v24, s4
	s_addc_u32 s23, s23, 0
	s_add_u32 s20, s20, s5
	v_add_co_ci_u32_e32 v25, vcc_lo, 0, v25, vcc_lo
	s_addc_u32 s21, s21, 0
	v_dual_add_f32 v2, v2, v19 :: v_dual_add_f32 v3, v3, v18
	s_and_b32 s0, exec_lo, s0
	s_clause 0x1
	global_store_b128 v[26:27], v[4:7], off
	global_store_b128 v[26:27], v[0:3], off offset:16
	s_or_b32 s2, s0, s2
	s_delay_alu instid0(SALU_CYCLE_1)
	s_and_not1_b32 exec_lo, exec_lo, s2
	s_cbranch_execz .LBB129_193
.LBB129_114:                            ; =>This Inner Loop Header: Depth=1
	v_add_co_u32 v0, s0, s22, v28
	s_delay_alu instid0(VALU_DEP_1) | instskip(SKIP_1) | instid1(VALU_DEP_1)
	v_add_co_ci_u32_e64 v1, null, s23, 0, s0
	v_add_co_u32 v26, s0, s18, v28
	v_add_co_ci_u32_e64 v27, null, s19, 0, s0
	global_load_b128 v[20:23], v[0:1], off
	v_add_co_u32 v16, s0, s20, v28
	s_delay_alu instid0(VALU_DEP_1)
	v_add_co_ci_u32_e64 v17, null, s21, 0, s0
	global_load_b128 v[12:15], v[0:1], off offset:16
	s_clause 0x1
	global_load_b128 v[0:3], v[26:27], off offset:16
	global_load_b128 v[4:7], v[26:27], off
	s_clause 0x1
	global_load_b128 v[8:11], v[16:17], off offset:16
	global_load_b128 v[16:19], v[16:17], off
	s_waitcnt vmcnt(5)
	v_cmp_gt_f32_e32 vcc_lo, 0, v20
	v_cndmask_b32_e64 v31, v20, -v20, vcc_lo
	v_cmp_gt_f32_e32 vcc_lo, 0, v21
	v_cndmask_b32_e64 v32, v21, -v21, vcc_lo
	s_and_b32 vcc_lo, exec_lo, s3
	s_delay_alu instid0(VALU_DEP_1)
	v_cmp_ge_f32_e64 s0, v31, v32
	s_cbranch_vccz .LBB129_124
; %bb.115:                              ;   in Loop: Header=BB129_114 Depth=1
                                        ; implicit-def: $vgpr29
                                        ; implicit-def: $vgpr33
	s_delay_alu instid0(VALU_DEP_1) | instskip(NEXT) | instid1(SALU_CYCLE_1)
	s_and_saveexec_b32 s1, s0
	s_xor_b32 s6, exec_lo, s1
	s_cbranch_execz .LBB129_121
; %bb.116:                              ;   in Loop: Header=BB129_114 Depth=1
	v_cmp_neq_f32_e32 vcc_lo, 0, v20
	v_cmp_neq_f32_e64 s1, 0, v21
                                        ; implicit-def: $vgpr29
                                        ; implicit-def: $vgpr33
	s_delay_alu instid0(VALU_DEP_1) | instskip(NEXT) | instid1(SALU_CYCLE_1)
	s_or_b32 s1, vcc_lo, s1
	s_and_saveexec_b32 s7, s1
	s_delay_alu instid0(SALU_CYCLE_1)
	s_xor_b32 s1, exec_lo, s7
	s_cbranch_execz .LBB129_118
; %bb.117:                              ;   in Loop: Header=BB129_114 Depth=1
	v_div_scale_f32 v29, null, v20, v20, v21
	v_div_scale_f32 v34, vcc_lo, v21, v20, v21
	s_delay_alu instid0(VALU_DEP_2) | instskip(SKIP_2) | instid1(VALU_DEP_1)
	v_rcp_f32_e32 v30, v29
	s_waitcnt_depctr 0xfff
	v_fma_f32 v33, -v29, v30, 1.0
	v_fmac_f32_e32 v30, v33, v30
	s_delay_alu instid0(VALU_DEP_1) | instskip(NEXT) | instid1(VALU_DEP_1)
	v_mul_f32_e32 v33, v34, v30
	v_fma_f32 v35, -v29, v33, v34
	s_delay_alu instid0(VALU_DEP_1) | instskip(NEXT) | instid1(VALU_DEP_1)
	v_fmac_f32_e32 v33, v35, v30
	v_fma_f32 v29, -v29, v33, v34
	s_delay_alu instid0(VALU_DEP_1) | instskip(NEXT) | instid1(VALU_DEP_1)
	v_div_fmas_f32 v29, v29, v30, v33
	v_div_fixup_f32 v29, v29, v20, v21
	s_delay_alu instid0(VALU_DEP_1) | instskip(NEXT) | instid1(VALU_DEP_1)
	v_fma_f32 v30, v21, v29, v20
	v_div_scale_f32 v33, null, v30, v30, 1.0
	v_div_scale_f32 v36, vcc_lo, 1.0, v30, 1.0
	s_delay_alu instid0(VALU_DEP_2) | instskip(SKIP_2) | instid1(VALU_DEP_1)
	v_rcp_f32_e32 v34, v33
	s_waitcnt_depctr 0xfff
	v_fma_f32 v35, -v33, v34, 1.0
	v_fmac_f32_e32 v34, v35, v34
	s_delay_alu instid0(VALU_DEP_1) | instskip(NEXT) | instid1(VALU_DEP_1)
	v_mul_f32_e32 v35, v36, v34
	v_fma_f32 v37, -v33, v35, v36
	s_delay_alu instid0(VALU_DEP_1) | instskip(NEXT) | instid1(VALU_DEP_1)
	v_fmac_f32_e32 v35, v37, v34
	v_fma_f32 v33, -v33, v35, v36
	s_delay_alu instid0(VALU_DEP_1) | instskip(SKIP_3) | instid1(VALU_DEP_3)
	v_div_fmas_f32 v33, v33, v34, v35
	s_waitcnt vmcnt(0)
	v_fma_f32 v34, v17, v29, v16
	v_fma_f32 v29, -v16, v29, v17
	v_div_fixup_f32 v30, v33, v30, 1.0
	s_delay_alu instid0(VALU_DEP_1) | instskip(NEXT) | instid1(VALU_DEP_3)
	v_mul_f32_e32 v33, v34, v30
	v_mul_f32_e32 v29, v29, v30
.LBB129_118:                            ;   in Loop: Header=BB129_114 Depth=1
	s_and_not1_saveexec_b32 s7, s1
	s_cbranch_execz .LBB129_120
; %bb.119:                              ;   in Loop: Header=BB129_114 Depth=1
	s_waitcnt vmcnt(0)
	v_div_scale_f32 v29, null, v31, v31, v16
	v_div_scale_f32 v30, null, v32, v32, v17
	v_div_scale_f32 v37, vcc_lo, v16, v31, v16
	s_delay_alu instid0(VALU_DEP_3) | instskip(NEXT) | instid1(VALU_DEP_2)
	v_rcp_f32_e32 v33, v29
	v_rcp_f32_e32 v34, v30
	s_waitcnt_depctr 0xfff
	v_fma_f32 v35, -v29, v33, 1.0
	v_fma_f32 v36, -v30, v34, 1.0
	s_delay_alu instid0(VALU_DEP_1) | instskip(SKIP_1) | instid1(VALU_DEP_2)
	v_dual_fmac_f32 v33, v35, v33 :: v_dual_fmac_f32 v34, v36, v34
	v_div_scale_f32 v35, s1, v17, v32, v17
	v_mul_f32_e32 v36, v37, v33
	s_delay_alu instid0(VALU_DEP_2) | instskip(NEXT) | instid1(VALU_DEP_2)
	v_mul_f32_e32 v38, v35, v34
	v_fma_f32 v39, -v29, v36, v37
	s_delay_alu instid0(VALU_DEP_2) | instskip(NEXT) | instid1(VALU_DEP_2)
	v_fma_f32 v40, -v30, v38, v35
	v_fmac_f32_e32 v36, v39, v33
	s_delay_alu instid0(VALU_DEP_2) | instskip(NEXT) | instid1(VALU_DEP_2)
	v_fmac_f32_e32 v38, v40, v34
	v_fma_f32 v29, -v29, v36, v37
	s_delay_alu instid0(VALU_DEP_2) | instskip(NEXT) | instid1(VALU_DEP_2)
	v_fma_f32 v30, -v30, v38, v35
	v_div_fmas_f32 v29, v29, v33, v36
	s_mov_b32 vcc_lo, s1
	s_delay_alu instid0(VALU_DEP_2) | instskip(NEXT) | instid1(VALU_DEP_2)
	v_div_fmas_f32 v30, v30, v34, v38
	v_div_fixup_f32 v33, v29, v31, v16
	s_delay_alu instid0(VALU_DEP_2)
	v_div_fixup_f32 v29, v30, v32, v17
.LBB129_120:                            ;   in Loop: Header=BB129_114 Depth=1
	s_or_b32 exec_lo, exec_lo, s7
.LBB129_121:                            ;   in Loop: Header=BB129_114 Depth=1
	s_and_not1_saveexec_b32 s1, s6
	s_cbranch_execz .LBB129_123
; %bb.122:                              ;   in Loop: Header=BB129_114 Depth=1
	v_div_scale_f32 v29, null, v21, v21, v20
	v_div_scale_f32 v34, vcc_lo, v20, v21, v20
	s_delay_alu instid0(VALU_DEP_2) | instskip(SKIP_2) | instid1(VALU_DEP_1)
	v_rcp_f32_e32 v30, v29
	s_waitcnt_depctr 0xfff
	v_fma_f32 v33, -v29, v30, 1.0
	v_fmac_f32_e32 v30, v33, v30
	s_delay_alu instid0(VALU_DEP_1) | instskip(NEXT) | instid1(VALU_DEP_1)
	v_mul_f32_e32 v33, v34, v30
	v_fma_f32 v35, -v29, v33, v34
	s_delay_alu instid0(VALU_DEP_1) | instskip(NEXT) | instid1(VALU_DEP_1)
	v_fmac_f32_e32 v33, v35, v30
	v_fma_f32 v29, -v29, v33, v34
	s_delay_alu instid0(VALU_DEP_1) | instskip(NEXT) | instid1(VALU_DEP_1)
	v_div_fmas_f32 v29, v29, v30, v33
	v_div_fixup_f32 v29, v29, v21, v20
	s_delay_alu instid0(VALU_DEP_1) | instskip(NEXT) | instid1(VALU_DEP_1)
	v_fma_f32 v30, v20, v29, v21
	v_div_scale_f32 v33, null, v30, v30, 1.0
	v_div_scale_f32 v36, vcc_lo, 1.0, v30, 1.0
	s_delay_alu instid0(VALU_DEP_2) | instskip(SKIP_2) | instid1(VALU_DEP_1)
	v_rcp_f32_e32 v34, v33
	s_waitcnt_depctr 0xfff
	v_fma_f32 v35, -v33, v34, 1.0
	v_fmac_f32_e32 v34, v35, v34
	s_delay_alu instid0(VALU_DEP_1) | instskip(NEXT) | instid1(VALU_DEP_1)
	v_mul_f32_e32 v35, v36, v34
	v_fma_f32 v37, -v33, v35, v36
	s_delay_alu instid0(VALU_DEP_1) | instskip(NEXT) | instid1(VALU_DEP_1)
	v_fmac_f32_e32 v35, v37, v34
	v_fma_f32 v33, -v33, v35, v36
	s_delay_alu instid0(VALU_DEP_1) | instskip(SKIP_3) | instid1(VALU_DEP_3)
	v_div_fmas_f32 v33, v33, v34, v35
	s_waitcnt vmcnt(0)
	v_fma_f32 v34, v16, v29, v17
	v_fma_f32 v29, v17, v29, -v16
	v_div_fixup_f32 v30, v33, v30, 1.0
	s_delay_alu instid0(VALU_DEP_1) | instskip(NEXT) | instid1(VALU_DEP_3)
	v_mul_f32_e32 v33, v34, v30
	v_mul_f32_e32 v29, v29, v30
.LBB129_123:                            ;   in Loop: Header=BB129_114 Depth=1
	s_or_b32 exec_lo, exec_lo, s1
	s_delay_alu instid0(VALU_DEP_1) | instskip(SKIP_1) | instid1(VALU_DEP_2)
	v_mul_f32_e32 v30, s9, v29
	v_mul_f32_e32 v29, s8, v29
	v_fma_f32 v30, v33, s8, -v30
	s_delay_alu instid0(VALU_DEP_2)
	v_fmac_f32_e32 v29, s9, v33
	s_branch .LBB129_134
.LBB129_124:                            ;   in Loop: Header=BB129_114 Depth=1
                                        ; implicit-def: $vgpr29
                                        ; implicit-def: $vgpr30
	s_cbranch_execz .LBB129_134
; %bb.125:                              ;   in Loop: Header=BB129_114 Depth=1
                                        ; implicit-def: $vgpr29
                                        ; implicit-def: $vgpr30
	s_delay_alu instid0(VALU_DEP_1) | instskip(NEXT) | instid1(SALU_CYCLE_1)
	s_and_saveexec_b32 s1, s0
	s_xor_b32 s1, exec_lo, s1
	s_cbranch_execz .LBB129_131
; %bb.126:                              ;   in Loop: Header=BB129_114 Depth=1
	v_cmp_neq_f32_e32 vcc_lo, 0, v20
	v_cmp_neq_f32_e64 s0, 0, v21
                                        ; implicit-def: $vgpr29
                                        ; implicit-def: $vgpr30
	s_delay_alu instid0(VALU_DEP_1) | instskip(NEXT) | instid1(SALU_CYCLE_1)
	s_or_b32 s0, vcc_lo, s0
	s_and_saveexec_b32 s6, s0
	s_delay_alu instid0(SALU_CYCLE_1)
	s_xor_b32 s0, exec_lo, s6
	s_cbranch_execz .LBB129_128
; %bb.127:                              ;   in Loop: Header=BB129_114 Depth=1
	v_div_scale_f32 v29, null, v20, v20, v21
	v_div_scale_f32 v32, vcc_lo, v21, v20, v21
	s_delay_alu instid0(VALU_DEP_2) | instskip(SKIP_2) | instid1(VALU_DEP_1)
	v_rcp_f32_e32 v30, v29
	s_waitcnt_depctr 0xfff
	v_fma_f32 v31, -v29, v30, 1.0
	v_fmac_f32_e32 v30, v31, v30
	s_delay_alu instid0(VALU_DEP_1) | instskip(NEXT) | instid1(VALU_DEP_1)
	v_mul_f32_e32 v31, v32, v30
	v_fma_f32 v33, -v29, v31, v32
	s_delay_alu instid0(VALU_DEP_1) | instskip(NEXT) | instid1(VALU_DEP_1)
	v_fmac_f32_e32 v31, v33, v30
	v_fma_f32 v29, -v29, v31, v32
	s_delay_alu instid0(VALU_DEP_1) | instskip(NEXT) | instid1(VALU_DEP_1)
	v_div_fmas_f32 v29, v29, v30, v31
	v_div_fixup_f32 v29, v29, v20, v21
	s_delay_alu instid0(VALU_DEP_1) | instskip(NEXT) | instid1(VALU_DEP_1)
	v_fma_f32 v30, v21, v29, v20
	v_div_scale_f32 v31, null, v30, v30, 1.0
	v_div_scale_f32 v34, vcc_lo, 1.0, v30, 1.0
	s_delay_alu instid0(VALU_DEP_2) | instskip(SKIP_2) | instid1(VALU_DEP_1)
	v_rcp_f32_e32 v32, v31
	s_waitcnt_depctr 0xfff
	v_fma_f32 v33, -v31, v32, 1.0
	v_fmac_f32_e32 v32, v33, v32
	s_delay_alu instid0(VALU_DEP_1) | instskip(NEXT) | instid1(VALU_DEP_1)
	v_mul_f32_e32 v33, v34, v32
	v_fma_f32 v35, -v31, v33, v34
	s_delay_alu instid0(VALU_DEP_1) | instskip(NEXT) | instid1(VALU_DEP_1)
	v_fmac_f32_e32 v33, v35, v32
	v_fma_f32 v31, -v31, v33, v34
	s_delay_alu instid0(VALU_DEP_1) | instskip(SKIP_3) | instid1(VALU_DEP_3)
	v_div_fmas_f32 v31, v31, v32, v33
	s_waitcnt vmcnt(0)
	v_fma_f32 v32, v17, v29, v16
	v_fma_f32 v29, -v16, v29, v17
	v_div_fixup_f32 v31, v31, v30, 1.0
	s_delay_alu instid0(VALU_DEP_1) | instskip(NEXT) | instid1(VALU_DEP_3)
	v_mul_f32_e32 v30, v32, v31
	v_mul_f32_e32 v29, v29, v31
                                        ; implicit-def: $vgpr31
                                        ; implicit-def: $vgpr32
.LBB129_128:                            ;   in Loop: Header=BB129_114 Depth=1
	s_and_not1_saveexec_b32 s6, s0
	s_cbranch_execz .LBB129_130
; %bb.129:                              ;   in Loop: Header=BB129_114 Depth=1
	s_waitcnt vmcnt(0)
	v_div_scale_f32 v29, null, v31, v31, v16
	v_div_scale_f32 v30, null, v32, v32, v17
	v_div_scale_f32 v37, vcc_lo, v16, v31, v16
	s_delay_alu instid0(VALU_DEP_3) | instskip(NEXT) | instid1(VALU_DEP_2)
	v_rcp_f32_e32 v33, v29
	v_rcp_f32_e32 v34, v30
	s_waitcnt_depctr 0xfff
	v_fma_f32 v35, -v29, v33, 1.0
	v_fma_f32 v36, -v30, v34, 1.0
	s_delay_alu instid0(VALU_DEP_1) | instskip(SKIP_1) | instid1(VALU_DEP_2)
	v_dual_fmac_f32 v33, v35, v33 :: v_dual_fmac_f32 v34, v36, v34
	v_div_scale_f32 v35, s0, v17, v32, v17
	v_mul_f32_e32 v36, v37, v33
	s_delay_alu instid0(VALU_DEP_2) | instskip(NEXT) | instid1(VALU_DEP_2)
	v_mul_f32_e32 v38, v35, v34
	v_fma_f32 v39, -v29, v36, v37
	s_delay_alu instid0(VALU_DEP_2) | instskip(NEXT) | instid1(VALU_DEP_2)
	v_fma_f32 v40, -v30, v38, v35
	v_fmac_f32_e32 v36, v39, v33
	s_delay_alu instid0(VALU_DEP_2) | instskip(NEXT) | instid1(VALU_DEP_2)
	v_fmac_f32_e32 v38, v40, v34
	v_fma_f32 v29, -v29, v36, v37
	s_delay_alu instid0(VALU_DEP_2) | instskip(NEXT) | instid1(VALU_DEP_2)
	v_fma_f32 v30, -v30, v38, v35
	v_div_fmas_f32 v29, v29, v33, v36
	s_mov_b32 vcc_lo, s0
	s_delay_alu instid0(VALU_DEP_2) | instskip(NEXT) | instid1(VALU_DEP_2)
	v_div_fmas_f32 v33, v30, v34, v38
	v_div_fixup_f32 v30, v29, v31, v16
	s_delay_alu instid0(VALU_DEP_2)
	v_div_fixup_f32 v29, v33, v32, v17
.LBB129_130:                            ;   in Loop: Header=BB129_114 Depth=1
	s_or_b32 exec_lo, exec_lo, s6
.LBB129_131:                            ;   in Loop: Header=BB129_114 Depth=1
	s_and_not1_saveexec_b32 s0, s1
	s_cbranch_execz .LBB129_133
; %bb.132:                              ;   in Loop: Header=BB129_114 Depth=1
	v_div_scale_f32 v29, null, v21, v21, v20
	v_div_scale_f32 v32, vcc_lo, v20, v21, v20
	s_delay_alu instid0(VALU_DEP_2) | instskip(SKIP_2) | instid1(VALU_DEP_1)
	v_rcp_f32_e32 v30, v29
	s_waitcnt_depctr 0xfff
	v_fma_f32 v31, -v29, v30, 1.0
	v_fmac_f32_e32 v30, v31, v30
	s_delay_alu instid0(VALU_DEP_1) | instskip(NEXT) | instid1(VALU_DEP_1)
	v_mul_f32_e32 v31, v32, v30
	v_fma_f32 v33, -v29, v31, v32
	s_delay_alu instid0(VALU_DEP_1) | instskip(NEXT) | instid1(VALU_DEP_1)
	v_fmac_f32_e32 v31, v33, v30
	v_fma_f32 v29, -v29, v31, v32
	s_delay_alu instid0(VALU_DEP_1) | instskip(NEXT) | instid1(VALU_DEP_1)
	v_div_fmas_f32 v29, v29, v30, v31
	v_div_fixup_f32 v29, v29, v21, v20
	s_delay_alu instid0(VALU_DEP_1) | instskip(NEXT) | instid1(VALU_DEP_1)
	v_fma_f32 v20, v20, v29, v21
	v_div_scale_f32 v21, null, v20, v20, 1.0
	v_div_scale_f32 v32, vcc_lo, 1.0, v20, 1.0
	s_delay_alu instid0(VALU_DEP_2) | instskip(SKIP_2) | instid1(VALU_DEP_1)
	v_rcp_f32_e32 v30, v21
	s_waitcnt_depctr 0xfff
	v_fma_f32 v31, -v21, v30, 1.0
	v_fmac_f32_e32 v30, v31, v30
	s_delay_alu instid0(VALU_DEP_1) | instskip(NEXT) | instid1(VALU_DEP_1)
	v_mul_f32_e32 v31, v32, v30
	v_fma_f32 v33, -v21, v31, v32
	s_delay_alu instid0(VALU_DEP_1) | instskip(NEXT) | instid1(VALU_DEP_1)
	v_fmac_f32_e32 v31, v33, v30
	v_fma_f32 v21, -v21, v31, v32
	s_delay_alu instid0(VALU_DEP_1) | instskip(SKIP_3) | instid1(VALU_DEP_3)
	v_div_fmas_f32 v21, v21, v30, v31
	s_waitcnt vmcnt(0)
	v_fma_f32 v30, v16, v29, v17
	v_fma_f32 v16, v17, v29, -v16
	v_div_fixup_f32 v20, v21, v20, 1.0
	s_delay_alu instid0(VALU_DEP_1) | instskip(NEXT) | instid1(VALU_DEP_3)
	v_mul_f32_e32 v30, v30, v20
	v_mul_f32_e32 v29, v16, v20
.LBB129_133:                            ;   in Loop: Header=BB129_114 Depth=1
	s_or_b32 exec_lo, exec_lo, s0
.LBB129_134:                            ;   in Loop: Header=BB129_114 Depth=1
	v_cmp_gt_f32_e32 vcc_lo, 0, v22
	v_cndmask_b32_e64 v20, v22, -v22, vcc_lo
	v_cmp_gt_f32_e32 vcc_lo, 0, v23
	s_waitcnt vmcnt(0)
	v_cndmask_b32_e64 v16, v23, -v23, vcc_lo
	s_and_not1_b32 vcc_lo, exec_lo, s3
	s_delay_alu instid0(VALU_DEP_1)
	v_cmp_ge_f32_e64 s0, v20, v16
	s_cbranch_vccnz .LBB129_144
; %bb.135:                              ;   in Loop: Header=BB129_114 Depth=1
                                        ; implicit-def: $vgpr21
                                        ; implicit-def: $vgpr17
	s_delay_alu instid0(VALU_DEP_1) | instskip(NEXT) | instid1(SALU_CYCLE_1)
	s_and_saveexec_b32 s1, s0
	s_xor_b32 s6, exec_lo, s1
	s_cbranch_execz .LBB129_141
; %bb.136:                              ;   in Loop: Header=BB129_114 Depth=1
	v_cmp_neq_f32_e32 vcc_lo, 0, v22
	v_cmp_neq_f32_e64 s1, 0, v23
                                        ; implicit-def: $vgpr21
                                        ; implicit-def: $vgpr17
	s_delay_alu instid0(VALU_DEP_1) | instskip(NEXT) | instid1(SALU_CYCLE_1)
	s_or_b32 s1, vcc_lo, s1
	s_and_saveexec_b32 s7, s1
	s_delay_alu instid0(SALU_CYCLE_1)
	s_xor_b32 s1, exec_lo, s7
	s_cbranch_execz .LBB129_138
; %bb.137:                              ;   in Loop: Header=BB129_114 Depth=1
	v_div_scale_f32 v17, null, v22, v22, v23
	v_div_scale_f32 v32, vcc_lo, v23, v22, v23
	s_delay_alu instid0(VALU_DEP_2) | instskip(SKIP_2) | instid1(VALU_DEP_1)
	v_rcp_f32_e32 v21, v17
	s_waitcnt_depctr 0xfff
	v_fma_f32 v31, -v17, v21, 1.0
	v_fmac_f32_e32 v21, v31, v21
	s_delay_alu instid0(VALU_DEP_1) | instskip(NEXT) | instid1(VALU_DEP_1)
	v_mul_f32_e32 v31, v32, v21
	v_fma_f32 v33, -v17, v31, v32
	s_delay_alu instid0(VALU_DEP_1) | instskip(NEXT) | instid1(VALU_DEP_1)
	v_fmac_f32_e32 v31, v33, v21
	v_fma_f32 v17, -v17, v31, v32
	s_delay_alu instid0(VALU_DEP_1) | instskip(NEXT) | instid1(VALU_DEP_1)
	v_div_fmas_f32 v17, v17, v21, v31
	v_div_fixup_f32 v17, v17, v22, v23
	s_delay_alu instid0(VALU_DEP_1) | instskip(NEXT) | instid1(VALU_DEP_1)
	v_fma_f32 v21, v23, v17, v22
	v_div_scale_f32 v31, null, v21, v21, 1.0
	v_div_scale_f32 v34, vcc_lo, 1.0, v21, 1.0
	s_delay_alu instid0(VALU_DEP_2) | instskip(SKIP_2) | instid1(VALU_DEP_1)
	v_rcp_f32_e32 v32, v31
	s_waitcnt_depctr 0xfff
	v_fma_f32 v33, -v31, v32, 1.0
	v_fmac_f32_e32 v32, v33, v32
	s_delay_alu instid0(VALU_DEP_1) | instskip(NEXT) | instid1(VALU_DEP_1)
	v_mul_f32_e32 v33, v34, v32
	v_fma_f32 v35, -v31, v33, v34
	s_delay_alu instid0(VALU_DEP_1) | instskip(NEXT) | instid1(VALU_DEP_1)
	v_fmac_f32_e32 v33, v35, v32
	v_fma_f32 v31, -v31, v33, v34
	s_delay_alu instid0(VALU_DEP_1) | instskip(SKIP_1) | instid1(VALU_DEP_2)
	v_div_fmas_f32 v31, v31, v32, v33
	v_fma_f32 v32, v19, v17, v18
	v_div_fixup_f32 v21, v31, v21, 1.0
	v_fma_f32 v31, -v18, v17, v19
	s_delay_alu instid0(VALU_DEP_2) | instskip(NEXT) | instid1(VALU_DEP_2)
	v_mul_f32_e32 v17, v32, v21
	v_mul_f32_e32 v21, v31, v21
.LBB129_138:                            ;   in Loop: Header=BB129_114 Depth=1
	s_and_not1_saveexec_b32 s7, s1
	s_cbranch_execz .LBB129_140
; %bb.139:                              ;   in Loop: Header=BB129_114 Depth=1
	v_div_scale_f32 v17, null, v20, v20, v18
	v_div_scale_f32 v21, null, v16, v16, v19
	v_div_scale_f32 v35, vcc_lo, v18, v20, v18
	s_delay_alu instid0(VALU_DEP_3) | instskip(NEXT) | instid1(VALU_DEP_2)
	v_rcp_f32_e32 v31, v17
	v_rcp_f32_e32 v32, v21
	s_waitcnt_depctr 0xfff
	v_fma_f32 v33, -v17, v31, 1.0
	v_fma_f32 v34, -v21, v32, 1.0
	s_delay_alu instid0(VALU_DEP_1) | instskip(SKIP_1) | instid1(VALU_DEP_2)
	v_dual_fmac_f32 v31, v33, v31 :: v_dual_fmac_f32 v32, v34, v32
	v_div_scale_f32 v33, s1, v19, v16, v19
	v_mul_f32_e32 v34, v35, v31
	s_delay_alu instid0(VALU_DEP_2) | instskip(NEXT) | instid1(VALU_DEP_2)
	v_mul_f32_e32 v36, v33, v32
	v_fma_f32 v37, -v17, v34, v35
	s_delay_alu instid0(VALU_DEP_2) | instskip(NEXT) | instid1(VALU_DEP_2)
	v_fma_f32 v38, -v21, v36, v33
	v_fmac_f32_e32 v34, v37, v31
	s_delay_alu instid0(VALU_DEP_2) | instskip(NEXT) | instid1(VALU_DEP_2)
	v_fmac_f32_e32 v36, v38, v32
	v_fma_f32 v17, -v17, v34, v35
	s_delay_alu instid0(VALU_DEP_2) | instskip(NEXT) | instid1(VALU_DEP_2)
	v_fma_f32 v21, -v21, v36, v33
	v_div_fmas_f32 v17, v17, v31, v34
	s_mov_b32 vcc_lo, s1
	s_delay_alu instid0(VALU_DEP_2) | instskip(NEXT) | instid1(VALU_DEP_2)
	v_div_fmas_f32 v21, v21, v32, v36
	v_div_fixup_f32 v17, v17, v20, v18
	s_delay_alu instid0(VALU_DEP_2)
	v_div_fixup_f32 v21, v21, v16, v19
.LBB129_140:                            ;   in Loop: Header=BB129_114 Depth=1
	s_or_b32 exec_lo, exec_lo, s7
.LBB129_141:                            ;   in Loop: Header=BB129_114 Depth=1
	s_and_not1_saveexec_b32 s1, s6
	s_cbranch_execz .LBB129_143
; %bb.142:                              ;   in Loop: Header=BB129_114 Depth=1
	v_div_scale_f32 v17, null, v23, v23, v22
	v_div_scale_f32 v32, vcc_lo, v22, v23, v22
	s_delay_alu instid0(VALU_DEP_2) | instskip(SKIP_2) | instid1(VALU_DEP_1)
	v_rcp_f32_e32 v21, v17
	s_waitcnt_depctr 0xfff
	v_fma_f32 v31, -v17, v21, 1.0
	v_fmac_f32_e32 v21, v31, v21
	s_delay_alu instid0(VALU_DEP_1) | instskip(NEXT) | instid1(VALU_DEP_1)
	v_mul_f32_e32 v31, v32, v21
	v_fma_f32 v33, -v17, v31, v32
	s_delay_alu instid0(VALU_DEP_1) | instskip(NEXT) | instid1(VALU_DEP_1)
	v_fmac_f32_e32 v31, v33, v21
	v_fma_f32 v17, -v17, v31, v32
	s_delay_alu instid0(VALU_DEP_1) | instskip(NEXT) | instid1(VALU_DEP_1)
	v_div_fmas_f32 v17, v17, v21, v31
	v_div_fixup_f32 v17, v17, v23, v22
	s_delay_alu instid0(VALU_DEP_1) | instskip(NEXT) | instid1(VALU_DEP_1)
	v_fma_f32 v21, v22, v17, v23
	v_div_scale_f32 v31, null, v21, v21, 1.0
	v_div_scale_f32 v34, vcc_lo, 1.0, v21, 1.0
	s_delay_alu instid0(VALU_DEP_2) | instskip(SKIP_2) | instid1(VALU_DEP_1)
	v_rcp_f32_e32 v32, v31
	s_waitcnt_depctr 0xfff
	v_fma_f32 v33, -v31, v32, 1.0
	v_fmac_f32_e32 v32, v33, v32
	s_delay_alu instid0(VALU_DEP_1) | instskip(NEXT) | instid1(VALU_DEP_1)
	v_mul_f32_e32 v33, v34, v32
	v_fma_f32 v35, -v31, v33, v34
	s_delay_alu instid0(VALU_DEP_1) | instskip(NEXT) | instid1(VALU_DEP_1)
	v_fmac_f32_e32 v33, v35, v32
	v_fma_f32 v31, -v31, v33, v34
	s_delay_alu instid0(VALU_DEP_1) | instskip(SKIP_1) | instid1(VALU_DEP_2)
	v_div_fmas_f32 v31, v31, v32, v33
	v_fma_f32 v32, v18, v17, v19
	v_div_fixup_f32 v21, v31, v21, 1.0
	v_fma_f32 v31, v19, v17, -v18
	s_delay_alu instid0(VALU_DEP_2) | instskip(NEXT) | instid1(VALU_DEP_2)
	v_mul_f32_e32 v17, v32, v21
	v_mul_f32_e32 v21, v31, v21
.LBB129_143:                            ;   in Loop: Header=BB129_114 Depth=1
	s_or_b32 exec_lo, exec_lo, s1
	s_delay_alu instid0(VALU_DEP_1) | instskip(SKIP_1) | instid1(VALU_DEP_2)
	v_mul_f32_e32 v32, s9, v21
	v_mul_f32_e32 v31, s8, v21
	v_fma_f32 v32, v17, s8, -v32
	s_delay_alu instid0(VALU_DEP_2)
	v_fmac_f32_e32 v31, s9, v17
	s_branch .LBB129_154
.LBB129_144:                            ;   in Loop: Header=BB129_114 Depth=1
                                        ; implicit-def: $vgpr31
                                        ; implicit-def: $vgpr32
	s_cbranch_execz .LBB129_154
; %bb.145:                              ;   in Loop: Header=BB129_114 Depth=1
                                        ; implicit-def: $vgpr31
                                        ; implicit-def: $vgpr32
	s_delay_alu instid0(VALU_DEP_1) | instskip(NEXT) | instid1(SALU_CYCLE_1)
	s_and_saveexec_b32 s1, s0
	s_xor_b32 s1, exec_lo, s1
	s_cbranch_execz .LBB129_151
; %bb.146:                              ;   in Loop: Header=BB129_114 Depth=1
	v_cmp_neq_f32_e32 vcc_lo, 0, v22
	v_cmp_neq_f32_e64 s0, 0, v23
                                        ; implicit-def: $vgpr31
                                        ; implicit-def: $vgpr32
	s_delay_alu instid0(VALU_DEP_1) | instskip(NEXT) | instid1(SALU_CYCLE_1)
	s_or_b32 s0, vcc_lo, s0
	s_and_saveexec_b32 s6, s0
	s_delay_alu instid0(SALU_CYCLE_1)
	s_xor_b32 s0, exec_lo, s6
	s_cbranch_execz .LBB129_148
; %bb.147:                              ;   in Loop: Header=BB129_114 Depth=1
	v_div_scale_f32 v16, null, v22, v22, v23
	v_div_scale_f32 v21, vcc_lo, v23, v22, v23
	s_delay_alu instid0(VALU_DEP_2) | instskip(SKIP_2) | instid1(VALU_DEP_1)
	v_rcp_f32_e32 v17, v16
	s_waitcnt_depctr 0xfff
	v_fma_f32 v20, -v16, v17, 1.0
	v_fmac_f32_e32 v17, v20, v17
	s_delay_alu instid0(VALU_DEP_1) | instskip(NEXT) | instid1(VALU_DEP_1)
	v_mul_f32_e32 v20, v21, v17
	v_fma_f32 v31, -v16, v20, v21
	s_delay_alu instid0(VALU_DEP_1) | instskip(NEXT) | instid1(VALU_DEP_1)
	v_fmac_f32_e32 v20, v31, v17
	v_fma_f32 v16, -v16, v20, v21
	s_delay_alu instid0(VALU_DEP_1) | instskip(NEXT) | instid1(VALU_DEP_1)
	v_div_fmas_f32 v16, v16, v17, v20
	v_div_fixup_f32 v16, v16, v22, v23
	s_delay_alu instid0(VALU_DEP_1) | instskip(NEXT) | instid1(VALU_DEP_1)
	v_fmac_f32_e32 v22, v23, v16
	v_div_scale_f32 v17, null, v22, v22, 1.0
	v_div_scale_f32 v23, vcc_lo, 1.0, v22, 1.0
	s_delay_alu instid0(VALU_DEP_2) | instskip(SKIP_2) | instid1(VALU_DEP_1)
	v_rcp_f32_e32 v20, v17
	s_waitcnt_depctr 0xfff
	v_fma_f32 v21, -v17, v20, 1.0
	v_fmac_f32_e32 v20, v21, v20
	s_delay_alu instid0(VALU_DEP_1) | instskip(NEXT) | instid1(VALU_DEP_1)
	v_mul_f32_e32 v21, v23, v20
	v_fma_f32 v31, -v17, v21, v23
	s_delay_alu instid0(VALU_DEP_1) | instskip(NEXT) | instid1(VALU_DEP_1)
	v_fmac_f32_e32 v21, v31, v20
	v_fma_f32 v17, -v17, v21, v23
	s_delay_alu instid0(VALU_DEP_1) | instskip(SKIP_2) | instid1(VALU_DEP_3)
	v_div_fmas_f32 v17, v17, v20, v21
	v_fma_f32 v20, v19, v16, v18
	v_fma_f32 v16, -v18, v16, v19
	v_div_fixup_f32 v17, v17, v22, 1.0
	s_delay_alu instid0(VALU_DEP_1) | instskip(NEXT) | instid1(VALU_DEP_3)
	v_mul_f32_e32 v32, v20, v17
	v_mul_f32_e32 v31, v16, v17
                                        ; implicit-def: $vgpr16_vgpr17_vgpr18_vgpr19
                                        ; implicit-def: $vgpr20
                                        ; implicit-def: $vgpr16
.LBB129_148:                            ;   in Loop: Header=BB129_114 Depth=1
	s_and_not1_saveexec_b32 s6, s0
	s_cbranch_execz .LBB129_150
; %bb.149:                              ;   in Loop: Header=BB129_114 Depth=1
	v_div_scale_f32 v17, null, v20, v20, v18
	v_div_scale_f32 v21, null, v16, v16, v19
	v_div_scale_f32 v33, vcc_lo, v18, v20, v18
	s_delay_alu instid0(VALU_DEP_3) | instskip(NEXT) | instid1(VALU_DEP_2)
	v_rcp_f32_e32 v22, v17
	v_rcp_f32_e32 v23, v21
	s_waitcnt_depctr 0xfff
	v_fma_f32 v31, -v17, v22, 1.0
	v_fma_f32 v32, -v21, v23, 1.0
	s_delay_alu instid0(VALU_DEP_1) | instskip(SKIP_1) | instid1(VALU_DEP_2)
	v_dual_fmac_f32 v22, v31, v22 :: v_dual_fmac_f32 v23, v32, v23
	v_div_scale_f32 v31, s0, v19, v16, v19
	v_mul_f32_e32 v32, v33, v22
	s_delay_alu instid0(VALU_DEP_2) | instskip(NEXT) | instid1(VALU_DEP_2)
	v_mul_f32_e32 v34, v31, v23
	v_fma_f32 v35, -v17, v32, v33
	s_delay_alu instid0(VALU_DEP_2) | instskip(NEXT) | instid1(VALU_DEP_2)
	v_fma_f32 v36, -v21, v34, v31
	v_fmac_f32_e32 v32, v35, v22
	s_delay_alu instid0(VALU_DEP_2) | instskip(NEXT) | instid1(VALU_DEP_2)
	v_fmac_f32_e32 v34, v36, v23
	v_fma_f32 v17, -v17, v32, v33
	s_delay_alu instid0(VALU_DEP_2) | instskip(NEXT) | instid1(VALU_DEP_2)
	v_fma_f32 v21, -v21, v34, v31
	v_div_fmas_f32 v17, v17, v22, v32
	s_mov_b32 vcc_lo, s0
	s_delay_alu instid0(VALU_DEP_2) | instskip(NEXT) | instid1(VALU_DEP_2)
	v_div_fmas_f32 v21, v21, v23, v34
	v_div_fixup_f32 v32, v17, v20, v18
	s_delay_alu instid0(VALU_DEP_2)
	v_div_fixup_f32 v31, v21, v16, v19
.LBB129_150:                            ;   in Loop: Header=BB129_114 Depth=1
	s_or_b32 exec_lo, exec_lo, s6
                                        ; implicit-def: $vgpr20_vgpr21_vgpr22_vgpr23
                                        ; implicit-def: $vgpr16_vgpr17_vgpr18_vgpr19
.LBB129_151:                            ;   in Loop: Header=BB129_114 Depth=1
	s_and_not1_saveexec_b32 s0, s1
	s_cbranch_execz .LBB129_153
; %bb.152:                              ;   in Loop: Header=BB129_114 Depth=1
	v_div_scale_f32 v16, null, v23, v23, v22
	v_div_scale_f32 v21, vcc_lo, v22, v23, v22
	s_delay_alu instid0(VALU_DEP_2) | instskip(SKIP_2) | instid1(VALU_DEP_1)
	v_rcp_f32_e32 v17, v16
	s_waitcnt_depctr 0xfff
	v_fma_f32 v20, -v16, v17, 1.0
	v_fmac_f32_e32 v17, v20, v17
	s_delay_alu instid0(VALU_DEP_1) | instskip(NEXT) | instid1(VALU_DEP_1)
	v_mul_f32_e32 v20, v21, v17
	v_fma_f32 v31, -v16, v20, v21
	s_delay_alu instid0(VALU_DEP_1) | instskip(NEXT) | instid1(VALU_DEP_1)
	v_fmac_f32_e32 v20, v31, v17
	v_fma_f32 v16, -v16, v20, v21
	s_delay_alu instid0(VALU_DEP_1) | instskip(NEXT) | instid1(VALU_DEP_1)
	v_div_fmas_f32 v16, v16, v17, v20
	v_div_fixup_f32 v16, v16, v23, v22
	s_delay_alu instid0(VALU_DEP_1) | instskip(NEXT) | instid1(VALU_DEP_1)
	v_fmac_f32_e32 v23, v22, v16
	v_div_scale_f32 v17, null, v23, v23, 1.0
	v_div_scale_f32 v22, vcc_lo, 1.0, v23, 1.0
	s_delay_alu instid0(VALU_DEP_2) | instskip(SKIP_2) | instid1(VALU_DEP_1)
	v_rcp_f32_e32 v20, v17
	s_waitcnt_depctr 0xfff
	v_fma_f32 v21, -v17, v20, 1.0
	v_fmac_f32_e32 v20, v21, v20
	s_delay_alu instid0(VALU_DEP_1) | instskip(NEXT) | instid1(VALU_DEP_1)
	v_mul_f32_e32 v21, v22, v20
	v_fma_f32 v31, -v17, v21, v22
	s_delay_alu instid0(VALU_DEP_1) | instskip(NEXT) | instid1(VALU_DEP_1)
	v_fmac_f32_e32 v21, v31, v20
	v_fma_f32 v17, -v17, v21, v22
	s_delay_alu instid0(VALU_DEP_1) | instskip(SKIP_2) | instid1(VALU_DEP_3)
	v_div_fmas_f32 v17, v17, v20, v21
	v_fma_f32 v20, v18, v16, v19
	v_fma_f32 v16, v19, v16, -v18
	v_div_fixup_f32 v17, v17, v23, 1.0
	s_delay_alu instid0(VALU_DEP_1) | instskip(NEXT) | instid1(VALU_DEP_3)
	v_mul_f32_e32 v32, v20, v17
	v_mul_f32_e32 v31, v16, v17
.LBB129_153:                            ;   in Loop: Header=BB129_114 Depth=1
	s_or_b32 exec_lo, exec_lo, s0
.LBB129_154:                            ;   in Loop: Header=BB129_114 Depth=1
	v_cmp_gt_f32_e32 vcc_lo, 0, v12
	v_cndmask_b32_e64 v18, v12, -v12, vcc_lo
	v_cmp_gt_f32_e32 vcc_lo, 0, v13
	v_cndmask_b32_e64 v19, v13, -v13, vcc_lo
	s_and_not1_b32 vcc_lo, exec_lo, s3
	s_delay_alu instid0(VALU_DEP_1)
	v_cmp_ge_f32_e64 s0, v18, v19
	s_cbranch_vccnz .LBB129_164
; %bb.155:                              ;   in Loop: Header=BB129_114 Depth=1
                                        ; implicit-def: $vgpr16
                                        ; implicit-def: $vgpr20
	s_delay_alu instid0(VALU_DEP_1) | instskip(NEXT) | instid1(SALU_CYCLE_1)
	s_and_saveexec_b32 s1, s0
	s_xor_b32 s6, exec_lo, s1
	s_cbranch_execz .LBB129_161
; %bb.156:                              ;   in Loop: Header=BB129_114 Depth=1
	v_cmp_neq_f32_e32 vcc_lo, 0, v12
	v_cmp_neq_f32_e64 s1, 0, v13
                                        ; implicit-def: $vgpr16
                                        ; implicit-def: $vgpr20
	s_delay_alu instid0(VALU_DEP_1) | instskip(NEXT) | instid1(SALU_CYCLE_1)
	s_or_b32 s1, vcc_lo, s1
	s_and_saveexec_b32 s7, s1
	s_delay_alu instid0(SALU_CYCLE_1)
	s_xor_b32 s1, exec_lo, s7
	s_cbranch_execz .LBB129_158
; %bb.157:                              ;   in Loop: Header=BB129_114 Depth=1
	v_div_scale_f32 v16, null, v12, v12, v13
	v_div_scale_f32 v21, vcc_lo, v13, v12, v13
	s_delay_alu instid0(VALU_DEP_2) | instskip(SKIP_2) | instid1(VALU_DEP_1)
	v_rcp_f32_e32 v17, v16
	s_waitcnt_depctr 0xfff
	v_fma_f32 v20, -v16, v17, 1.0
	v_fmac_f32_e32 v17, v20, v17
	s_delay_alu instid0(VALU_DEP_1) | instskip(NEXT) | instid1(VALU_DEP_1)
	v_mul_f32_e32 v20, v21, v17
	v_fma_f32 v22, -v16, v20, v21
	s_delay_alu instid0(VALU_DEP_1) | instskip(NEXT) | instid1(VALU_DEP_1)
	v_fmac_f32_e32 v20, v22, v17
	v_fma_f32 v16, -v16, v20, v21
	s_delay_alu instid0(VALU_DEP_1) | instskip(NEXT) | instid1(VALU_DEP_1)
	v_div_fmas_f32 v16, v16, v17, v20
	v_div_fixup_f32 v16, v16, v12, v13
	s_delay_alu instid0(VALU_DEP_1) | instskip(NEXT) | instid1(VALU_DEP_1)
	v_fma_f32 v17, v13, v16, v12
	v_div_scale_f32 v20, null, v17, v17, 1.0
	v_div_scale_f32 v23, vcc_lo, 1.0, v17, 1.0
	s_delay_alu instid0(VALU_DEP_2) | instskip(SKIP_2) | instid1(VALU_DEP_1)
	v_rcp_f32_e32 v21, v20
	s_waitcnt_depctr 0xfff
	v_fma_f32 v22, -v20, v21, 1.0
	v_fmac_f32_e32 v21, v22, v21
	s_delay_alu instid0(VALU_DEP_1) | instskip(NEXT) | instid1(VALU_DEP_1)
	v_mul_f32_e32 v22, v23, v21
	v_fma_f32 v33, -v20, v22, v23
	s_delay_alu instid0(VALU_DEP_1) | instskip(NEXT) | instid1(VALU_DEP_1)
	v_fmac_f32_e32 v22, v33, v21
	v_fma_f32 v20, -v20, v22, v23
	s_delay_alu instid0(VALU_DEP_1) | instskip(SKIP_2) | instid1(VALU_DEP_3)
	v_div_fmas_f32 v20, v20, v21, v22
	v_fma_f32 v21, v9, v16, v8
	v_fma_f32 v16, -v8, v16, v9
	v_div_fixup_f32 v17, v20, v17, 1.0
	s_delay_alu instid0(VALU_DEP_1) | instskip(NEXT) | instid1(VALU_DEP_3)
	v_mul_f32_e32 v20, v21, v17
	v_mul_f32_e32 v16, v16, v17
.LBB129_158:                            ;   in Loop: Header=BB129_114 Depth=1
	s_and_not1_saveexec_b32 s7, s1
	s_cbranch_execz .LBB129_160
; %bb.159:                              ;   in Loop: Header=BB129_114 Depth=1
	v_div_scale_f32 v16, null, v18, v18, v8
	v_div_scale_f32 v17, null, v19, v19, v9
	v_div_scale_f32 v33, vcc_lo, v8, v18, v8
	s_delay_alu instid0(VALU_DEP_3) | instskip(NEXT) | instid1(VALU_DEP_2)
	v_rcp_f32_e32 v20, v16
	v_rcp_f32_e32 v21, v17
	s_waitcnt_depctr 0xfff
	v_fma_f32 v22, -v16, v20, 1.0
	v_fma_f32 v23, -v17, v21, 1.0
	s_delay_alu instid0(VALU_DEP_1) | instskip(SKIP_1) | instid1(VALU_DEP_1)
	v_dual_fmac_f32 v20, v22, v20 :: v_dual_fmac_f32 v21, v23, v21
	v_div_scale_f32 v22, s1, v9, v19, v9
	v_dual_mul_f32 v23, v33, v20 :: v_dual_mul_f32 v34, v22, v21
	s_delay_alu instid0(VALU_DEP_1) | instskip(NEXT) | instid1(VALU_DEP_2)
	v_fma_f32 v35, -v16, v23, v33
	v_fma_f32 v36, -v17, v34, v22
	s_delay_alu instid0(VALU_DEP_1) | instskip(NEXT) | instid1(VALU_DEP_1)
	v_dual_fmac_f32 v23, v35, v20 :: v_dual_fmac_f32 v34, v36, v21
	v_fma_f32 v16, -v16, v23, v33
	s_delay_alu instid0(VALU_DEP_2) | instskip(NEXT) | instid1(VALU_DEP_2)
	v_fma_f32 v17, -v17, v34, v22
	v_div_fmas_f32 v16, v16, v20, v23
	s_mov_b32 vcc_lo, s1
	s_delay_alu instid0(VALU_DEP_2) | instskip(NEXT) | instid1(VALU_DEP_2)
	v_div_fmas_f32 v17, v17, v21, v34
	v_div_fixup_f32 v20, v16, v18, v8
	s_delay_alu instid0(VALU_DEP_2)
	v_div_fixup_f32 v16, v17, v19, v9
.LBB129_160:                            ;   in Loop: Header=BB129_114 Depth=1
	s_or_b32 exec_lo, exec_lo, s7
.LBB129_161:                            ;   in Loop: Header=BB129_114 Depth=1
	s_and_not1_saveexec_b32 s1, s6
	s_cbranch_execz .LBB129_163
; %bb.162:                              ;   in Loop: Header=BB129_114 Depth=1
	v_div_scale_f32 v16, null, v13, v13, v12
	v_div_scale_f32 v21, vcc_lo, v12, v13, v12
	s_delay_alu instid0(VALU_DEP_2) | instskip(SKIP_2) | instid1(VALU_DEP_1)
	v_rcp_f32_e32 v17, v16
	s_waitcnt_depctr 0xfff
	v_fma_f32 v20, -v16, v17, 1.0
	v_fmac_f32_e32 v17, v20, v17
	s_delay_alu instid0(VALU_DEP_1) | instskip(NEXT) | instid1(VALU_DEP_1)
	v_mul_f32_e32 v20, v21, v17
	v_fma_f32 v22, -v16, v20, v21
	s_delay_alu instid0(VALU_DEP_1) | instskip(NEXT) | instid1(VALU_DEP_1)
	v_fmac_f32_e32 v20, v22, v17
	v_fma_f32 v16, -v16, v20, v21
	s_delay_alu instid0(VALU_DEP_1) | instskip(NEXT) | instid1(VALU_DEP_1)
	v_div_fmas_f32 v16, v16, v17, v20
	v_div_fixup_f32 v16, v16, v13, v12
	s_delay_alu instid0(VALU_DEP_1) | instskip(NEXT) | instid1(VALU_DEP_1)
	v_fma_f32 v17, v12, v16, v13
	v_div_scale_f32 v20, null, v17, v17, 1.0
	v_div_scale_f32 v23, vcc_lo, 1.0, v17, 1.0
	s_delay_alu instid0(VALU_DEP_2) | instskip(SKIP_2) | instid1(VALU_DEP_1)
	v_rcp_f32_e32 v21, v20
	s_waitcnt_depctr 0xfff
	v_fma_f32 v22, -v20, v21, 1.0
	v_fmac_f32_e32 v21, v22, v21
	s_delay_alu instid0(VALU_DEP_1) | instskip(NEXT) | instid1(VALU_DEP_1)
	v_mul_f32_e32 v22, v23, v21
	v_fma_f32 v33, -v20, v22, v23
	s_delay_alu instid0(VALU_DEP_1) | instskip(NEXT) | instid1(VALU_DEP_1)
	v_fmac_f32_e32 v22, v33, v21
	v_fma_f32 v20, -v20, v22, v23
	s_delay_alu instid0(VALU_DEP_1) | instskip(SKIP_2) | instid1(VALU_DEP_3)
	v_div_fmas_f32 v20, v20, v21, v22
	v_fma_f32 v21, v8, v16, v9
	v_fma_f32 v16, v9, v16, -v8
	v_div_fixup_f32 v17, v20, v17, 1.0
	s_delay_alu instid0(VALU_DEP_1) | instskip(NEXT) | instid1(VALU_DEP_3)
	v_mul_f32_e32 v20, v21, v17
	v_mul_f32_e32 v16, v16, v17
.LBB129_163:                            ;   in Loop: Header=BB129_114 Depth=1
	s_or_b32 exec_lo, exec_lo, s1
	s_delay_alu instid0(VALU_DEP_1) | instskip(SKIP_1) | instid1(VALU_DEP_2)
	v_mul_f32_e32 v17, s9, v16
	v_mul_f32_e32 v16, s8, v16
	v_fma_f32 v17, v20, s8, -v17
	s_delay_alu instid0(VALU_DEP_2)
	v_fmac_f32_e32 v16, s9, v20
	s_branch .LBB129_174
.LBB129_164:                            ;   in Loop: Header=BB129_114 Depth=1
                                        ; implicit-def: $vgpr16
                                        ; implicit-def: $vgpr17
	s_cbranch_execz .LBB129_174
; %bb.165:                              ;   in Loop: Header=BB129_114 Depth=1
                                        ; implicit-def: $vgpr16
                                        ; implicit-def: $vgpr17
	s_delay_alu instid0(VALU_DEP_1) | instskip(NEXT) | instid1(SALU_CYCLE_1)
	s_and_saveexec_b32 s1, s0
	s_xor_b32 s1, exec_lo, s1
	s_cbranch_execz .LBB129_171
; %bb.166:                              ;   in Loop: Header=BB129_114 Depth=1
	v_cmp_neq_f32_e32 vcc_lo, 0, v12
	v_cmp_neq_f32_e64 s0, 0, v13
                                        ; implicit-def: $vgpr16
                                        ; implicit-def: $vgpr17
	s_delay_alu instid0(VALU_DEP_1) | instskip(NEXT) | instid1(SALU_CYCLE_1)
	s_or_b32 s0, vcc_lo, s0
	s_and_saveexec_b32 s6, s0
	s_delay_alu instid0(SALU_CYCLE_1)
	s_xor_b32 s0, exec_lo, s6
	s_cbranch_execz .LBB129_168
; %bb.167:                              ;   in Loop: Header=BB129_114 Depth=1
	v_div_scale_f32 v16, null, v12, v12, v13
	v_div_scale_f32 v19, vcc_lo, v13, v12, v13
	s_delay_alu instid0(VALU_DEP_2) | instskip(SKIP_2) | instid1(VALU_DEP_1)
	v_rcp_f32_e32 v17, v16
	s_waitcnt_depctr 0xfff
	v_fma_f32 v18, -v16, v17, 1.0
	v_fmac_f32_e32 v17, v18, v17
	s_delay_alu instid0(VALU_DEP_1) | instskip(NEXT) | instid1(VALU_DEP_1)
	v_mul_f32_e32 v18, v19, v17
	v_fma_f32 v20, -v16, v18, v19
	s_delay_alu instid0(VALU_DEP_1) | instskip(NEXT) | instid1(VALU_DEP_1)
	v_fmac_f32_e32 v18, v20, v17
	v_fma_f32 v16, -v16, v18, v19
	s_delay_alu instid0(VALU_DEP_1) | instskip(NEXT) | instid1(VALU_DEP_1)
	v_div_fmas_f32 v16, v16, v17, v18
	v_div_fixup_f32 v16, v16, v12, v13
	s_delay_alu instid0(VALU_DEP_1) | instskip(NEXT) | instid1(VALU_DEP_1)
	v_fma_f32 v17, v13, v16, v12
	v_div_scale_f32 v18, null, v17, v17, 1.0
	v_div_scale_f32 v21, vcc_lo, 1.0, v17, 1.0
	s_delay_alu instid0(VALU_DEP_2) | instskip(SKIP_2) | instid1(VALU_DEP_1)
	v_rcp_f32_e32 v19, v18
	s_waitcnt_depctr 0xfff
	v_fma_f32 v20, -v18, v19, 1.0
	v_fmac_f32_e32 v19, v20, v19
	s_delay_alu instid0(VALU_DEP_1) | instskip(NEXT) | instid1(VALU_DEP_1)
	v_mul_f32_e32 v20, v21, v19
	v_fma_f32 v22, -v18, v20, v21
	s_delay_alu instid0(VALU_DEP_1) | instskip(NEXT) | instid1(VALU_DEP_1)
	v_fmac_f32_e32 v20, v22, v19
	v_fma_f32 v18, -v18, v20, v21
	s_delay_alu instid0(VALU_DEP_1) | instskip(SKIP_2) | instid1(VALU_DEP_3)
	v_div_fmas_f32 v18, v18, v19, v20
	v_fma_f32 v19, v9, v16, v8
	v_fma_f32 v16, -v8, v16, v9
	v_div_fixup_f32 v18, v18, v17, 1.0
	s_delay_alu instid0(VALU_DEP_1) | instskip(NEXT) | instid1(VALU_DEP_3)
	v_mul_f32_e32 v17, v19, v18
	v_mul_f32_e32 v16, v16, v18
                                        ; implicit-def: $vgpr18
                                        ; implicit-def: $vgpr19
.LBB129_168:                            ;   in Loop: Header=BB129_114 Depth=1
	s_and_not1_saveexec_b32 s6, s0
	s_cbranch_execz .LBB129_170
; %bb.169:                              ;   in Loop: Header=BB129_114 Depth=1
	v_div_scale_f32 v16, null, v18, v18, v8
	v_div_scale_f32 v17, null, v19, v19, v9
	v_div_scale_f32 v33, vcc_lo, v8, v18, v8
	s_delay_alu instid0(VALU_DEP_3) | instskip(NEXT) | instid1(VALU_DEP_2)
	v_rcp_f32_e32 v20, v16
	v_rcp_f32_e32 v21, v17
	s_waitcnt_depctr 0xfff
	v_fma_f32 v22, -v16, v20, 1.0
	v_fma_f32 v23, -v17, v21, 1.0
	s_delay_alu instid0(VALU_DEP_1) | instskip(SKIP_1) | instid1(VALU_DEP_1)
	v_dual_fmac_f32 v20, v22, v20 :: v_dual_fmac_f32 v21, v23, v21
	v_div_scale_f32 v22, s0, v9, v19, v9
	v_dual_mul_f32 v23, v33, v20 :: v_dual_mul_f32 v34, v22, v21
	s_delay_alu instid0(VALU_DEP_1) | instskip(NEXT) | instid1(VALU_DEP_2)
	v_fma_f32 v35, -v16, v23, v33
	v_fma_f32 v36, -v17, v34, v22
	s_delay_alu instid0(VALU_DEP_1) | instskip(NEXT) | instid1(VALU_DEP_1)
	v_dual_fmac_f32 v23, v35, v20 :: v_dual_fmac_f32 v34, v36, v21
	v_fma_f32 v16, -v16, v23, v33
	s_delay_alu instid0(VALU_DEP_2) | instskip(NEXT) | instid1(VALU_DEP_2)
	v_fma_f32 v17, -v17, v34, v22
	v_div_fmas_f32 v16, v16, v20, v23
	s_mov_b32 vcc_lo, s0
	s_delay_alu instid0(VALU_DEP_2) | instskip(NEXT) | instid1(VALU_DEP_2)
	v_div_fmas_f32 v20, v17, v21, v34
	v_div_fixup_f32 v17, v16, v18, v8
	s_delay_alu instid0(VALU_DEP_2)
	v_div_fixup_f32 v16, v20, v19, v9
.LBB129_170:                            ;   in Loop: Header=BB129_114 Depth=1
	s_or_b32 exec_lo, exec_lo, s6
.LBB129_171:                            ;   in Loop: Header=BB129_114 Depth=1
	s_and_not1_saveexec_b32 s0, s1
	s_cbranch_execz .LBB129_173
; %bb.172:                              ;   in Loop: Header=BB129_114 Depth=1
	v_div_scale_f32 v16, null, v13, v13, v12
	v_div_scale_f32 v19, vcc_lo, v12, v13, v12
	s_delay_alu instid0(VALU_DEP_2) | instskip(SKIP_2) | instid1(VALU_DEP_1)
	v_rcp_f32_e32 v17, v16
	s_waitcnt_depctr 0xfff
	v_fma_f32 v18, -v16, v17, 1.0
	v_fmac_f32_e32 v17, v18, v17
	s_delay_alu instid0(VALU_DEP_1) | instskip(NEXT) | instid1(VALU_DEP_1)
	v_mul_f32_e32 v18, v19, v17
	v_fma_f32 v20, -v16, v18, v19
	s_delay_alu instid0(VALU_DEP_1) | instskip(NEXT) | instid1(VALU_DEP_1)
	v_fmac_f32_e32 v18, v20, v17
	v_fma_f32 v16, -v16, v18, v19
	s_delay_alu instid0(VALU_DEP_1) | instskip(NEXT) | instid1(VALU_DEP_1)
	v_div_fmas_f32 v16, v16, v17, v18
	v_div_fixup_f32 v16, v16, v13, v12
	s_delay_alu instid0(VALU_DEP_1) | instskip(NEXT) | instid1(VALU_DEP_1)
	v_fma_f32 v12, v12, v16, v13
	v_div_scale_f32 v13, null, v12, v12, 1.0
	v_div_scale_f32 v19, vcc_lo, 1.0, v12, 1.0
	s_delay_alu instid0(VALU_DEP_2) | instskip(SKIP_2) | instid1(VALU_DEP_1)
	v_rcp_f32_e32 v17, v13
	s_waitcnt_depctr 0xfff
	v_fma_f32 v18, -v13, v17, 1.0
	v_fmac_f32_e32 v17, v18, v17
	s_delay_alu instid0(VALU_DEP_1) | instskip(NEXT) | instid1(VALU_DEP_1)
	v_mul_f32_e32 v18, v19, v17
	v_fma_f32 v20, -v13, v18, v19
	s_delay_alu instid0(VALU_DEP_1) | instskip(NEXT) | instid1(VALU_DEP_1)
	v_fmac_f32_e32 v18, v20, v17
	v_fma_f32 v13, -v13, v18, v19
	s_delay_alu instid0(VALU_DEP_1) | instskip(SKIP_2) | instid1(VALU_DEP_3)
	v_div_fmas_f32 v13, v13, v17, v18
	v_fma_f32 v17, v8, v16, v9
	v_fma_f32 v8, v9, v16, -v8
	v_div_fixup_f32 v12, v13, v12, 1.0
	s_delay_alu instid0(VALU_DEP_1) | instskip(NEXT) | instid1(VALU_DEP_3)
	v_mul_f32_e32 v17, v17, v12
	v_mul_f32_e32 v16, v8, v12
.LBB129_173:                            ;   in Loop: Header=BB129_114 Depth=1
	s_or_b32 exec_lo, exec_lo, s0
.LBB129_174:                            ;   in Loop: Header=BB129_114 Depth=1
	v_cmp_gt_f32_e32 vcc_lo, 0, v14
	v_cndmask_b32_e64 v12, v14, -v14, vcc_lo
	v_cmp_gt_f32_e32 vcc_lo, 0, v15
	v_cndmask_b32_e64 v8, v15, -v15, vcc_lo
	s_and_not1_b32 vcc_lo, exec_lo, s3
	s_delay_alu instid0(VALU_DEP_1)
	v_cmp_ge_f32_e64 s0, v12, v8
	s_cbranch_vccnz .LBB129_184
; %bb.175:                              ;   in Loop: Header=BB129_114 Depth=1
                                        ; implicit-def: $vgpr13
                                        ; implicit-def: $vgpr9
	s_delay_alu instid0(VALU_DEP_1) | instskip(NEXT) | instid1(SALU_CYCLE_1)
	s_and_saveexec_b32 s1, s0
	s_xor_b32 s6, exec_lo, s1
	s_cbranch_execz .LBB129_181
; %bb.176:                              ;   in Loop: Header=BB129_114 Depth=1
	v_cmp_neq_f32_e32 vcc_lo, 0, v14
	v_cmp_neq_f32_e64 s1, 0, v15
                                        ; implicit-def: $vgpr13
                                        ; implicit-def: $vgpr9
	s_delay_alu instid0(VALU_DEP_1) | instskip(NEXT) | instid1(SALU_CYCLE_1)
	s_or_b32 s1, vcc_lo, s1
	s_and_saveexec_b32 s7, s1
	s_delay_alu instid0(SALU_CYCLE_1)
	s_xor_b32 s1, exec_lo, s7
	s_cbranch_execz .LBB129_178
; %bb.177:                              ;   in Loop: Header=BB129_114 Depth=1
	v_div_scale_f32 v9, null, v14, v14, v15
	v_div_scale_f32 v19, vcc_lo, v15, v14, v15
	s_delay_alu instid0(VALU_DEP_2) | instskip(SKIP_2) | instid1(VALU_DEP_1)
	v_rcp_f32_e32 v13, v9
	s_waitcnt_depctr 0xfff
	v_fma_f32 v18, -v9, v13, 1.0
	v_fmac_f32_e32 v13, v18, v13
	s_delay_alu instid0(VALU_DEP_1) | instskip(NEXT) | instid1(VALU_DEP_1)
	v_mul_f32_e32 v18, v19, v13
	v_fma_f32 v20, -v9, v18, v19
	s_delay_alu instid0(VALU_DEP_1) | instskip(NEXT) | instid1(VALU_DEP_1)
	v_fmac_f32_e32 v18, v20, v13
	v_fma_f32 v9, -v9, v18, v19
	s_delay_alu instid0(VALU_DEP_1) | instskip(NEXT) | instid1(VALU_DEP_1)
	v_div_fmas_f32 v9, v9, v13, v18
	v_div_fixup_f32 v9, v9, v14, v15
	s_delay_alu instid0(VALU_DEP_1) | instskip(NEXT) | instid1(VALU_DEP_1)
	v_fma_f32 v13, v15, v9, v14
	v_div_scale_f32 v18, null, v13, v13, 1.0
	v_div_scale_f32 v21, vcc_lo, 1.0, v13, 1.0
	s_delay_alu instid0(VALU_DEP_2) | instskip(SKIP_2) | instid1(VALU_DEP_1)
	v_rcp_f32_e32 v19, v18
	s_waitcnt_depctr 0xfff
	v_fma_f32 v20, -v18, v19, 1.0
	v_fmac_f32_e32 v19, v20, v19
	s_delay_alu instid0(VALU_DEP_1) | instskip(NEXT) | instid1(VALU_DEP_1)
	v_mul_f32_e32 v20, v21, v19
	v_fma_f32 v22, -v18, v20, v21
	s_delay_alu instid0(VALU_DEP_1) | instskip(NEXT) | instid1(VALU_DEP_1)
	v_fmac_f32_e32 v20, v22, v19
	v_fma_f32 v18, -v18, v20, v21
	s_delay_alu instid0(VALU_DEP_1) | instskip(SKIP_1) | instid1(VALU_DEP_2)
	v_div_fmas_f32 v18, v18, v19, v20
	v_fma_f32 v19, v11, v9, v10
	v_div_fixup_f32 v13, v18, v13, 1.0
	v_fma_f32 v18, -v10, v9, v11
	s_delay_alu instid0(VALU_DEP_2) | instskip(NEXT) | instid1(VALU_DEP_2)
	v_mul_f32_e32 v9, v19, v13
	v_mul_f32_e32 v13, v18, v13
.LBB129_178:                            ;   in Loop: Header=BB129_114 Depth=1
	s_and_not1_saveexec_b32 s7, s1
	s_cbranch_execz .LBB129_180
; %bb.179:                              ;   in Loop: Header=BB129_114 Depth=1
	v_div_scale_f32 v9, null, v12, v12, v10
	v_div_scale_f32 v13, null, v8, v8, v11
	v_div_scale_f32 v22, vcc_lo, v10, v12, v10
	s_delay_alu instid0(VALU_DEP_3) | instskip(NEXT) | instid1(VALU_DEP_2)
	v_rcp_f32_e32 v18, v9
	v_rcp_f32_e32 v19, v13
	s_waitcnt_depctr 0xfff
	v_fma_f32 v20, -v9, v18, 1.0
	v_fma_f32 v21, -v13, v19, 1.0
	s_delay_alu instid0(VALU_DEP_1) | instskip(SKIP_1) | instid1(VALU_DEP_2)
	v_dual_fmac_f32 v18, v20, v18 :: v_dual_fmac_f32 v19, v21, v19
	v_div_scale_f32 v20, s1, v11, v8, v11
	v_mul_f32_e32 v21, v22, v18
	s_delay_alu instid0(VALU_DEP_2) | instskip(NEXT) | instid1(VALU_DEP_2)
	v_mul_f32_e32 v23, v20, v19
	v_fma_f32 v33, -v9, v21, v22
	s_delay_alu instid0(VALU_DEP_2) | instskip(NEXT) | instid1(VALU_DEP_2)
	v_fma_f32 v34, -v13, v23, v20
	v_fmac_f32_e32 v21, v33, v18
	s_delay_alu instid0(VALU_DEP_2) | instskip(NEXT) | instid1(VALU_DEP_2)
	v_fmac_f32_e32 v23, v34, v19
	v_fma_f32 v9, -v9, v21, v22
	s_delay_alu instid0(VALU_DEP_2) | instskip(NEXT) | instid1(VALU_DEP_2)
	v_fma_f32 v13, -v13, v23, v20
	v_div_fmas_f32 v9, v9, v18, v21
	s_mov_b32 vcc_lo, s1
	s_delay_alu instid0(VALU_DEP_2) | instskip(NEXT) | instid1(VALU_DEP_2)
	v_div_fmas_f32 v13, v13, v19, v23
	v_div_fixup_f32 v9, v9, v12, v10
	s_delay_alu instid0(VALU_DEP_2)
	v_div_fixup_f32 v13, v13, v8, v11
.LBB129_180:                            ;   in Loop: Header=BB129_114 Depth=1
	s_or_b32 exec_lo, exec_lo, s7
.LBB129_181:                            ;   in Loop: Header=BB129_114 Depth=1
	s_and_not1_saveexec_b32 s1, s6
	s_cbranch_execz .LBB129_183
; %bb.182:                              ;   in Loop: Header=BB129_114 Depth=1
	v_div_scale_f32 v9, null, v15, v15, v14
	v_div_scale_f32 v19, vcc_lo, v14, v15, v14
	s_delay_alu instid0(VALU_DEP_2) | instskip(SKIP_2) | instid1(VALU_DEP_1)
	v_rcp_f32_e32 v13, v9
	s_waitcnt_depctr 0xfff
	v_fma_f32 v18, -v9, v13, 1.0
	v_fmac_f32_e32 v13, v18, v13
	s_delay_alu instid0(VALU_DEP_1) | instskip(NEXT) | instid1(VALU_DEP_1)
	v_mul_f32_e32 v18, v19, v13
	v_fma_f32 v20, -v9, v18, v19
	s_delay_alu instid0(VALU_DEP_1) | instskip(NEXT) | instid1(VALU_DEP_1)
	v_fmac_f32_e32 v18, v20, v13
	v_fma_f32 v9, -v9, v18, v19
	s_delay_alu instid0(VALU_DEP_1) | instskip(NEXT) | instid1(VALU_DEP_1)
	v_div_fmas_f32 v9, v9, v13, v18
	v_div_fixup_f32 v9, v9, v15, v14
	s_delay_alu instid0(VALU_DEP_1) | instskip(NEXT) | instid1(VALU_DEP_1)
	v_fma_f32 v13, v14, v9, v15
	v_div_scale_f32 v18, null, v13, v13, 1.0
	v_div_scale_f32 v21, vcc_lo, 1.0, v13, 1.0
	s_delay_alu instid0(VALU_DEP_2) | instskip(SKIP_2) | instid1(VALU_DEP_1)
	v_rcp_f32_e32 v19, v18
	s_waitcnt_depctr 0xfff
	v_fma_f32 v20, -v18, v19, 1.0
	v_fmac_f32_e32 v19, v20, v19
	s_delay_alu instid0(VALU_DEP_1) | instskip(NEXT) | instid1(VALU_DEP_1)
	v_mul_f32_e32 v20, v21, v19
	v_fma_f32 v22, -v18, v20, v21
	s_delay_alu instid0(VALU_DEP_1) | instskip(NEXT) | instid1(VALU_DEP_1)
	v_fmac_f32_e32 v20, v22, v19
	v_fma_f32 v18, -v18, v20, v21
	s_delay_alu instid0(VALU_DEP_1) | instskip(SKIP_1) | instid1(VALU_DEP_2)
	v_div_fmas_f32 v18, v18, v19, v20
	v_fma_f32 v19, v10, v9, v11
	v_div_fixup_f32 v13, v18, v13, 1.0
	v_fma_f32 v18, v11, v9, -v10
	s_delay_alu instid0(VALU_DEP_2) | instskip(NEXT) | instid1(VALU_DEP_2)
	v_mul_f32_e32 v9, v19, v13
	v_mul_f32_e32 v13, v18, v13
.LBB129_183:                            ;   in Loop: Header=BB129_114 Depth=1
	s_or_b32 exec_lo, exec_lo, s1
	s_delay_alu instid0(VALU_DEP_1) | instskip(SKIP_1) | instid1(VALU_DEP_2)
	v_mul_f32_e32 v19, s9, v13
	v_mul_f32_e32 v18, s8, v13
	v_fma_f32 v19, v9, s8, -v19
	s_delay_alu instid0(VALU_DEP_2)
	v_fmac_f32_e32 v18, s9, v9
	s_branch .LBB129_113
.LBB129_184:                            ;   in Loop: Header=BB129_114 Depth=1
                                        ; implicit-def: $vgpr18
                                        ; implicit-def: $vgpr19
	s_cbranch_execz .LBB129_113
; %bb.185:                              ;   in Loop: Header=BB129_114 Depth=1
                                        ; implicit-def: $vgpr18
                                        ; implicit-def: $vgpr19
	s_delay_alu instid0(VALU_DEP_1) | instskip(NEXT) | instid1(SALU_CYCLE_1)
	s_and_saveexec_b32 s1, s0
	s_xor_b32 s1, exec_lo, s1
	s_cbranch_execz .LBB129_191
; %bb.186:                              ;   in Loop: Header=BB129_114 Depth=1
	v_cmp_neq_f32_e32 vcc_lo, 0, v14
	v_cmp_neq_f32_e64 s0, 0, v15
                                        ; implicit-def: $vgpr18
                                        ; implicit-def: $vgpr19
	s_delay_alu instid0(VALU_DEP_1) | instskip(NEXT) | instid1(SALU_CYCLE_1)
	s_or_b32 s0, vcc_lo, s0
	s_and_saveexec_b32 s6, s0
	s_delay_alu instid0(SALU_CYCLE_1)
	s_xor_b32 s0, exec_lo, s6
	s_cbranch_execz .LBB129_188
; %bb.187:                              ;   in Loop: Header=BB129_114 Depth=1
	v_div_scale_f32 v8, null, v14, v14, v15
	v_div_scale_f32 v13, vcc_lo, v15, v14, v15
	s_delay_alu instid0(VALU_DEP_2) | instskip(SKIP_2) | instid1(VALU_DEP_1)
	v_rcp_f32_e32 v9, v8
	s_waitcnt_depctr 0xfff
	v_fma_f32 v12, -v8, v9, 1.0
	v_fmac_f32_e32 v9, v12, v9
	s_delay_alu instid0(VALU_DEP_1) | instskip(NEXT) | instid1(VALU_DEP_1)
	v_mul_f32_e32 v12, v13, v9
	v_fma_f32 v18, -v8, v12, v13
	s_delay_alu instid0(VALU_DEP_1) | instskip(NEXT) | instid1(VALU_DEP_1)
	v_fmac_f32_e32 v12, v18, v9
	v_fma_f32 v8, -v8, v12, v13
	s_delay_alu instid0(VALU_DEP_1) | instskip(NEXT) | instid1(VALU_DEP_1)
	v_div_fmas_f32 v8, v8, v9, v12
	v_div_fixup_f32 v8, v8, v14, v15
	s_delay_alu instid0(VALU_DEP_1) | instskip(NEXT) | instid1(VALU_DEP_1)
	v_fmac_f32_e32 v14, v15, v8
	v_div_scale_f32 v9, null, v14, v14, 1.0
	v_div_scale_f32 v15, vcc_lo, 1.0, v14, 1.0
	s_delay_alu instid0(VALU_DEP_2) | instskip(SKIP_2) | instid1(VALU_DEP_1)
	v_rcp_f32_e32 v12, v9
	s_waitcnt_depctr 0xfff
	v_fma_f32 v13, -v9, v12, 1.0
	v_fmac_f32_e32 v12, v13, v12
	s_delay_alu instid0(VALU_DEP_1) | instskip(NEXT) | instid1(VALU_DEP_1)
	v_mul_f32_e32 v13, v15, v12
	v_fma_f32 v18, -v9, v13, v15
	s_delay_alu instid0(VALU_DEP_1) | instskip(NEXT) | instid1(VALU_DEP_1)
	v_fmac_f32_e32 v13, v18, v12
	v_fma_f32 v9, -v9, v13, v15
	s_delay_alu instid0(VALU_DEP_1) | instskip(SKIP_2) | instid1(VALU_DEP_3)
	v_div_fmas_f32 v9, v9, v12, v13
	v_fma_f32 v12, v11, v8, v10
	v_fma_f32 v8, -v10, v8, v11
	v_div_fixup_f32 v9, v9, v14, 1.0
	s_delay_alu instid0(VALU_DEP_1) | instskip(NEXT) | instid1(VALU_DEP_4)
	v_mul_f32_e32 v18, v8, v9
	v_mul_f32_e32 v19, v12, v9
                                        ; implicit-def: $vgpr8_vgpr9_vgpr10_vgpr11
                                        ; implicit-def: $vgpr12
                                        ; implicit-def: $vgpr8
.LBB129_188:                            ;   in Loop: Header=BB129_114 Depth=1
	s_and_not1_saveexec_b32 s6, s0
	s_cbranch_execz .LBB129_190
; %bb.189:                              ;   in Loop: Header=BB129_114 Depth=1
	v_div_scale_f32 v9, null, v12, v12, v10
	v_div_scale_f32 v13, null, v8, v8, v11
	v_div_scale_f32 v20, vcc_lo, v10, v12, v10
	s_delay_alu instid0(VALU_DEP_3) | instskip(NEXT) | instid1(VALU_DEP_2)
	v_rcp_f32_e32 v14, v9
	v_rcp_f32_e32 v15, v13
	s_waitcnt_depctr 0xfff
	v_fma_f32 v18, -v9, v14, 1.0
	v_fma_f32 v19, -v13, v15, 1.0
	s_delay_alu instid0(VALU_DEP_1) | instskip(SKIP_1) | instid1(VALU_DEP_2)
	v_dual_fmac_f32 v14, v18, v14 :: v_dual_fmac_f32 v15, v19, v15
	v_div_scale_f32 v18, s0, v11, v8, v11
	v_mul_f32_e32 v19, v20, v14
	s_delay_alu instid0(VALU_DEP_2) | instskip(NEXT) | instid1(VALU_DEP_2)
	v_mul_f32_e32 v21, v18, v15
	v_fma_f32 v22, -v9, v19, v20
	s_delay_alu instid0(VALU_DEP_2) | instskip(NEXT) | instid1(VALU_DEP_2)
	v_fma_f32 v23, -v13, v21, v18
	v_fmac_f32_e32 v19, v22, v14
	s_delay_alu instid0(VALU_DEP_2) | instskip(NEXT) | instid1(VALU_DEP_2)
	v_fmac_f32_e32 v21, v23, v15
	v_fma_f32 v9, -v9, v19, v20
	s_delay_alu instid0(VALU_DEP_2) | instskip(NEXT) | instid1(VALU_DEP_2)
	v_fma_f32 v13, -v13, v21, v18
	v_div_fmas_f32 v9, v9, v14, v19
	s_mov_b32 vcc_lo, s0
	s_delay_alu instid0(VALU_DEP_2) | instskip(NEXT) | instid1(VALU_DEP_2)
	v_div_fmas_f32 v13, v13, v15, v21
	v_div_fixup_f32 v19, v9, v12, v10
	s_delay_alu instid0(VALU_DEP_2)
	v_div_fixup_f32 v18, v13, v8, v11
.LBB129_190:                            ;   in Loop: Header=BB129_114 Depth=1
	s_or_b32 exec_lo, exec_lo, s6
                                        ; implicit-def: $vgpr12_vgpr13_vgpr14_vgpr15
                                        ; implicit-def: $vgpr8_vgpr9_vgpr10_vgpr11
.LBB129_191:                            ;   in Loop: Header=BB129_114 Depth=1
	s_and_not1_saveexec_b32 s0, s1
	s_cbranch_execz .LBB129_112
; %bb.192:                              ;   in Loop: Header=BB129_114 Depth=1
	v_div_scale_f32 v8, null, v15, v15, v14
	v_div_scale_f32 v13, vcc_lo, v14, v15, v14
	s_delay_alu instid0(VALU_DEP_2) | instskip(SKIP_2) | instid1(VALU_DEP_1)
	v_rcp_f32_e32 v9, v8
	s_waitcnt_depctr 0xfff
	v_fma_f32 v12, -v8, v9, 1.0
	v_fmac_f32_e32 v9, v12, v9
	s_delay_alu instid0(VALU_DEP_1) | instskip(NEXT) | instid1(VALU_DEP_1)
	v_mul_f32_e32 v12, v13, v9
	v_fma_f32 v18, -v8, v12, v13
	s_delay_alu instid0(VALU_DEP_1) | instskip(NEXT) | instid1(VALU_DEP_1)
	v_fmac_f32_e32 v12, v18, v9
	v_fma_f32 v8, -v8, v12, v13
	s_delay_alu instid0(VALU_DEP_1) | instskip(NEXT) | instid1(VALU_DEP_1)
	v_div_fmas_f32 v8, v8, v9, v12
	v_div_fixup_f32 v8, v8, v15, v14
	s_delay_alu instid0(VALU_DEP_1) | instskip(NEXT) | instid1(VALU_DEP_1)
	v_fmac_f32_e32 v15, v14, v8
	v_div_scale_f32 v9, null, v15, v15, 1.0
	v_div_scale_f32 v14, vcc_lo, 1.0, v15, 1.0
	s_delay_alu instid0(VALU_DEP_2) | instskip(SKIP_2) | instid1(VALU_DEP_1)
	v_rcp_f32_e32 v12, v9
	s_waitcnt_depctr 0xfff
	v_fma_f32 v13, -v9, v12, 1.0
	v_fmac_f32_e32 v12, v13, v12
	s_delay_alu instid0(VALU_DEP_1) | instskip(NEXT) | instid1(VALU_DEP_1)
	v_mul_f32_e32 v13, v14, v12
	v_fma_f32 v18, -v9, v13, v14
	s_delay_alu instid0(VALU_DEP_1) | instskip(NEXT) | instid1(VALU_DEP_1)
	v_fmac_f32_e32 v13, v18, v12
	v_fma_f32 v9, -v9, v13, v14
	s_delay_alu instid0(VALU_DEP_1) | instskip(SKIP_2) | instid1(VALU_DEP_3)
	v_div_fmas_f32 v9, v9, v12, v13
	v_fma_f32 v12, v10, v8, v11
	v_fma_f32 v8, v11, v8, -v10
	v_div_fixup_f32 v9, v9, v15, 1.0
	s_delay_alu instid0(VALU_DEP_1) | instskip(NEXT) | instid1(VALU_DEP_4)
	v_mul_f32_e32 v18, v8, v9
	v_mul_f32_e32 v19, v12, v9
	s_branch .LBB129_112
.LBB129_193:
	s_nop 0
	s_sendmsg sendmsg(MSG_DEALLOC_VGPRS)
	s_endpgm
	.section	.rodata,"a",@progbits
	.p2align	6, 0x0
	.amdhsa_kernel _ZN2at6native12_GLOBAL__N_125multi_tensor_apply_kernelINS1_28TensorListScalarListMetadataIN3c107complexIfEELi3EEENS1_28PointwiseOpScalarListFunctorIS6_Li3ELi3ELi0EEEJSt7dividesIS6_EEEEvT_T0_DpT1_
		.amdhsa_group_segment_fixed_size 0
		.amdhsa_private_segment_fixed_size 0
		.amdhsa_kernarg_size 3784
		.amdhsa_user_sgpr_count 15
		.amdhsa_user_sgpr_dispatch_ptr 0
		.amdhsa_user_sgpr_queue_ptr 0
		.amdhsa_user_sgpr_kernarg_segment_ptr 1
		.amdhsa_user_sgpr_dispatch_id 0
		.amdhsa_user_sgpr_private_segment_size 0
		.amdhsa_wavefront_size32 1
		.amdhsa_uses_dynamic_stack 0
		.amdhsa_enable_private_segment 0
		.amdhsa_system_sgpr_workgroup_id_x 1
		.amdhsa_system_sgpr_workgroup_id_y 0
		.amdhsa_system_sgpr_workgroup_id_z 0
		.amdhsa_system_sgpr_workgroup_info 0
		.amdhsa_system_vgpr_workitem_id 0
		.amdhsa_next_free_vgpr 67
		.amdhsa_next_free_sgpr 29
		.amdhsa_reserve_vcc 1
		.amdhsa_float_round_mode_32 0
		.amdhsa_float_round_mode_16_64 0
		.amdhsa_float_denorm_mode_32 3
		.amdhsa_float_denorm_mode_16_64 3
		.amdhsa_dx10_clamp 1
		.amdhsa_ieee_mode 1
		.amdhsa_fp16_overflow 0
		.amdhsa_workgroup_processor_mode 1
		.amdhsa_memory_ordered 1
		.amdhsa_forward_progress 0
		.amdhsa_shared_vgpr_count 0
		.amdhsa_exception_fp_ieee_invalid_op 0
		.amdhsa_exception_fp_denorm_src 0
		.amdhsa_exception_fp_ieee_div_zero 0
		.amdhsa_exception_fp_ieee_overflow 0
		.amdhsa_exception_fp_ieee_underflow 0
		.amdhsa_exception_fp_ieee_inexact 0
		.amdhsa_exception_int_div_zero 0
	.end_amdhsa_kernel
	.section	.text._ZN2at6native12_GLOBAL__N_125multi_tensor_apply_kernelINS1_28TensorListScalarListMetadataIN3c107complexIfEELi3EEENS1_28PointwiseOpScalarListFunctorIS6_Li3ELi3ELi0EEEJSt7dividesIS6_EEEEvT_T0_DpT1_,"axG",@progbits,_ZN2at6native12_GLOBAL__N_125multi_tensor_apply_kernelINS1_28TensorListScalarListMetadataIN3c107complexIfEELi3EEENS1_28PointwiseOpScalarListFunctorIS6_Li3ELi3ELi0EEEJSt7dividesIS6_EEEEvT_T0_DpT1_,comdat
.Lfunc_end129:
	.size	_ZN2at6native12_GLOBAL__N_125multi_tensor_apply_kernelINS1_28TensorListScalarListMetadataIN3c107complexIfEELi3EEENS1_28PointwiseOpScalarListFunctorIS6_Li3ELi3ELi0EEEJSt7dividesIS6_EEEEvT_T0_DpT1_, .Lfunc_end129-_ZN2at6native12_GLOBAL__N_125multi_tensor_apply_kernelINS1_28TensorListScalarListMetadataIN3c107complexIfEELi3EEENS1_28PointwiseOpScalarListFunctorIS6_Li3ELi3ELi0EEEJSt7dividesIS6_EEEEvT_T0_DpT1_
                                        ; -- End function
	.section	.AMDGPU.csdata,"",@progbits
; Kernel info:
; codeLenInByte = 13900
; NumSgprs: 31
; NumVgprs: 67
; ScratchSize: 0
; MemoryBound: 1
; FloatMode: 240
; IeeeMode: 1
; LDSByteSize: 0 bytes/workgroup (compile time only)
; SGPRBlocks: 3
; VGPRBlocks: 8
; NumSGPRsForWavesPerEU: 31
; NumVGPRsForWavesPerEU: 67
; Occupancy: 16
; WaveLimiterHint : 1
; COMPUTE_PGM_RSRC2:SCRATCH_EN: 0
; COMPUTE_PGM_RSRC2:USER_SGPR: 15
; COMPUTE_PGM_RSRC2:TRAP_HANDLER: 0
; COMPUTE_PGM_RSRC2:TGID_X_EN: 1
; COMPUTE_PGM_RSRC2:TGID_Y_EN: 0
; COMPUTE_PGM_RSRC2:TGID_Z_EN: 0
; COMPUTE_PGM_RSRC2:TIDIG_COMP_CNT: 0
	.section	.text._ZN2at6native12_GLOBAL__N_125multi_tensor_apply_kernelINS1_28TensorListScalarListMetadataIfLi3EEENS1_28PointwiseOpScalarListFunctorIN3c104HalfELi3ELi3ELi0EEEJSt7dividesIfEEEEvT_T0_DpT1_,"axG",@progbits,_ZN2at6native12_GLOBAL__N_125multi_tensor_apply_kernelINS1_28TensorListScalarListMetadataIfLi3EEENS1_28PointwiseOpScalarListFunctorIN3c104HalfELi3ELi3ELi0EEEJSt7dividesIfEEEEvT_T0_DpT1_,comdat
	.globl	_ZN2at6native12_GLOBAL__N_125multi_tensor_apply_kernelINS1_28TensorListScalarListMetadataIfLi3EEENS1_28PointwiseOpScalarListFunctorIN3c104HalfELi3ELi3ELi0EEEJSt7dividesIfEEEEvT_T0_DpT1_ ; -- Begin function _ZN2at6native12_GLOBAL__N_125multi_tensor_apply_kernelINS1_28TensorListScalarListMetadataIfLi3EEENS1_28PointwiseOpScalarListFunctorIN3c104HalfELi3ELi3ELi0EEEJSt7dividesIfEEEEvT_T0_DpT1_
	.p2align	8
	.type	_ZN2at6native12_GLOBAL__N_125multi_tensor_apply_kernelINS1_28TensorListScalarListMetadataIfLi3EEENS1_28PointwiseOpScalarListFunctorIN3c104HalfELi3ELi3ELi0EEEJSt7dividesIfEEEEvT_T0_DpT1_,@function
_ZN2at6native12_GLOBAL__N_125multi_tensor_apply_kernelINS1_28TensorListScalarListMetadataIfLi3EEENS1_28PointwiseOpScalarListFunctorIN3c104HalfELi3ELi3ELi0EEEJSt7dividesIfEEEEvT_T0_DpT1_: ; @_ZN2at6native12_GLOBAL__N_125multi_tensor_apply_kernelINS1_28TensorListScalarListMetadataIfLi3EEENS1_28PointwiseOpScalarListFunctorIN3c104HalfELi3ELi3ELi0EEEJSt7dividesIfEEEEvT_T0_DpT1_
; %bb.0:
	v_mov_b32_e32 v1, s15
	s_add_u32 s2, s0, s15
	s_mul_i32 s3, s15, 3
	s_mul_hi_u32 s4, s15, 3
	s_addc_u32 s5, s1, 0
	global_load_u8 v1, v1, s[0:1] offset:1728
	s_add_u32 s2, s2, s3
	s_addc_u32 s3, s5, s4
	s_load_b32 s2, s[2:3], 0x800
	s_waitcnt vmcnt(0)
	v_readfirstlane_b32 s3, v1
	v_lshlrev_b32_e32 v1, 2, v1
	s_delay_alu instid0(VALU_DEP_2)
	s_lshl_b32 s6, s3, 3
	s_waitcnt lgkmcnt(0)
	s_ashr_i32 s3, s2, 31
	s_clause 0x3
	s_load_b64 s[8:9], s[0:1], s6 offset:0x180
	s_load_b64 s[10:11], s[0:1], s6 offset:0x300
	;; [unrolled: 1-line block ×4, first 2 shown]
	s_add_u32 s6, s0, s6
	s_addc_u32 s7, s1, 0
	v_sub_co_u32 v1, s6, s6, v1
	s_delay_alu instid0(VALU_DEP_1) | instskip(SKIP_1) | instid1(VALU_DEP_2)
	v_sub_co_ci_u32_e64 v2, null, s7, 0, s6
	s_lshl_b64 s[16:17], s[2:3], 17
	v_readfirstlane_b32 s6, v1
	s_delay_alu instid0(VALU_DEP_2) | instskip(SKIP_3) | instid1(SALU_CYCLE_1)
	v_readfirstlane_b32 s7, v2
	s_load_b32 s7, s[6:7], 0x600
	s_waitcnt lgkmcnt(0)
	s_add_u32 s14, s8, s16
	s_or_b32 s14, s10, s14
	s_and_b32 s18, s12, 7
	s_and_b32 s14, s14, 7
	s_delay_alu instid0(SALU_CYCLE_1) | instskip(SKIP_2) | instid1(SALU_CYCLE_1)
	s_cmp_eq_u32 s14, 0
	s_cselect_b32 s6, -1, 0
	s_lshl_b64 s[2:3], s[2:3], 16
	s_sub_u32 s14, s4, s2
	s_subb_u32 s15, s5, s3
	s_and_b32 s2, s4, 3
	s_mov_b32 s3, 0
	s_or_b32 s2, s18, s2
	s_delay_alu instid0(SALU_CYCLE_1) | instskip(SKIP_1) | instid1(SALU_CYCLE_1)
	s_cmp_eq_u64 s[2:3], 0
	s_cselect_b32 s2, -1, 0
	s_and_b32 s2, s6, s2
	s_delay_alu instid0(SALU_CYCLE_1)
	s_and_b32 vcc_lo, exec_lo, s2
	s_mov_b32 s2, -1
	s_cbranch_vccnz .LBB130_29
; %bb.1:
	v_cmp_lt_i64_e64 s2, s[14:15], 1
	s_delay_alu instid0(VALU_DEP_1)
	s_and_b32 vcc_lo, exec_lo, s2
	s_cbranch_vccnz .LBB130_28
; %bb.2:
	s_load_b32 s3, s[0:1], 0xd14
	v_dual_mov_b32 v14, 0 :: v_dual_lshlrev_b32 v13, 1, v0
	v_cmp_gt_u64_e64 s4, 0x10000, s[14:15]
	v_cmp_eq_f32_e64 s2, s7, 1.0
	s_mov_b64 s[20:21], 0
	s_delay_alu instid0(VALU_DEP_3) | instskip(NEXT) | instid1(VALU_DEP_1)
	v_add_co_u32 v1, s5, s12, v13
	v_add_co_ci_u32_e64 v2, null, s13, 0, s5
	v_add_co_u32 v3, s5, s8, v13
	s_delay_alu instid0(VALU_DEP_1) | instskip(SKIP_1) | instid1(VALU_DEP_1)
	v_add_co_ci_u32_e64 v4, null, s9, 0, s5
	v_add_co_u32 v5, s5, s10, v13
	v_add_co_ci_u32_e64 v6, null, s11, 0, s5
	s_waitcnt lgkmcnt(0)
	s_and_b32 s3, s3, 0xffff
	s_and_b32 s4, s4, exec_lo
	v_mad_u64_u32 v[11:12], null, s3, 6, v[13:14]
	s_cselect_b32 s19, s15, 0
	s_cselect_b32 s18, s14, 0x10000
	s_mul_i32 s5, s3, 3
	s_lshl_b32 s22, s3, 2
	s_lshl_b32 s4, s3, 1
	v_add_co_u32 v20, s6, s22, v13
	v_add_co_u32 v13, s5, s5, v0
	v_add_co_u32 v7, vcc_lo, s12, v11
	v_add_co_ci_u32_e64 v14, null, 0, 0, s5
	v_add_co_u32 v19, s5, v0, s3
	v_add_co_ci_u32_e32 v8, vcc_lo, s13, v12, vcc_lo
	v_add_co_u32 v9, vcc_lo, s8, v11
	v_add_co_ci_u32_e32 v10, vcc_lo, s9, v12, vcc_lo
	v_add_co_u32 v11, vcc_lo, s10, v11
	v_add_co_ci_u32_e64 v21, null, 0, 0, s6
	v_lshlrev_b32_e32 v29, 1, v19
	v_add_co_ci_u32_e32 v12, vcc_lo, s11, v12, vcc_lo
	v_add_co_u32 v15, vcc_lo, s12, v20
	v_add_co_u32 v23, s4, s4, v0
	v_add_co_ci_u32_e32 v16, vcc_lo, s13, v21, vcc_lo
	v_add_co_ci_u32_e64 v24, null, 0, 0, s4
	v_add_co_u32 v25, s4, s12, v29
	v_add_co_u32 v17, vcc_lo, s8, v20
	v_add_co_ci_u32_e64 v26, null, s13, 0, s4
	v_add_co_u32 v27, s4, s8, v29
	v_add_co_ci_u32_e32 v18, vcc_lo, s9, v21, vcc_lo
	v_add_co_u32 v20, vcc_lo, s10, v20
	v_add_co_ci_u32_e64 v28, null, s9, 0, s4
	v_add_co_u32 v29, s4, s10, v29
	v_add_co_ci_u32_e32 v21, vcc_lo, s11, v21, vcc_lo
	v_add_co_ci_u32_e64 v22, null, 0, 0, s5
	v_add_co_ci_u32_e64 v30, null, s11, 0, s4
	s_lshl_b32 s23, s3, 3
	s_branch .LBB130_4
.LBB130_3:                              ;   in Loop: Header=BB130_4 Depth=1
	s_or_b32 exec_lo, exec_lo, s3
	v_add_co_u32 v1, vcc_lo, v1, s23
	v_add_co_ci_u32_e32 v2, vcc_lo, 0, v2, vcc_lo
	v_add_co_u32 v3, vcc_lo, v3, s23
	v_add_co_ci_u32_e32 v4, vcc_lo, 0, v4, vcc_lo
	;; [unrolled: 2-line block ×9, first 2 shown]
	s_add_u32 s20, s20, s22
	v_add_co_u32 v25, vcc_lo, v25, s23
	s_addc_u32 s21, s21, 0
	v_add_co_ci_u32_e32 v26, vcc_lo, 0, v26, vcc_lo
	v_cmp_lt_i64_e64 s3, s[20:21], s[14:15]
	v_cmp_gt_u64_e64 s4, 0x10000, s[20:21]
	v_add_co_u32 v27, vcc_lo, v27, s23
	v_add_co_ci_u32_e32 v28, vcc_lo, 0, v28, vcc_lo
	v_add_co_u32 v29, vcc_lo, v29, s23
	v_add_co_ci_u32_e32 v30, vcc_lo, 0, v30, vcc_lo
	s_and_b32 s3, s3, s4
	s_delay_alu instid0(SALU_CYCLE_1)
	s_and_b32 vcc_lo, exec_lo, s3
	s_cbranch_vccz .LBB130_28
.LBB130_4:                              ; =>This Inner Loop Header: Depth=1
	s_waitcnt vmcnt(1)
	v_add_co_u32 v31, s3, v0, s20
	s_delay_alu instid0(VALU_DEP_1) | instskip(SKIP_2) | instid1(VALU_DEP_2)
	v_add_co_ci_u32_e64 v32, null, 0, s21, s3
	s_waitcnt vmcnt(0)
	v_mov_b32_e32 v35, 0
	v_cmp_gt_u64_e32 vcc_lo, s[18:19], v[31:32]
	v_mov_b32_e32 v32, 0
	s_and_saveexec_b32 s4, vcc_lo
	s_cbranch_execz .LBB130_6
; %bb.5:                                ;   in Loop: Header=BB130_4 Depth=1
	v_add_co_u32 v31, s3, v1, s16
	s_delay_alu instid0(VALU_DEP_1) | instskip(SKIP_1) | instid1(VALU_DEP_1)
	v_add_co_ci_u32_e64 v32, s3, s17, v2, s3
	v_add_co_u32 v33, s3, v3, s16
	v_add_co_ci_u32_e64 v34, s3, s17, v4, s3
	global_load_u16 v32, v[31:32], off
	global_load_u16 v35, v[33:34], off
.LBB130_6:                              ;   in Loop: Header=BB130_4 Depth=1
	s_or_b32 exec_lo, exec_lo, s4
	v_mov_b32_e32 v31, 0
	v_mov_b32_e32 v37, 0
	s_and_saveexec_b32 s4, vcc_lo
	s_cbranch_execz .LBB130_8
; %bb.7:                                ;   in Loop: Header=BB130_4 Depth=1
	v_add_co_u32 v33, s3, v5, s16
	s_delay_alu instid0(VALU_DEP_1)
	v_add_co_ci_u32_e64 v34, s3, s17, v6, s3
	global_load_u16 v37, v[33:34], off
.LBB130_8:                              ;   in Loop: Header=BB130_4 Depth=1
	s_or_b32 exec_lo, exec_lo, s4
	v_add_co_u32 v33, s3, v19, s20
	s_delay_alu instid0(VALU_DEP_1) | instskip(SKIP_1) | instid1(VALU_DEP_2)
	v_add_co_ci_u32_e64 v34, s3, s21, v22, s3
	v_mov_b32_e32 v36, 0
	v_cmp_gt_u64_e64 s3, s[18:19], v[33:34]
	s_delay_alu instid0(VALU_DEP_1)
	s_and_saveexec_b32 s5, s3
	s_cbranch_execz .LBB130_10
; %bb.9:                                ;   in Loop: Header=BB130_4 Depth=1
	v_add_co_u32 v33, s4, v25, s16
	s_delay_alu instid0(VALU_DEP_1) | instskip(SKIP_1) | instid1(VALU_DEP_1)
	v_add_co_ci_u32_e64 v34, s4, s17, v26, s4
	v_add_co_u32 v38, s4, v27, s16
	v_add_co_ci_u32_e64 v39, s4, s17, v28, s4
	global_load_u16 v31, v[33:34], off
	global_load_u16 v36, v[38:39], off
.LBB130_10:                             ;   in Loop: Header=BB130_4 Depth=1
	s_or_b32 exec_lo, exec_lo, s5
	v_mov_b32_e32 v33, 0
	v_mov_b32_e32 v39, 0
	s_and_saveexec_b32 s5, s3
	s_cbranch_execz .LBB130_12
; %bb.11:                               ;   in Loop: Header=BB130_4 Depth=1
	v_add_co_u32 v38, s4, v29, s16
	s_delay_alu instid0(VALU_DEP_1)
	v_add_co_ci_u32_e64 v39, s4, s17, v30, s4
	global_load_u16 v39, v[38:39], off
.LBB130_12:                             ;   in Loop: Header=BB130_4 Depth=1
	s_or_b32 exec_lo, exec_lo, s5
	v_add_co_u32 v40, s4, v23, s20
	s_delay_alu instid0(VALU_DEP_1) | instskip(SKIP_1) | instid1(VALU_DEP_2)
	v_add_co_ci_u32_e64 v41, s4, s21, v24, s4
	v_mov_b32_e32 v38, 0
	v_cmp_gt_u64_e64 s4, s[18:19], v[40:41]
	s_delay_alu instid0(VALU_DEP_1)
	s_and_saveexec_b32 s6, s4
	s_cbranch_execz .LBB130_14
; %bb.13:                               ;   in Loop: Header=BB130_4 Depth=1
	v_add_co_u32 v33, s5, v15, s16
	s_delay_alu instid0(VALU_DEP_1) | instskip(SKIP_1) | instid1(VALU_DEP_1)
	v_add_co_ci_u32_e64 v34, s5, s17, v16, s5
	v_add_co_u32 v40, s5, v17, s16
	v_add_co_ci_u32_e64 v41, s5, s17, v18, s5
	global_load_u16 v33, v[33:34], off
	global_load_u16 v38, v[40:41], off
.LBB130_14:                             ;   in Loop: Header=BB130_4 Depth=1
	s_or_b32 exec_lo, exec_lo, s6
	v_dual_mov_b32 v34, 0 :: v_dual_mov_b32 v41, 0
	s_and_saveexec_b32 s6, s4
	s_cbranch_execz .LBB130_16
; %bb.15:                               ;   in Loop: Header=BB130_4 Depth=1
	v_add_co_u32 v40, s5, v20, s16
	s_delay_alu instid0(VALU_DEP_1)
	v_add_co_ci_u32_e64 v41, s5, s17, v21, s5
	global_load_u16 v41, v[40:41], off
.LBB130_16:                             ;   in Loop: Header=BB130_4 Depth=1
	s_or_b32 exec_lo, exec_lo, s6
	v_add_co_u32 v42, s5, v13, s20
	s_delay_alu instid0(VALU_DEP_1) | instskip(SKIP_1) | instid1(VALU_DEP_2)
	v_add_co_ci_u32_e64 v43, s5, s21, v14, s5
	v_mov_b32_e32 v40, 0
	v_cmp_gt_u64_e64 s5, s[18:19], v[42:43]
	s_delay_alu instid0(VALU_DEP_1)
	s_and_saveexec_b32 s24, s5
	s_cbranch_execnz .LBB130_22
; %bb.17:                               ;   in Loop: Header=BB130_4 Depth=1
	s_or_b32 exec_lo, exec_lo, s24
	v_mov_b32_e32 v42, 0
	s_and_saveexec_b32 s24, s5
	s_cbranch_execnz .LBB130_23
.LBB130_18:                             ;   in Loop: Header=BB130_4 Depth=1
	s_or_b32 exec_lo, exec_lo, s24
	s_and_saveexec_b32 s6, vcc_lo
	s_cbranch_execnz .LBB130_24
.LBB130_19:                             ;   in Loop: Header=BB130_4 Depth=1
	s_or_b32 exec_lo, exec_lo, s6
	s_and_saveexec_b32 s6, s3
	s_cbranch_execnz .LBB130_25
.LBB130_20:                             ;   in Loop: Header=BB130_4 Depth=1
	s_or_b32 exec_lo, exec_lo, s6
	s_and_saveexec_b32 s3, s4
	s_cbranch_execnz .LBB130_26
.LBB130_21:                             ;   in Loop: Header=BB130_4 Depth=1
	s_or_b32 exec_lo, exec_lo, s3
	s_and_saveexec_b32 s3, s5
	s_cbranch_execz .LBB130_3
	s_branch .LBB130_27
.LBB130_22:                             ;   in Loop: Header=BB130_4 Depth=1
	v_add_co_u32 v42, s6, v7, s16
	s_delay_alu instid0(VALU_DEP_1) | instskip(SKIP_1) | instid1(VALU_DEP_1)
	v_add_co_ci_u32_e64 v43, s6, s17, v8, s6
	v_add_co_u32 v44, s6, v9, s16
	v_add_co_ci_u32_e64 v45, s6, s17, v10, s6
	global_load_u16 v34, v[42:43], off
	global_load_u16 v40, v[44:45], off
	s_or_b32 exec_lo, exec_lo, s24
	v_mov_b32_e32 v42, 0
	s_and_saveexec_b32 s24, s5
	s_cbranch_execz .LBB130_18
.LBB130_23:                             ;   in Loop: Header=BB130_4 Depth=1
	v_add_co_u32 v42, s6, v11, s16
	s_delay_alu instid0(VALU_DEP_1)
	v_add_co_ci_u32_e64 v43, s6, s17, v12, s6
	global_load_u16 v42, v[42:43], off
	s_or_b32 exec_lo, exec_lo, s24
	s_and_saveexec_b32 s6, vcc_lo
	s_cbranch_execz .LBB130_19
.LBB130_24:                             ;   in Loop: Header=BB130_4 Depth=1
	s_waitcnt vmcnt(0)
	v_cvt_f32_f16_e32 v35, v35
	v_cvt_f32_f16_e32 v37, v37
	s_delay_alu instid0(VALU_DEP_1) | instskip(SKIP_1) | instid1(VALU_DEP_2)
	v_div_scale_f32 v43, null, v37, v37, v35
	v_div_scale_f32 v46, vcc_lo, v35, v37, v35
	v_rcp_f32_e32 v44, v43
	s_waitcnt_depctr 0xfff
	v_fma_f32 v45, -v43, v44, 1.0
	s_delay_alu instid0(VALU_DEP_1) | instskip(NEXT) | instid1(VALU_DEP_1)
	v_fmac_f32_e32 v44, v45, v44
	v_mul_f32_e32 v45, v46, v44
	s_delay_alu instid0(VALU_DEP_1) | instskip(NEXT) | instid1(VALU_DEP_1)
	v_fma_f32 v47, -v43, v45, v46
	v_fmac_f32_e32 v45, v47, v44
	s_delay_alu instid0(VALU_DEP_1) | instskip(NEXT) | instid1(VALU_DEP_1)
	v_fma_f32 v43, -v43, v45, v46
	v_div_fmas_f32 v43, v43, v44, v45
	v_cvt_f32_f16_e32 v44, v32
	s_delay_alu instid0(VALU_DEP_2) | instskip(SKIP_1) | instid1(VALU_DEP_2)
	v_div_fixup_f32 v35, v43, v37, v35
	v_add_co_u32 v43, vcc_lo, v1, s16
	v_add_f32_e32 v37, v35, v44
	v_fma_mix_f32 v32, s7, v35, v32 op_sel_hi:[0,0,1]
	v_add_co_ci_u32_e32 v44, vcc_lo, s17, v2, vcc_lo
	s_delay_alu instid0(VALU_DEP_2) | instskip(NEXT) | instid1(VALU_DEP_1)
	v_cndmask_b32_e64 v32, v32, v37, s2
	v_cvt_f16_f32_e32 v32, v32
	global_store_b16 v[43:44], v32, off
	s_or_b32 exec_lo, exec_lo, s6
	s_and_saveexec_b32 s6, s3
	s_cbranch_execz .LBB130_20
.LBB130_25:                             ;   in Loop: Header=BB130_4 Depth=1
	s_waitcnt vmcnt(0)
	v_cvt_f32_f16_e32 v32, v36
	v_cvt_f32_f16_e32 v35, v39
	s_delay_alu instid0(VALU_DEP_1) | instskip(SKIP_1) | instid1(VALU_DEP_2)
	v_div_scale_f32 v36, null, v35, v35, v32
	v_div_scale_f32 v43, vcc_lo, v32, v35, v32
	v_rcp_f32_e32 v37, v36
	s_waitcnt_depctr 0xfff
	v_fma_f32 v39, -v36, v37, 1.0
	s_delay_alu instid0(VALU_DEP_1) | instskip(NEXT) | instid1(VALU_DEP_1)
	v_fmac_f32_e32 v37, v39, v37
	v_mul_f32_e32 v39, v43, v37
	s_delay_alu instid0(VALU_DEP_1) | instskip(NEXT) | instid1(VALU_DEP_1)
	v_fma_f32 v44, -v36, v39, v43
	v_fmac_f32_e32 v39, v44, v37
	s_delay_alu instid0(VALU_DEP_1) | instskip(NEXT) | instid1(VALU_DEP_1)
	v_fma_f32 v36, -v36, v39, v43
	v_div_fmas_f32 v36, v36, v37, v39
	v_cvt_f32_f16_e32 v37, v31
	s_delay_alu instid0(VALU_DEP_2) | instskip(NEXT) | instid1(VALU_DEP_1)
	v_div_fixup_f32 v32, v36, v35, v32
	v_add_f32_e32 v35, v32, v37
	v_fma_mix_f32 v31, s7, v32, v31 op_sel_hi:[0,0,1]
	s_delay_alu instid0(VALU_DEP_1) | instskip(NEXT) | instid1(VALU_DEP_1)
	v_cndmask_b32_e64 v31, v31, v35, s2
	v_cvt_f16_f32_e32 v35, v31
	v_add_co_u32 v31, vcc_lo, v25, s16
	v_add_co_ci_u32_e32 v32, vcc_lo, s17, v26, vcc_lo
	global_store_b16 v[31:32], v35, off
	s_or_b32 exec_lo, exec_lo, s6
	s_and_saveexec_b32 s3, s4
	s_cbranch_execz .LBB130_21
.LBB130_26:                             ;   in Loop: Header=BB130_4 Depth=1
	s_waitcnt vmcnt(0)
	v_cvt_f32_f16_e32 v31, v38
	v_cvt_f32_f16_e32 v32, v41
	s_delay_alu instid0(VALU_DEP_1) | instskip(SKIP_1) | instid1(VALU_DEP_2)
	v_div_scale_f32 v35, null, v32, v32, v31
	v_div_scale_f32 v38, vcc_lo, v31, v32, v31
	v_rcp_f32_e32 v36, v35
	s_waitcnt_depctr 0xfff
	v_fma_f32 v37, -v35, v36, 1.0
	s_delay_alu instid0(VALU_DEP_1) | instskip(NEXT) | instid1(VALU_DEP_1)
	v_fmac_f32_e32 v36, v37, v36
	v_mul_f32_e32 v37, v38, v36
	s_delay_alu instid0(VALU_DEP_1) | instskip(NEXT) | instid1(VALU_DEP_1)
	v_fma_f32 v39, -v35, v37, v38
	v_fmac_f32_e32 v37, v39, v36
	s_delay_alu instid0(VALU_DEP_1) | instskip(NEXT) | instid1(VALU_DEP_1)
	v_fma_f32 v35, -v35, v37, v38
	v_div_fmas_f32 v35, v35, v36, v37
	v_cvt_f32_f16_e32 v36, v33
	s_delay_alu instid0(VALU_DEP_2) | instskip(NEXT) | instid1(VALU_DEP_1)
	v_div_fixup_f32 v31, v35, v32, v31
	v_add_f32_e32 v32, v31, v36
	v_fma_mix_f32 v31, s7, v31, v33 op_sel_hi:[0,0,1]
	s_delay_alu instid0(VALU_DEP_1) | instskip(NEXT) | instid1(VALU_DEP_1)
	v_cndmask_b32_e64 v31, v31, v32, s2
	v_cvt_f16_f32_e32 v33, v31
	v_add_co_u32 v31, vcc_lo, v15, s16
	v_add_co_ci_u32_e32 v32, vcc_lo, s17, v16, vcc_lo
	global_store_b16 v[31:32], v33, off
	s_or_b32 exec_lo, exec_lo, s3
	s_and_saveexec_b32 s3, s5
	s_cbranch_execz .LBB130_3
.LBB130_27:                             ;   in Loop: Header=BB130_4 Depth=1
	s_waitcnt vmcnt(0)
	v_cvt_f32_f16_e32 v31, v40
	v_cvt_f32_f16_e32 v32, v42
	s_delay_alu instid0(VALU_DEP_1) | instskip(SKIP_1) | instid1(VALU_DEP_2)
	v_div_scale_f32 v33, null, v32, v32, v31
	v_div_scale_f32 v37, vcc_lo, v31, v32, v31
	v_rcp_f32_e32 v35, v33
	s_waitcnt_depctr 0xfff
	v_fma_f32 v36, -v33, v35, 1.0
	s_delay_alu instid0(VALU_DEP_1) | instskip(NEXT) | instid1(VALU_DEP_1)
	v_fmac_f32_e32 v35, v36, v35
	v_mul_f32_e32 v36, v37, v35
	s_delay_alu instid0(VALU_DEP_1) | instskip(NEXT) | instid1(VALU_DEP_1)
	v_fma_f32 v38, -v33, v36, v37
	v_fmac_f32_e32 v36, v38, v35
	s_delay_alu instid0(VALU_DEP_1) | instskip(NEXT) | instid1(VALU_DEP_1)
	v_fma_f32 v33, -v33, v36, v37
	v_div_fmas_f32 v33, v33, v35, v36
	v_cvt_f32_f16_e32 v35, v34
	s_delay_alu instid0(VALU_DEP_2) | instskip(NEXT) | instid1(VALU_DEP_1)
	v_div_fixup_f32 v31, v33, v32, v31
	v_add_f32_e32 v32, v31, v35
	v_fma_mix_f32 v31, s7, v31, v34 op_sel_hi:[0,0,1]
	s_delay_alu instid0(VALU_DEP_1) | instskip(NEXT) | instid1(VALU_DEP_1)
	v_cndmask_b32_e64 v31, v31, v32, s2
	v_cvt_f16_f32_e32 v33, v31
	v_add_co_u32 v31, vcc_lo, v7, s16
	v_add_co_ci_u32_e32 v32, vcc_lo, s17, v8, vcc_lo
	global_store_b16 v[31:32], v33, off
	s_branch .LBB130_3
.LBB130_28:
	s_mov_b32 s2, 0
.LBB130_29:
	s_delay_alu instid0(SALU_CYCLE_1)
	s_and_not1_b32 vcc_lo, exec_lo, s2
	s_cbranch_vccnz .LBB130_33
; %bb.30:
	v_dual_mov_b32 v2, 0 :: v_dual_lshlrev_b32 v1, 2, v0
	s_mov_b32 s6, 0
	s_mov_b32 s2, exec_lo
	s_delay_alu instid0(VALU_DEP_1)
	v_cmpx_gt_i64_e64 s[14:15], v[1:2]
	s_cbranch_execz .LBB130_33
; %bb.31:
	s_load_b32 s1, s[0:1], 0xd14
	v_lshlrev_b32_e32 v1, 3, v0
	v_cmp_eq_f32_e64 s0, s7, 1.0
	s_delay_alu instid0(VALU_DEP_2) | instskip(NEXT) | instid1(VALU_DEP_1)
	v_add_co_u32 v3, s2, s16, v1
	v_add_co_ci_u32_e64 v4, null, s17, 0, s2
	s_mov_b32 s16, s7
	s_waitcnt lgkmcnt(0)
	s_and_b32 s1, s1, 0xffff
	s_delay_alu instid0(SALU_CYCLE_1)
	v_add_lshl_u32 v1, v0, s1, 2
	s_lshl_b32 s17, s1, 3
	s_lshl_b32 s18, s1, 2
.LBB130_32:                             ; =>This Inner Loop Header: Depth=1
	v_add_co_u32 v5, vcc_lo, s8, v3
	v_add_co_ci_u32_e32 v6, vcc_lo, s9, v4, vcc_lo
	v_add_co_u32 v7, vcc_lo, s10, v3
	v_add_co_ci_u32_e32 v8, vcc_lo, s11, v4, vcc_lo
	;; [unrolled: 2-line block ×3, first 2 shown]
	global_load_b64 v[5:6], v[5:6], off
	global_load_b64 v[7:8], v[7:8], off
	global_load_b64 v[11:12], v[9:10], off
	v_add_co_u32 v3, vcc_lo, v3, s17
	v_add_co_ci_u32_e32 v4, vcc_lo, 0, v4, vcc_lo
	v_cmp_le_i64_e64 s1, s[14:15], v[1:2]
	v_cmp_lt_u64_e64 s2, 0xffff, v[1:2]
	s_delay_alu instid0(VALU_DEP_1) | instskip(NEXT) | instid1(SALU_CYCLE_1)
	s_or_b32 s1, s1, s2
	s_and_b32 s1, exec_lo, s1
	s_delay_alu instid0(SALU_CYCLE_1)
	s_or_b32 s6, s1, s6
	s_waitcnt vmcnt(2)
	v_lshrrev_b32_e32 v13, 16, v5
	s_waitcnt vmcnt(1)
	v_lshrrev_b32_e32 v14, 16, v7
	v_lshrrev_b32_e32 v18, 16, v6
	;; [unrolled: 1-line block ×3, first 2 shown]
	v_cvt_f32_f16_e32 v5, v5
	v_cvt_f32_f16_e32 v7, v7
	;; [unrolled: 1-line block ×8, first 2 shown]
	v_div_scale_f32 v20, null, v7, v7, v5
	v_div_scale_f32 v22, null, v8, v8, v6
	;; [unrolled: 1-line block ×3, first 2 shown]
	s_delay_alu instid0(VALU_DEP_4) | instskip(NEXT) | instid1(VALU_DEP_4)
	v_div_scale_f32 v27, null, v19, v19, v18
	v_rcp_f32_e32 v26, v20
	s_delay_alu instid0(VALU_DEP_3) | instskip(NEXT) | instid1(VALU_DEP_2)
	v_rcp_f32_e32 v29, v22
	v_rcp_f32_e32 v30, v24
	s_delay_alu instid0(VALU_DEP_1) | instskip(SKIP_4) | instid1(TRANS32_DEP_3)
	v_rcp_f32_e32 v31, v27
	v_div_scale_f32 v21, s3, v5, v7, v5
	v_div_scale_f32 v23, s4, v6, v8, v6
	v_div_scale_f32 v25, vcc_lo, v13, v14, v13
	v_fma_f32 v32, -v20, v26, 1.0
	v_fma_f32 v33, -v22, v29, 1.0
	s_delay_alu instid0(TRANS32_DEP_2) | instskip(NEXT) | instid1(TRANS32_DEP_1)
	v_fma_f32 v34, -v24, v30, 1.0
	v_fma_f32 v35, -v27, v31, 1.0
	v_div_scale_f32 v28, s5, v18, v19, v18
	s_delay_alu instid0(VALU_DEP_4) | instskip(NEXT) | instid1(VALU_DEP_3)
	v_dual_fmac_f32 v26, v32, v26 :: v_dual_fmac_f32 v29, v33, v29
	v_dual_fmac_f32 v30, v34, v30 :: v_dual_fmac_f32 v31, v35, v31
	s_waitcnt vmcnt(0)
	v_lshrrev_b32_e32 v0, 16, v11
	s_delay_alu instid0(VALU_DEP_3) | instskip(NEXT) | instid1(VALU_DEP_3)
	v_dual_mul_f32 v32, v21, v26 :: v_dual_mul_f32 v33, v23, v29
	v_dual_mul_f32 v34, v25, v30 :: v_dual_mul_f32 v35, v28, v31
	v_lshrrev_b32_e32 v16, 16, v12
	s_delay_alu instid0(VALU_DEP_3) | instskip(NEXT) | instid1(VALU_DEP_4)
	v_fma_f32 v36, -v20, v32, v21
	v_fma_f32 v37, -v22, v33, v23
	s_delay_alu instid0(VALU_DEP_4) | instskip(SKIP_2) | instid1(VALU_DEP_4)
	v_fma_f32 v38, -v24, v34, v25
	v_fma_f32 v39, -v27, v35, v28
	v_cvt_f32_f16_e32 v15, v11
	v_dual_fmac_f32 v32, v36, v26 :: v_dual_fmac_f32 v33, v37, v29
	s_delay_alu instid0(VALU_DEP_3) | instskip(SKIP_1) | instid1(VALU_DEP_3)
	v_dual_fmac_f32 v34, v38, v30 :: v_dual_fmac_f32 v35, v39, v31
	v_cvt_f32_f16_e32 v17, v12
	v_fma_f32 v20, -v20, v32, v21
	s_delay_alu instid0(VALU_DEP_4) | instskip(NEXT) | instid1(VALU_DEP_4)
	v_fma_f32 v21, -v22, v33, v23
	v_fma_f32 v22, -v24, v34, v25
	;; [unrolled: 1-line block ×3, first 2 shown]
	v_cvt_f32_f16_e32 v0, v0
	v_cvt_f32_f16_e32 v16, v16
	s_delay_alu instid0(VALU_DEP_4) | instskip(SKIP_3) | instid1(VALU_DEP_2)
	v_div_fmas_f32 v22, v22, v30, v34
	s_mov_b32 vcc_lo, s3
	v_div_fmas_f32 v20, v20, v26, v32
	s_mov_b32 vcc_lo, s5
	v_div_fixup_f32 v13, v22, v14, v13
	v_div_fmas_f32 v23, v23, v31, v35
	s_mov_b32 vcc_lo, s4
	v_div_fixup_f32 v5, v20, v7, v5
	v_div_fmas_f32 v14, v21, v29, v33
	v_add_f32_e32 v0, v13, v0
	v_div_fixup_f32 v7, v23, v19, v18
	v_fma_mix_f32 v13, s16, v13, v11 op_sel:[0,0,1] op_sel_hi:[0,0,1]
	v_add_co_u32 v1, vcc_lo, v1, s18
	v_div_fixup_f32 v6, v14, v8, v6
	v_add_f32_e32 v8, v5, v15
	v_fma_mix_f32 v5, s7, v5, v11 op_sel_hi:[0,0,1]
	v_add_f32_e32 v11, v7, v16
	v_fma_mix_f32 v7, s16, v7, v12 op_sel:[0,0,1] op_sel_hi:[0,0,1]
	v_add_f32_e32 v14, v6, v17
	v_fma_mix_f32 v6, s7, v6, v12 op_sel_hi:[0,0,1]
	v_cndmask_b32_e64 v0, v13, v0, s0
	v_cndmask_b32_e64 v5, v5, v8, s0
	v_cndmask_b32_e64 v7, v7, v11, s0
	v_add_co_ci_u32_e32 v2, vcc_lo, 0, v2, vcc_lo
	v_cndmask_b32_e64 v6, v6, v14, s0
	v_cvt_f16_f32_e32 v0, v0
	v_cvt_f16_f32_e32 v5, v5
	;; [unrolled: 1-line block ×3, first 2 shown]
	s_delay_alu instid0(VALU_DEP_4) | instskip(NEXT) | instid1(VALU_DEP_3)
	v_cvt_f16_f32_e32 v6, v6
	v_pack_b32_f16 v5, v5, v0
	s_delay_alu instid0(VALU_DEP_2)
	v_pack_b32_f16 v6, v6, v7
	global_store_b64 v[9:10], v[5:6], off
	s_and_not1_b32 exec_lo, exec_lo, s6
	s_cbranch_execnz .LBB130_32
.LBB130_33:
	s_nop 0
	s_sendmsg sendmsg(MSG_DEALLOC_VGPRS)
	s_endpgm
	.section	.rodata,"a",@progbits
	.p2align	6, 0x0
	.amdhsa_kernel _ZN2at6native12_GLOBAL__N_125multi_tensor_apply_kernelINS1_28TensorListScalarListMetadataIfLi3EEENS1_28PointwiseOpScalarListFunctorIN3c104HalfELi3ELi3ELi0EEEJSt7dividesIfEEEEvT_T0_DpT1_
		.amdhsa_group_segment_fixed_size 0
		.amdhsa_private_segment_fixed_size 0
		.amdhsa_kernarg_size 3592
		.amdhsa_user_sgpr_count 15
		.amdhsa_user_sgpr_dispatch_ptr 0
		.amdhsa_user_sgpr_queue_ptr 0
		.amdhsa_user_sgpr_kernarg_segment_ptr 1
		.amdhsa_user_sgpr_dispatch_id 0
		.amdhsa_user_sgpr_private_segment_size 0
		.amdhsa_wavefront_size32 1
		.amdhsa_uses_dynamic_stack 0
		.amdhsa_enable_private_segment 0
		.amdhsa_system_sgpr_workgroup_id_x 1
		.amdhsa_system_sgpr_workgroup_id_y 0
		.amdhsa_system_sgpr_workgroup_id_z 0
		.amdhsa_system_sgpr_workgroup_info 0
		.amdhsa_system_vgpr_workitem_id 0
		.amdhsa_next_free_vgpr 48
		.amdhsa_next_free_sgpr 25
		.amdhsa_reserve_vcc 1
		.amdhsa_float_round_mode_32 0
		.amdhsa_float_round_mode_16_64 0
		.amdhsa_float_denorm_mode_32 3
		.amdhsa_float_denorm_mode_16_64 3
		.amdhsa_dx10_clamp 1
		.amdhsa_ieee_mode 1
		.amdhsa_fp16_overflow 0
		.amdhsa_workgroup_processor_mode 1
		.amdhsa_memory_ordered 1
		.amdhsa_forward_progress 0
		.amdhsa_shared_vgpr_count 0
		.amdhsa_exception_fp_ieee_invalid_op 0
		.amdhsa_exception_fp_denorm_src 0
		.amdhsa_exception_fp_ieee_div_zero 0
		.amdhsa_exception_fp_ieee_overflow 0
		.amdhsa_exception_fp_ieee_underflow 0
		.amdhsa_exception_fp_ieee_inexact 0
		.amdhsa_exception_int_div_zero 0
	.end_amdhsa_kernel
	.section	.text._ZN2at6native12_GLOBAL__N_125multi_tensor_apply_kernelINS1_28TensorListScalarListMetadataIfLi3EEENS1_28PointwiseOpScalarListFunctorIN3c104HalfELi3ELi3ELi0EEEJSt7dividesIfEEEEvT_T0_DpT1_,"axG",@progbits,_ZN2at6native12_GLOBAL__N_125multi_tensor_apply_kernelINS1_28TensorListScalarListMetadataIfLi3EEENS1_28PointwiseOpScalarListFunctorIN3c104HalfELi3ELi3ELi0EEEJSt7dividesIfEEEEvT_T0_DpT1_,comdat
.Lfunc_end130:
	.size	_ZN2at6native12_GLOBAL__N_125multi_tensor_apply_kernelINS1_28TensorListScalarListMetadataIfLi3EEENS1_28PointwiseOpScalarListFunctorIN3c104HalfELi3ELi3ELi0EEEJSt7dividesIfEEEEvT_T0_DpT1_, .Lfunc_end130-_ZN2at6native12_GLOBAL__N_125multi_tensor_apply_kernelINS1_28TensorListScalarListMetadataIfLi3EEENS1_28PointwiseOpScalarListFunctorIN3c104HalfELi3ELi3ELi0EEEJSt7dividesIfEEEEvT_T0_DpT1_
                                        ; -- End function
	.section	.AMDGPU.csdata,"",@progbits
; Kernel info:
; codeLenInByte = 2972
; NumSgprs: 27
; NumVgprs: 48
; ScratchSize: 0
; MemoryBound: 0
; FloatMode: 240
; IeeeMode: 1
; LDSByteSize: 0 bytes/workgroup (compile time only)
; SGPRBlocks: 3
; VGPRBlocks: 5
; NumSGPRsForWavesPerEU: 27
; NumVGPRsForWavesPerEU: 48
; Occupancy: 16
; WaveLimiterHint : 0
; COMPUTE_PGM_RSRC2:SCRATCH_EN: 0
; COMPUTE_PGM_RSRC2:USER_SGPR: 15
; COMPUTE_PGM_RSRC2:TRAP_HANDLER: 0
; COMPUTE_PGM_RSRC2:TGID_X_EN: 1
; COMPUTE_PGM_RSRC2:TGID_Y_EN: 0
; COMPUTE_PGM_RSRC2:TGID_Z_EN: 0
; COMPUTE_PGM_RSRC2:TIDIG_COMP_CNT: 0
	.section	.text._ZN2at6native12_GLOBAL__N_125multi_tensor_apply_kernelINS1_28TensorListScalarListMetadataIfLi3EEENS1_28PointwiseOpScalarListFunctorIN3c108BFloat16ELi3ELi3ELi0EEEJSt7dividesIfEEEEvT_T0_DpT1_,"axG",@progbits,_ZN2at6native12_GLOBAL__N_125multi_tensor_apply_kernelINS1_28TensorListScalarListMetadataIfLi3EEENS1_28PointwiseOpScalarListFunctorIN3c108BFloat16ELi3ELi3ELi0EEEJSt7dividesIfEEEEvT_T0_DpT1_,comdat
	.globl	_ZN2at6native12_GLOBAL__N_125multi_tensor_apply_kernelINS1_28TensorListScalarListMetadataIfLi3EEENS1_28PointwiseOpScalarListFunctorIN3c108BFloat16ELi3ELi3ELi0EEEJSt7dividesIfEEEEvT_T0_DpT1_ ; -- Begin function _ZN2at6native12_GLOBAL__N_125multi_tensor_apply_kernelINS1_28TensorListScalarListMetadataIfLi3EEENS1_28PointwiseOpScalarListFunctorIN3c108BFloat16ELi3ELi3ELi0EEEJSt7dividesIfEEEEvT_T0_DpT1_
	.p2align	8
	.type	_ZN2at6native12_GLOBAL__N_125multi_tensor_apply_kernelINS1_28TensorListScalarListMetadataIfLi3EEENS1_28PointwiseOpScalarListFunctorIN3c108BFloat16ELi3ELi3ELi0EEEJSt7dividesIfEEEEvT_T0_DpT1_,@function
_ZN2at6native12_GLOBAL__N_125multi_tensor_apply_kernelINS1_28TensorListScalarListMetadataIfLi3EEENS1_28PointwiseOpScalarListFunctorIN3c108BFloat16ELi3ELi3ELi0EEEJSt7dividesIfEEEEvT_T0_DpT1_: ; @_ZN2at6native12_GLOBAL__N_125multi_tensor_apply_kernelINS1_28TensorListScalarListMetadataIfLi3EEENS1_28PointwiseOpScalarListFunctorIN3c108BFloat16ELi3ELi3ELi0EEEJSt7dividesIfEEEEvT_T0_DpT1_
; %bb.0:
	v_mov_b32_e32 v1, s15
	s_add_u32 s2, s0, s15
	s_mul_i32 s3, s15, 3
	s_mul_hi_u32 s4, s15, 3
	s_addc_u32 s5, s1, 0
	global_load_u8 v1, v1, s[0:1] offset:1728
	s_add_u32 s2, s2, s3
	s_addc_u32 s3, s5, s4
	s_load_b32 s2, s[2:3], 0x800
	s_waitcnt vmcnt(0)
	v_readfirstlane_b32 s3, v1
	v_lshlrev_b32_e32 v1, 2, v1
	s_delay_alu instid0(VALU_DEP_2)
	s_lshl_b32 s6, s3, 3
	s_waitcnt lgkmcnt(0)
	s_ashr_i32 s3, s2, 31
	s_clause 0x3
	s_load_b64 s[8:9], s[0:1], s6 offset:0x180
	s_load_b64 s[10:11], s[0:1], s6 offset:0x300
	;; [unrolled: 1-line block ×4, first 2 shown]
	s_add_u32 s6, s0, s6
	s_addc_u32 s7, s1, 0
	v_sub_co_u32 v1, s6, s6, v1
	s_delay_alu instid0(VALU_DEP_1) | instskip(SKIP_1) | instid1(VALU_DEP_2)
	v_sub_co_ci_u32_e64 v2, null, s7, 0, s6
	s_lshl_b64 s[16:17], s[2:3], 17
	v_readfirstlane_b32 s6, v1
	s_delay_alu instid0(VALU_DEP_2) | instskip(SKIP_3) | instid1(SALU_CYCLE_1)
	v_readfirstlane_b32 s7, v2
	s_load_b32 s7, s[6:7], 0x600
	s_waitcnt lgkmcnt(0)
	s_add_u32 s14, s8, s16
	s_or_b32 s14, s10, s14
	s_and_b32 s18, s12, 7
	s_and_b32 s14, s14, 7
	s_delay_alu instid0(SALU_CYCLE_1) | instskip(SKIP_2) | instid1(SALU_CYCLE_1)
	s_cmp_eq_u32 s14, 0
	s_cselect_b32 s6, -1, 0
	s_lshl_b64 s[2:3], s[2:3], 16
	s_sub_u32 s14, s4, s2
	s_subb_u32 s15, s5, s3
	s_and_b32 s2, s4, 3
	s_mov_b32 s3, 0
	s_or_b32 s2, s18, s2
	s_delay_alu instid0(SALU_CYCLE_1) | instskip(SKIP_1) | instid1(SALU_CYCLE_1)
	s_cmp_eq_u64 s[2:3], 0
	s_cselect_b32 s2, -1, 0
	s_and_b32 s2, s6, s2
	s_delay_alu instid0(SALU_CYCLE_1)
	s_and_b32 vcc_lo, exec_lo, s2
	s_mov_b32 s2, -1
	s_cbranch_vccnz .LBB131_29
; %bb.1:
	v_cmp_lt_i64_e64 s2, s[14:15], 1
	s_delay_alu instid0(VALU_DEP_1)
	s_and_b32 vcc_lo, exec_lo, s2
	s_cbranch_vccnz .LBB131_28
; %bb.2:
	s_load_b32 s3, s[0:1], 0xd14
	v_dual_mov_b32 v14, 0 :: v_dual_lshlrev_b32 v13, 1, v0
	v_cmp_gt_u64_e64 s4, 0x10000, s[14:15]
	v_cmp_eq_f32_e64 s2, s7, 1.0
	s_mov_b64 s[20:21], 0
	s_delay_alu instid0(VALU_DEP_3) | instskip(NEXT) | instid1(VALU_DEP_1)
	v_add_co_u32 v1, s5, s12, v13
	v_add_co_ci_u32_e64 v2, null, s13, 0, s5
	v_add_co_u32 v3, s5, s8, v13
	s_delay_alu instid0(VALU_DEP_1) | instskip(SKIP_1) | instid1(VALU_DEP_1)
	v_add_co_ci_u32_e64 v4, null, s9, 0, s5
	v_add_co_u32 v5, s5, s10, v13
	v_add_co_ci_u32_e64 v6, null, s11, 0, s5
	s_waitcnt lgkmcnt(0)
	s_and_b32 s3, s3, 0xffff
	s_and_b32 s4, s4, exec_lo
	v_mad_u64_u32 v[11:12], null, s3, 6, v[13:14]
	s_cselect_b32 s19, s15, 0
	s_cselect_b32 s18, s14, 0x10000
	s_mul_i32 s5, s3, 3
	s_lshl_b32 s22, s3, 2
	s_lshl_b32 s4, s3, 1
	v_add_co_u32 v20, s6, s22, v13
	v_add_co_u32 v13, s5, s5, v0
	v_add_co_u32 v7, vcc_lo, s12, v11
	v_add_co_ci_u32_e64 v14, null, 0, 0, s5
	v_add_co_u32 v19, s5, v0, s3
	v_add_co_ci_u32_e32 v8, vcc_lo, s13, v12, vcc_lo
	v_add_co_u32 v9, vcc_lo, s8, v11
	v_add_co_ci_u32_e32 v10, vcc_lo, s9, v12, vcc_lo
	v_add_co_u32 v11, vcc_lo, s10, v11
	v_add_co_ci_u32_e64 v21, null, 0, 0, s6
	v_lshlrev_b32_e32 v29, 1, v19
	v_add_co_ci_u32_e32 v12, vcc_lo, s11, v12, vcc_lo
	v_add_co_u32 v15, vcc_lo, s12, v20
	v_add_co_u32 v23, s4, s4, v0
	v_add_co_ci_u32_e32 v16, vcc_lo, s13, v21, vcc_lo
	v_add_co_ci_u32_e64 v24, null, 0, 0, s4
	v_add_co_u32 v25, s4, s12, v29
	v_add_co_u32 v17, vcc_lo, s8, v20
	v_add_co_ci_u32_e64 v26, null, s13, 0, s4
	v_add_co_u32 v27, s4, s8, v29
	v_add_co_ci_u32_e32 v18, vcc_lo, s9, v21, vcc_lo
	v_add_co_u32 v20, vcc_lo, s10, v20
	v_add_co_ci_u32_e64 v28, null, s9, 0, s4
	v_add_co_u32 v29, s4, s10, v29
	v_add_co_ci_u32_e32 v21, vcc_lo, s11, v21, vcc_lo
	v_add_co_ci_u32_e64 v22, null, 0, 0, s5
	v_add_co_ci_u32_e64 v30, null, s11, 0, s4
	s_lshl_b32 s23, s3, 3
	s_branch .LBB131_4
.LBB131_3:                              ;   in Loop: Header=BB131_4 Depth=1
	s_or_b32 exec_lo, exec_lo, s3
	v_add_co_u32 v1, vcc_lo, v1, s23
	v_add_co_ci_u32_e32 v2, vcc_lo, 0, v2, vcc_lo
	v_add_co_u32 v3, vcc_lo, v3, s23
	v_add_co_ci_u32_e32 v4, vcc_lo, 0, v4, vcc_lo
	;; [unrolled: 2-line block ×9, first 2 shown]
	s_add_u32 s20, s20, s22
	v_add_co_u32 v25, vcc_lo, v25, s23
	s_addc_u32 s21, s21, 0
	v_add_co_ci_u32_e32 v26, vcc_lo, 0, v26, vcc_lo
	v_cmp_lt_i64_e64 s3, s[20:21], s[14:15]
	v_cmp_gt_u64_e64 s4, 0x10000, s[20:21]
	v_add_co_u32 v27, vcc_lo, v27, s23
	v_add_co_ci_u32_e32 v28, vcc_lo, 0, v28, vcc_lo
	v_add_co_u32 v29, vcc_lo, v29, s23
	v_add_co_ci_u32_e32 v30, vcc_lo, 0, v30, vcc_lo
	s_and_b32 s3, s3, s4
	s_delay_alu instid0(SALU_CYCLE_1)
	s_and_b32 vcc_lo, exec_lo, s3
	s_cbranch_vccz .LBB131_28
.LBB131_4:                              ; =>This Inner Loop Header: Depth=1
	s_waitcnt vmcnt(1)
	v_add_co_u32 v31, s3, v0, s20
	s_delay_alu instid0(VALU_DEP_1) | instskip(SKIP_2) | instid1(VALU_DEP_2)
	v_add_co_ci_u32_e64 v32, null, 0, s21, s3
	s_waitcnt vmcnt(0)
	v_dual_mov_b32 v34, 0 :: v_dual_mov_b32 v35, 0
	v_cmp_gt_u64_e32 vcc_lo, s[18:19], v[31:32]
	s_and_saveexec_b32 s4, vcc_lo
	s_cbranch_execz .LBB131_6
; %bb.5:                                ;   in Loop: Header=BB131_4 Depth=1
	v_add_co_u32 v31, s3, v1, s16
	s_delay_alu instid0(VALU_DEP_1) | instskip(SKIP_1) | instid1(VALU_DEP_1)
	v_add_co_ci_u32_e64 v32, s3, s17, v2, s3
	v_add_co_u32 v35, s3, v3, s16
	v_add_co_ci_u32_e64 v36, s3, s17, v4, s3
	global_load_u16 v34, v[31:32], off
	global_load_u16 v35, v[35:36], off
.LBB131_6:                              ;   in Loop: Header=BB131_4 Depth=1
	s_or_b32 exec_lo, exec_lo, s4
	v_dual_mov_b32 v31, 0 :: v_dual_mov_b32 v38, 0
	s_and_saveexec_b32 s4, vcc_lo
	s_cbranch_execz .LBB131_8
; %bb.7:                                ;   in Loop: Header=BB131_4 Depth=1
	v_add_co_u32 v32, s3, v5, s16
	s_delay_alu instid0(VALU_DEP_1)
	v_add_co_ci_u32_e64 v33, s3, s17, v6, s3
	global_load_u16 v38, v[32:33], off
.LBB131_8:                              ;   in Loop: Header=BB131_4 Depth=1
	s_or_b32 exec_lo, exec_lo, s4
	v_add_co_u32 v32, s3, v19, s20
	s_delay_alu instid0(VALU_DEP_1) | instskip(SKIP_1) | instid1(VALU_DEP_2)
	v_add_co_ci_u32_e64 v33, s3, s21, v22, s3
	v_mov_b32_e32 v36, 0
	v_cmp_gt_u64_e64 s3, s[18:19], v[32:33]
	s_delay_alu instid0(VALU_DEP_1)
	s_and_saveexec_b32 s5, s3
	s_cbranch_execz .LBB131_10
; %bb.9:                                ;   in Loop: Header=BB131_4 Depth=1
	v_add_co_u32 v31, s4, v25, s16
	s_delay_alu instid0(VALU_DEP_1) | instskip(SKIP_1) | instid1(VALU_DEP_1)
	v_add_co_ci_u32_e64 v32, s4, s17, v26, s4
	v_add_co_u32 v36, s4, v27, s16
	v_add_co_ci_u32_e64 v37, s4, s17, v28, s4
	global_load_u16 v31, v[31:32], off
	global_load_u16 v36, v[36:37], off
.LBB131_10:                             ;   in Loop: Header=BB131_4 Depth=1
	s_or_b32 exec_lo, exec_lo, s5
	v_mov_b32_e32 v32, 0
	v_mov_b32_e32 v40, 0
	s_and_saveexec_b32 s5, s3
	s_cbranch_execz .LBB131_12
; %bb.11:                               ;   in Loop: Header=BB131_4 Depth=1
	v_add_co_u32 v39, s4, v29, s16
	s_delay_alu instid0(VALU_DEP_1)
	v_add_co_ci_u32_e64 v40, s4, s17, v30, s4
	global_load_u16 v40, v[39:40], off
.LBB131_12:                             ;   in Loop: Header=BB131_4 Depth=1
	s_or_b32 exec_lo, exec_lo, s5
	v_add_co_u32 v41, s4, v23, s20
	s_delay_alu instid0(VALU_DEP_1) | instskip(SKIP_1) | instid1(VALU_DEP_2)
	v_add_co_ci_u32_e64 v42, s4, s21, v24, s4
	v_mov_b32_e32 v37, 0
	v_cmp_gt_u64_e64 s4, s[18:19], v[41:42]
	s_delay_alu instid0(VALU_DEP_1)
	s_and_saveexec_b32 s6, s4
	s_cbranch_execz .LBB131_14
; %bb.13:                               ;   in Loop: Header=BB131_4 Depth=1
	v_add_co_u32 v32, s5, v15, s16
	s_delay_alu instid0(VALU_DEP_1) | instskip(SKIP_1) | instid1(VALU_DEP_1)
	v_add_co_ci_u32_e64 v33, s5, s17, v16, s5
	v_add_co_u32 v41, s5, v17, s16
	v_add_co_ci_u32_e64 v42, s5, s17, v18, s5
	global_load_u16 v32, v[32:33], off
	global_load_u16 v37, v[41:42], off
.LBB131_14:                             ;   in Loop: Header=BB131_4 Depth=1
	s_or_b32 exec_lo, exec_lo, s6
	v_mov_b32_e32 v33, 0
	v_mov_b32_e32 v41, 0
	s_and_saveexec_b32 s6, s4
	s_cbranch_execz .LBB131_16
; %bb.15:                               ;   in Loop: Header=BB131_4 Depth=1
	v_add_co_u32 v41, s5, v20, s16
	s_delay_alu instid0(VALU_DEP_1)
	v_add_co_ci_u32_e64 v42, s5, s17, v21, s5
	global_load_u16 v41, v[41:42], off
.LBB131_16:                             ;   in Loop: Header=BB131_4 Depth=1
	s_or_b32 exec_lo, exec_lo, s6
	v_add_co_u32 v42, s5, v13, s20
	s_delay_alu instid0(VALU_DEP_1) | instskip(SKIP_1) | instid1(VALU_DEP_2)
	v_add_co_ci_u32_e64 v43, s5, s21, v14, s5
	v_mov_b32_e32 v39, 0
	v_cmp_gt_u64_e64 s5, s[18:19], v[42:43]
	s_delay_alu instid0(VALU_DEP_1)
	s_and_saveexec_b32 s24, s5
	s_cbranch_execnz .LBB131_22
; %bb.17:                               ;   in Loop: Header=BB131_4 Depth=1
	s_or_b32 exec_lo, exec_lo, s24
	v_mov_b32_e32 v42, 0
	s_and_saveexec_b32 s24, s5
	s_cbranch_execnz .LBB131_23
.LBB131_18:                             ;   in Loop: Header=BB131_4 Depth=1
	s_or_b32 exec_lo, exec_lo, s24
	s_and_saveexec_b32 s6, vcc_lo
	s_cbranch_execnz .LBB131_24
.LBB131_19:                             ;   in Loop: Header=BB131_4 Depth=1
	s_or_b32 exec_lo, exec_lo, s6
	s_and_saveexec_b32 s6, s3
	s_cbranch_execnz .LBB131_25
.LBB131_20:                             ;   in Loop: Header=BB131_4 Depth=1
	s_or_b32 exec_lo, exec_lo, s6
	s_and_saveexec_b32 s3, s4
	s_cbranch_execnz .LBB131_26
.LBB131_21:                             ;   in Loop: Header=BB131_4 Depth=1
	s_or_b32 exec_lo, exec_lo, s3
	s_and_saveexec_b32 s3, s5
	s_cbranch_execz .LBB131_3
	s_branch .LBB131_27
.LBB131_22:                             ;   in Loop: Header=BB131_4 Depth=1
	v_add_co_u32 v42, s6, v7, s16
	s_delay_alu instid0(VALU_DEP_1) | instskip(SKIP_1) | instid1(VALU_DEP_1)
	v_add_co_ci_u32_e64 v43, s6, s17, v8, s6
	v_add_co_u32 v44, s6, v9, s16
	v_add_co_ci_u32_e64 v45, s6, s17, v10, s6
	global_load_u16 v33, v[42:43], off
	global_load_u16 v39, v[44:45], off
	s_or_b32 exec_lo, exec_lo, s24
	v_mov_b32_e32 v42, 0
	s_and_saveexec_b32 s24, s5
	s_cbranch_execz .LBB131_18
.LBB131_23:                             ;   in Loop: Header=BB131_4 Depth=1
	v_add_co_u32 v42, s6, v11, s16
	s_delay_alu instid0(VALU_DEP_1)
	v_add_co_ci_u32_e64 v43, s6, s17, v12, s6
	global_load_u16 v42, v[42:43], off
	s_or_b32 exec_lo, exec_lo, s24
	s_and_saveexec_b32 s6, vcc_lo
	s_cbranch_execz .LBB131_19
.LBB131_24:                             ;   in Loop: Header=BB131_4 Depth=1
	s_waitcnt vmcnt(0)
	v_lshlrev_b32_e32 v35, 16, v35
	v_lshlrev_b32_e32 v38, 16, v38
	;; [unrolled: 1-line block ×3, first 2 shown]
	s_delay_alu instid0(VALU_DEP_2) | instskip(NEXT) | instid1(VALU_DEP_1)
	v_div_scale_f32 v43, null, v38, v38, v35
	v_rcp_f32_e32 v44, v43
	s_waitcnt_depctr 0xfff
	v_fma_f32 v45, -v43, v44, 1.0
	s_delay_alu instid0(VALU_DEP_1) | instskip(SKIP_1) | instid1(VALU_DEP_1)
	v_fmac_f32_e32 v44, v45, v44
	v_div_scale_f32 v46, vcc_lo, v35, v38, v35
	v_mul_f32_e32 v45, v46, v44
	s_delay_alu instid0(VALU_DEP_1) | instskip(NEXT) | instid1(VALU_DEP_1)
	v_fma_f32 v47, -v43, v45, v46
	v_fmac_f32_e32 v45, v47, v44
	s_delay_alu instid0(VALU_DEP_1) | instskip(NEXT) | instid1(VALU_DEP_1)
	v_fma_f32 v43, -v43, v45, v46
	v_div_fmas_f32 v43, v43, v44, v45
	s_delay_alu instid0(VALU_DEP_1) | instskip(NEXT) | instid1(VALU_DEP_1)
	v_div_fixup_f32 v35, v43, v38, v35
	v_add_f32_e32 v38, v35, v34
	v_fmac_f32_e32 v34, s7, v35
	s_delay_alu instid0(VALU_DEP_1) | instskip(NEXT) | instid1(VALU_DEP_1)
	v_cndmask_b32_e64 v34, v34, v38, s2
	v_bfe_u32 v35, v34, 16, 1
	v_cmp_o_f32_e32 vcc_lo, v34, v34
	s_delay_alu instid0(VALU_DEP_2) | instskip(NEXT) | instid1(VALU_DEP_1)
	v_add3_u32 v35, v34, v35, 0x7fff
	v_lshrrev_b32_e32 v35, 16, v35
	s_delay_alu instid0(VALU_DEP_1)
	v_cndmask_b32_e32 v38, 0x7fc0, v35, vcc_lo
	v_add_co_u32 v34, vcc_lo, v1, s16
	v_add_co_ci_u32_e32 v35, vcc_lo, s17, v2, vcc_lo
	global_store_b16 v[34:35], v38, off
	s_or_b32 exec_lo, exec_lo, s6
	s_and_saveexec_b32 s6, s3
	s_cbranch_execz .LBB131_20
.LBB131_25:                             ;   in Loop: Header=BB131_4 Depth=1
	s_waitcnt vmcnt(0)
	v_lshlrev_b32_e32 v34, 16, v36
	v_lshlrev_b32_e32 v35, 16, v40
	;; [unrolled: 1-line block ×3, first 2 shown]
	s_delay_alu instid0(VALU_DEP_2) | instskip(NEXT) | instid1(VALU_DEP_1)
	v_div_scale_f32 v36, null, v35, v35, v34
	v_rcp_f32_e32 v38, v36
	s_waitcnt_depctr 0xfff
	v_fma_f32 v40, -v36, v38, 1.0
	s_delay_alu instid0(VALU_DEP_1) | instskip(SKIP_1) | instid1(VALU_DEP_1)
	v_fmac_f32_e32 v38, v40, v38
	v_div_scale_f32 v43, vcc_lo, v34, v35, v34
	v_mul_f32_e32 v40, v43, v38
	s_delay_alu instid0(VALU_DEP_1) | instskip(NEXT) | instid1(VALU_DEP_1)
	v_fma_f32 v44, -v36, v40, v43
	v_fmac_f32_e32 v40, v44, v38
	s_delay_alu instid0(VALU_DEP_1) | instskip(NEXT) | instid1(VALU_DEP_1)
	v_fma_f32 v36, -v36, v40, v43
	v_div_fmas_f32 v36, v36, v38, v40
	s_delay_alu instid0(VALU_DEP_1) | instskip(NEXT) | instid1(VALU_DEP_1)
	v_div_fixup_f32 v34, v36, v35, v34
	v_add_f32_e32 v35, v34, v31
	v_fmac_f32_e32 v31, s7, v34
	s_delay_alu instid0(VALU_DEP_1) | instskip(NEXT) | instid1(VALU_DEP_1)
	v_cndmask_b32_e64 v31, v31, v35, s2
	v_bfe_u32 v34, v31, 16, 1
	s_delay_alu instid0(VALU_DEP_1) | instskip(NEXT) | instid1(VALU_DEP_1)
	v_add3_u32 v34, v31, v34, 0x7fff
	v_lshrrev_b32_e32 v36, 16, v34
	v_add_co_u32 v34, vcc_lo, v25, s16
	v_add_co_ci_u32_e32 v35, vcc_lo, s17, v26, vcc_lo
	v_cmp_o_f32_e32 vcc_lo, v31, v31
	s_delay_alu instid0(VALU_DEP_4)
	v_cndmask_b32_e32 v31, 0x7fc0, v36, vcc_lo
	global_store_b16 v[34:35], v31, off
	s_or_b32 exec_lo, exec_lo, s6
	s_and_saveexec_b32 s3, s4
	s_cbranch_execz .LBB131_21
.LBB131_26:                             ;   in Loop: Header=BB131_4 Depth=1
	s_waitcnt vmcnt(0)
	v_lshlrev_b32_e32 v31, 16, v37
	v_lshlrev_b32_e32 v34, 16, v41
	;; [unrolled: 1-line block ×3, first 2 shown]
	s_delay_alu instid0(VALU_DEP_2) | instskip(NEXT) | instid1(VALU_DEP_1)
	v_div_scale_f32 v35, null, v34, v34, v31
	v_rcp_f32_e32 v36, v35
	s_waitcnt_depctr 0xfff
	v_fma_f32 v37, -v35, v36, 1.0
	s_delay_alu instid0(VALU_DEP_1) | instskip(SKIP_1) | instid1(VALU_DEP_1)
	v_fmac_f32_e32 v36, v37, v36
	v_div_scale_f32 v38, vcc_lo, v31, v34, v31
	v_mul_f32_e32 v37, v38, v36
	s_delay_alu instid0(VALU_DEP_1) | instskip(NEXT) | instid1(VALU_DEP_1)
	v_fma_f32 v40, -v35, v37, v38
	v_fmac_f32_e32 v37, v40, v36
	s_delay_alu instid0(VALU_DEP_1) | instskip(NEXT) | instid1(VALU_DEP_1)
	v_fma_f32 v35, -v35, v37, v38
	v_div_fmas_f32 v35, v35, v36, v37
	s_delay_alu instid0(VALU_DEP_1) | instskip(NEXT) | instid1(VALU_DEP_1)
	v_div_fixup_f32 v31, v35, v34, v31
	v_add_f32_e32 v34, v31, v32
	v_fmac_f32_e32 v32, s7, v31
	s_delay_alu instid0(VALU_DEP_1) | instskip(NEXT) | instid1(VALU_DEP_1)
	v_cndmask_b32_e64 v34, v32, v34, s2
	v_bfe_u32 v31, v34, 16, 1
	s_delay_alu instid0(VALU_DEP_1) | instskip(NEXT) | instid1(VALU_DEP_1)
	v_add3_u32 v31, v34, v31, 0x7fff
	v_lshrrev_b32_e32 v35, 16, v31
	v_add_co_u32 v31, vcc_lo, v15, s16
	v_add_co_ci_u32_e32 v32, vcc_lo, s17, v16, vcc_lo
	v_cmp_o_f32_e32 vcc_lo, v34, v34
	s_delay_alu instid0(VALU_DEP_4)
	v_cndmask_b32_e32 v34, 0x7fc0, v35, vcc_lo
	global_store_b16 v[31:32], v34, off
	s_or_b32 exec_lo, exec_lo, s3
	s_and_saveexec_b32 s3, s5
	s_cbranch_execz .LBB131_3
.LBB131_27:                             ;   in Loop: Header=BB131_4 Depth=1
	s_waitcnt vmcnt(0)
	v_lshlrev_b32_e32 v31, 16, v39
	v_lshlrev_b32_e32 v32, 16, v42
	;; [unrolled: 1-line block ×3, first 2 shown]
	s_delay_alu instid0(VALU_DEP_2) | instskip(NEXT) | instid1(VALU_DEP_1)
	v_div_scale_f32 v34, null, v32, v32, v31
	v_rcp_f32_e32 v35, v34
	s_waitcnt_depctr 0xfff
	v_fma_f32 v36, -v34, v35, 1.0
	s_delay_alu instid0(VALU_DEP_1) | instskip(SKIP_1) | instid1(VALU_DEP_1)
	v_fmac_f32_e32 v35, v36, v35
	v_div_scale_f32 v37, vcc_lo, v31, v32, v31
	v_mul_f32_e32 v36, v37, v35
	s_delay_alu instid0(VALU_DEP_1) | instskip(NEXT) | instid1(VALU_DEP_1)
	v_fma_f32 v38, -v34, v36, v37
	v_fmac_f32_e32 v36, v38, v35
	s_delay_alu instid0(VALU_DEP_1) | instskip(NEXT) | instid1(VALU_DEP_1)
	v_fma_f32 v34, -v34, v36, v37
	v_div_fmas_f32 v34, v34, v35, v36
	s_delay_alu instid0(VALU_DEP_1) | instskip(NEXT) | instid1(VALU_DEP_1)
	v_div_fixup_f32 v31, v34, v32, v31
	v_dual_add_f32 v32, v31, v33 :: v_dual_fmac_f32 v33, s7, v31
	s_delay_alu instid0(VALU_DEP_1) | instskip(NEXT) | instid1(VALU_DEP_1)
	v_cndmask_b32_e64 v33, v33, v32, s2
	v_bfe_u32 v31, v33, 16, 1
	s_delay_alu instid0(VALU_DEP_1) | instskip(NEXT) | instid1(VALU_DEP_1)
	v_add3_u32 v31, v33, v31, 0x7fff
	v_lshrrev_b32_e32 v34, 16, v31
	v_add_co_u32 v31, vcc_lo, v7, s16
	v_add_co_ci_u32_e32 v32, vcc_lo, s17, v8, vcc_lo
	v_cmp_o_f32_e32 vcc_lo, v33, v33
	s_delay_alu instid0(VALU_DEP_4)
	v_cndmask_b32_e32 v33, 0x7fc0, v34, vcc_lo
	global_store_b16 v[31:32], v33, off
	s_branch .LBB131_3
.LBB131_28:
	s_mov_b32 s2, 0
.LBB131_29:
	s_delay_alu instid0(SALU_CYCLE_1)
	s_and_not1_b32 vcc_lo, exec_lo, s2
	s_cbranch_vccnz .LBB131_33
; %bb.30:
	v_dual_mov_b32 v2, 0 :: v_dual_lshlrev_b32 v1, 2, v0
	s_mov_b32 s18, 0
	s_mov_b32 s2, exec_lo
	s_delay_alu instid0(VALU_DEP_1)
	v_cmpx_gt_i64_e64 s[14:15], v[1:2]
	s_cbranch_execz .LBB131_33
; %bb.31:
	s_load_b32 s1, s[0:1], 0xd14
	v_lshlrev_b32_e32 v1, 3, v0
	v_cmp_eq_f32_e64 s0, s7, 1.0
	s_delay_alu instid0(VALU_DEP_2) | instskip(NEXT) | instid1(VALU_DEP_1)
	v_add_co_u32 v3, s2, s16, v1
	v_add_co_ci_u32_e64 v4, null, s17, 0, s2
	s_waitcnt lgkmcnt(0)
	s_and_b32 s1, s1, 0xffff
	s_delay_alu instid0(SALU_CYCLE_1)
	v_add_lshl_u32 v1, v0, s1, 2
	s_lshl_b32 s16, s1, 3
	s_lshl_b32 s17, s1, 2
.LBB131_32:                             ; =>This Inner Loop Header: Depth=1
	v_add_co_u32 v5, vcc_lo, s8, v3
	v_add_co_ci_u32_e32 v6, vcc_lo, s9, v4, vcc_lo
	v_add_co_u32 v7, vcc_lo, s10, v3
	v_add_co_ci_u32_e32 v8, vcc_lo, s11, v4, vcc_lo
	;; [unrolled: 2-line block ×3, first 2 shown]
	global_load_b64 v[5:6], v[5:6], off
	global_load_b64 v[7:8], v[7:8], off
	;; [unrolled: 1-line block ×3, first 2 shown]
	v_add_co_u32 v3, vcc_lo, v3, s16
	v_add_co_ci_u32_e32 v4, vcc_lo, 0, v4, vcc_lo
	v_cmp_le_i64_e64 s1, s[14:15], v[1:2]
	v_cmp_lt_u64_e64 s2, 0xffff, v[1:2]
	v_add_co_u32 v1, s3, v1, s17
	s_delay_alu instid0(VALU_DEP_2) | instskip(NEXT) | instid1(SALU_CYCLE_1)
	s_or_b32 s1, s1, s2
	s_and_b32 s1, exec_lo, s1
	s_delay_alu instid0(SALU_CYCLE_1)
	s_or_b32 s18, s1, s18
	s_waitcnt vmcnt(2)
	v_lshlrev_b32_e32 v13, 16, v5
	s_waitcnt vmcnt(1)
	v_lshlrev_b32_e32 v14, 16, v7
	v_and_b32_e32 v16, 0xffff0000, v5
	v_and_b32_e32 v17, 0xffff0000, v7
	v_alignbit_b32 v5, v6, v5, 16
	v_alignbit_b32 v7, v8, v7, 16
	v_and_b32_e32 v8, 0xffff0000, v8
	v_div_scale_f32 v18, null, v14, v14, v13
	s_delay_alu instid0(VALU_DEP_4) | instskip(NEXT) | instid1(VALU_DEP_4)
	v_and_b32_e32 v5, 0xffff0000, v5
	v_and_b32_e32 v7, 0xffff0000, v7
	s_delay_alu instid0(VALU_DEP_3) | instskip(NEXT) | instid1(VALU_DEP_1)
	v_rcp_f32_e32 v24, v18
	v_div_scale_f32 v28, s6, v5, v7, v5
	v_and_b32_e32 v6, 0xffff0000, v6
	s_delay_alu instid0(VALU_DEP_1) | instskip(SKIP_3) | instid1(VALU_DEP_1)
	v_div_scale_f32 v22, null, v8, v8, v6
	s_waitcnt_depctr 0xfff
	v_fma_f32 v30, -v18, v24, 1.0
	v_rcp_f32_e32 v27, v22
	v_fmac_f32_e32 v24, v30, v24
	v_div_scale_f32 v19, vcc_lo, v13, v14, v13
	s_waitcnt_depctr 0xfff
	v_fma_f32 v32, -v22, v27, 1.0
	s_delay_alu instid0(VALU_DEP_1) | instskip(SKIP_2) | instid1(VALU_DEP_2)
	v_fmac_f32_e32 v27, v32, v27
	v_div_scale_f32 v20, null, v17, v17, v16
	v_div_scale_f32 v21, s4, v16, v17, v16
	v_rcp_f32_e32 v25, v20
	s_waitcnt_depctr 0xfff
	v_fma_f32 v31, -v20, v25, 1.0
	s_waitcnt vmcnt(0)
	s_delay_alu instid0(VALU_DEP_1) | instskip(SKIP_3) | instid1(VALU_DEP_4)
	v_dual_fmac_f32 v25, v31, v25 :: v_dual_lshlrev_b32 v0, 16, v11
	v_mul_f32_e32 v31, v19, v24
	v_and_b32_e32 v15, 0xffff0000, v11
	v_alignbit_b32 v11, v12, v11, 16
	v_mul_f32_e32 v32, v21, v25
	s_delay_alu instid0(VALU_DEP_4) | instskip(NEXT) | instid1(VALU_DEP_2)
	v_fma_f32 v33, -v18, v31, v19
	v_fma_f32 v34, -v20, v32, v21
	s_delay_alu instid0(VALU_DEP_1) | instskip(NEXT) | instid1(VALU_DEP_1)
	v_dual_fmac_f32 v31, v33, v24 :: v_dual_fmac_f32 v32, v34, v25
	v_fma_f32 v18, -v18, v31, v19
	s_delay_alu instid0(VALU_DEP_2) | instskip(NEXT) | instid1(VALU_DEP_2)
	v_fma_f32 v19, -v20, v32, v21
	v_div_fmas_f32 v18, v18, v24, v31
	s_mov_b32 vcc_lo, s4
	s_delay_alu instid0(VALU_DEP_2) | instskip(NEXT) | instid1(VALU_DEP_2)
	v_div_fmas_f32 v19, v19, v25, v32
	v_div_fixup_f32 v13, v18, v14, v13
	v_and_b32_e32 v11, 0xffff0000, v11
	s_mov_b32 vcc_lo, s6
	s_delay_alu instid0(VALU_DEP_3) | instskip(NEXT) | instid1(VALU_DEP_3)
	v_div_fixup_f32 v16, v19, v17, v16
	v_add_f32_e32 v18, v13, v0
	v_fmac_f32_e32 v0, s7, v13
	v_div_scale_f32 v26, null, v7, v7, v5
	s_delay_alu instid0(VALU_DEP_2) | instskip(NEXT) | instid1(VALU_DEP_2)
	v_cndmask_b32_e64 v0, v0, v18, s0
	v_rcp_f32_e32 v29, v26
	s_waitcnt_depctr 0xfff
	v_fma_f32 v30, -v26, v29, 1.0
	s_delay_alu instid0(VALU_DEP_1) | instskip(NEXT) | instid1(VALU_DEP_1)
	v_dual_fmac_f32 v29, v30, v29 :: v_dual_and_b32 v12, 0xffff0000, v12
	v_mul_f32_e32 v35, v28, v29
	s_delay_alu instid0(VALU_DEP_1) | instskip(NEXT) | instid1(VALU_DEP_1)
	v_fma_f32 v33, -v26, v35, v28
	v_fmac_f32_e32 v35, v33, v29
	v_div_scale_f32 v23, s5, v6, v8, v6
	s_delay_alu instid0(VALU_DEP_2) | instskip(NEXT) | instid1(VALU_DEP_2)
	v_fma_f32 v21, -v26, v35, v28
	v_mul_f32_e32 v30, v23, v27
	s_delay_alu instid0(VALU_DEP_2) | instskip(NEXT) | instid1(VALU_DEP_2)
	v_div_fmas_f32 v14, v21, v29, v35
	v_fma_f32 v36, -v22, v30, v23
	s_mov_b32 vcc_lo, s5
	s_delay_alu instid0(VALU_DEP_2) | instskip(NEXT) | instid1(VALU_DEP_2)
	v_div_fixup_f32 v5, v14, v7, v5
	v_fmac_f32_e32 v30, v36, v27
	s_delay_alu instid0(VALU_DEP_1) | instskip(NEXT) | instid1(VALU_DEP_1)
	v_fma_f32 v20, -v22, v30, v23
	v_div_fmas_f32 v17, v20, v27, v30
	v_cmp_o_f32_e32 vcc_lo, v0, v0
	s_delay_alu instid0(VALU_DEP_2) | instskip(SKIP_3) | instid1(VALU_DEP_4)
	v_div_fixup_f32 v6, v17, v8, v6
	v_add_f32_e32 v7, v16, v15
	v_dual_fmac_f32 v15, s7, v16 :: v_dual_add_f32 v8, v5, v11
	v_fmac_f32_e32 v11, s7, v5
	v_dual_add_f32 v5, v6, v12 :: v_dual_fmac_f32 v12, s7, v6
	s_delay_alu instid0(VALU_DEP_3) | instskip(SKIP_1) | instid1(VALU_DEP_3)
	v_cndmask_b32_e64 v6, v15, v7, s0
	v_bfe_u32 v7, v0, 16, 1
	v_cndmask_b32_e64 v5, v12, v5, s0
	s_delay_alu instid0(VALU_DEP_3) | instskip(NEXT) | instid1(VALU_DEP_3)
	v_cmp_o_f32_e64 s4, v6, v6
	v_add3_u32 v7, v0, v7, 0x7fff
	s_delay_alu instid0(VALU_DEP_3) | instskip(NEXT) | instid1(VALU_DEP_2)
	v_bfe_u32 v13, v5, 16, 1
	v_lshrrev_b32_e32 v7, 16, v7
	s_delay_alu instid0(VALU_DEP_2) | instskip(NEXT) | instid1(VALU_DEP_1)
	v_add3_u32 v0, v5, v13, 0x7fff
	v_and_b32_e32 v0, 0xffff0000, v0
	v_cndmask_b32_e64 v8, v11, v8, s0
	v_bfe_u32 v11, v6, 16, 1
	s_delay_alu instid0(VALU_DEP_2) | instskip(NEXT) | instid1(VALU_DEP_2)
	v_bfe_u32 v12, v8, 16, 1
	v_add3_u32 v11, v6, v11, 0x7fff
	v_cndmask_b32_e32 v6, 0x7fc0, v7, vcc_lo
	v_cmp_o_f32_e32 vcc_lo, v8, v8
	s_delay_alu instid0(VALU_DEP_4) | instskip(NEXT) | instid1(VALU_DEP_4)
	v_add3_u32 v12, v8, v12, 0x7fff
	v_and_b32_e32 v11, 0xffff0000, v11
	s_delay_alu instid0(VALU_DEP_2) | instskip(NEXT) | instid1(VALU_DEP_2)
	v_lshrrev_b32_e32 v7, 16, v12
	v_cndmask_b32_e64 v11, 0x7fc00000, v11, s4
	v_cmp_o_f32_e64 s4, v5, v5
	s_delay_alu instid0(VALU_DEP_3) | instskip(NEXT) | instid1(VALU_DEP_3)
	v_cndmask_b32_e32 v5, 0x7fc0, v7, vcc_lo
	v_or_b32_e32 v7, v6, v11
	s_delay_alu instid0(VALU_DEP_3) | instskip(SKIP_1) | instid1(VALU_DEP_2)
	v_cndmask_b32_e64 v0, 0x7fc00000, v0, s4
	v_add_co_ci_u32_e64 v2, vcc_lo, 0, v2, s3
	v_or3_b32 v6, 0, v5, v0
	s_delay_alu instid0(VALU_DEP_4)
	v_or3_b32 v5, v7, 0, 0
	global_store_b64 v[9:10], v[5:6], off
	s_and_not1_b32 exec_lo, exec_lo, s18
	s_cbranch_execnz .LBB131_32
.LBB131_33:
	s_nop 0
	s_sendmsg sendmsg(MSG_DEALLOC_VGPRS)
	s_endpgm
	.section	.rodata,"a",@progbits
	.p2align	6, 0x0
	.amdhsa_kernel _ZN2at6native12_GLOBAL__N_125multi_tensor_apply_kernelINS1_28TensorListScalarListMetadataIfLi3EEENS1_28PointwiseOpScalarListFunctorIN3c108BFloat16ELi3ELi3ELi0EEEJSt7dividesIfEEEEvT_T0_DpT1_
		.amdhsa_group_segment_fixed_size 0
		.amdhsa_private_segment_fixed_size 0
		.amdhsa_kernarg_size 3592
		.amdhsa_user_sgpr_count 15
		.amdhsa_user_sgpr_dispatch_ptr 0
		.amdhsa_user_sgpr_queue_ptr 0
		.amdhsa_user_sgpr_kernarg_segment_ptr 1
		.amdhsa_user_sgpr_dispatch_id 0
		.amdhsa_user_sgpr_private_segment_size 0
		.amdhsa_wavefront_size32 1
		.amdhsa_uses_dynamic_stack 0
		.amdhsa_enable_private_segment 0
		.amdhsa_system_sgpr_workgroup_id_x 1
		.amdhsa_system_sgpr_workgroup_id_y 0
		.amdhsa_system_sgpr_workgroup_id_z 0
		.amdhsa_system_sgpr_workgroup_info 0
		.amdhsa_system_vgpr_workitem_id 0
		.amdhsa_next_free_vgpr 48
		.amdhsa_next_free_sgpr 25
		.amdhsa_reserve_vcc 1
		.amdhsa_float_round_mode_32 0
		.amdhsa_float_round_mode_16_64 0
		.amdhsa_float_denorm_mode_32 3
		.amdhsa_float_denorm_mode_16_64 3
		.amdhsa_dx10_clamp 1
		.amdhsa_ieee_mode 1
		.amdhsa_fp16_overflow 0
		.amdhsa_workgroup_processor_mode 1
		.amdhsa_memory_ordered 1
		.amdhsa_forward_progress 0
		.amdhsa_shared_vgpr_count 0
		.amdhsa_exception_fp_ieee_invalid_op 0
		.amdhsa_exception_fp_denorm_src 0
		.amdhsa_exception_fp_ieee_div_zero 0
		.amdhsa_exception_fp_ieee_overflow 0
		.amdhsa_exception_fp_ieee_underflow 0
		.amdhsa_exception_fp_ieee_inexact 0
		.amdhsa_exception_int_div_zero 0
	.end_amdhsa_kernel
	.section	.text._ZN2at6native12_GLOBAL__N_125multi_tensor_apply_kernelINS1_28TensorListScalarListMetadataIfLi3EEENS1_28PointwiseOpScalarListFunctorIN3c108BFloat16ELi3ELi3ELi0EEEJSt7dividesIfEEEEvT_T0_DpT1_,"axG",@progbits,_ZN2at6native12_GLOBAL__N_125multi_tensor_apply_kernelINS1_28TensorListScalarListMetadataIfLi3EEENS1_28PointwiseOpScalarListFunctorIN3c108BFloat16ELi3ELi3ELi0EEEJSt7dividesIfEEEEvT_T0_DpT1_,comdat
.Lfunc_end131:
	.size	_ZN2at6native12_GLOBAL__N_125multi_tensor_apply_kernelINS1_28TensorListScalarListMetadataIfLi3EEENS1_28PointwiseOpScalarListFunctorIN3c108BFloat16ELi3ELi3ELi0EEEJSt7dividesIfEEEEvT_T0_DpT1_, .Lfunc_end131-_ZN2at6native12_GLOBAL__N_125multi_tensor_apply_kernelINS1_28TensorListScalarListMetadataIfLi3EEENS1_28PointwiseOpScalarListFunctorIN3c108BFloat16ELi3ELi3ELi0EEEJSt7dividesIfEEEEvT_T0_DpT1_
                                        ; -- End function
	.section	.AMDGPU.csdata,"",@progbits
; Kernel info:
; codeLenInByte = 3368
; NumSgprs: 27
; NumVgprs: 48
; ScratchSize: 0
; MemoryBound: 0
; FloatMode: 240
; IeeeMode: 1
; LDSByteSize: 0 bytes/workgroup (compile time only)
; SGPRBlocks: 3
; VGPRBlocks: 5
; NumSGPRsForWavesPerEU: 27
; NumVGPRsForWavesPerEU: 48
; Occupancy: 16
; WaveLimiterHint : 0
; COMPUTE_PGM_RSRC2:SCRATCH_EN: 0
; COMPUTE_PGM_RSRC2:USER_SGPR: 15
; COMPUTE_PGM_RSRC2:TRAP_HANDLER: 0
; COMPUTE_PGM_RSRC2:TGID_X_EN: 1
; COMPUTE_PGM_RSRC2:TGID_Y_EN: 0
; COMPUTE_PGM_RSRC2:TGID_Z_EN: 0
; COMPUTE_PGM_RSRC2:TIDIG_COMP_CNT: 0
	.text
	.p2alignl 7, 3214868480
	.fill 96, 4, 3214868480
	.type	__hip_cuid_ecafc7a4da6a3189,@object ; @__hip_cuid_ecafc7a4da6a3189
	.section	.bss,"aw",@nobits
	.globl	__hip_cuid_ecafc7a4da6a3189
__hip_cuid_ecafc7a4da6a3189:
	.byte	0                               ; 0x0
	.size	__hip_cuid_ecafc7a4da6a3189, 1

	.ident	"AMD clang version 19.0.0git (https://github.com/RadeonOpenCompute/llvm-project roc-6.4.0 25133 c7fe45cf4b819c5991fe208aaa96edf142730f1d)"
	.section	".note.GNU-stack","",@progbits
	.addrsig
	.addrsig_sym __hip_cuid_ecafc7a4da6a3189
	.amdgpu_metadata
---
amdhsa.kernels:
  - .args:
      - .offset:         0
        .size:           3048
        .value_kind:     by_value
      - .offset:         3048
        .size:           1
        .value_kind:     by_value
      - .offset:         3049
        .size:           1
        .value_kind:     by_value
      - .offset:         3050
        .size:           1
        .value_kind:     by_value
      - .offset:         3056
        .size:           4
        .value_kind:     hidden_block_count_x
      - .offset:         3060
        .size:           4
        .value_kind:     hidden_block_count_y
      - .offset:         3064
        .size:           4
        .value_kind:     hidden_block_count_z
      - .offset:         3068
        .size:           2
        .value_kind:     hidden_group_size_x
      - .offset:         3070
        .size:           2
        .value_kind:     hidden_group_size_y
      - .offset:         3072
        .size:           2
        .value_kind:     hidden_group_size_z
      - .offset:         3074
        .size:           2
        .value_kind:     hidden_remainder_x
      - .offset:         3076
        .size:           2
        .value_kind:     hidden_remainder_y
      - .offset:         3078
        .size:           2
        .value_kind:     hidden_remainder_z
      - .offset:         3096
        .size:           8
        .value_kind:     hidden_global_offset_x
      - .offset:         3104
        .size:           8
        .value_kind:     hidden_global_offset_y
      - .offset:         3112
        .size:           8
        .value_kind:     hidden_global_offset_z
      - .offset:         3120
        .size:           2
        .value_kind:     hidden_grid_dims
    .group_segment_fixed_size: 0
    .kernarg_segment_align: 8
    .kernarg_segment_size: 3312
    .language:       OpenCL C
    .language_version:
      - 2
      - 0
    .max_flat_workgroup_size: 512
    .name:           _ZN2at6native12_GLOBAL__N_125multi_tensor_apply_kernelINS1_18TensorListMetadataILi4EEENS1_24PointwiseOpScalarFunctorIhLi4ELi3ELi3EEEJSt10multipliesIhEhEEEvT_T0_DpT1_
    .private_segment_fixed_size: 0
    .sgpr_count:     33
    .sgpr_spill_count: 0
    .symbol:         _ZN2at6native12_GLOBAL__N_125multi_tensor_apply_kernelINS1_18TensorListMetadataILi4EEENS1_24PointwiseOpScalarFunctorIhLi4ELi3ELi3EEEJSt10multipliesIhEhEEEvT_T0_DpT1_.kd
    .uniform_work_group_size: 1
    .uses_dynamic_stack: false
    .vgpr_count:     53
    .vgpr_spill_count: 0
    .wavefront_size: 32
    .workgroup_processor_mode: 1
  - .args:
      - .offset:         0
        .size:           3048
        .value_kind:     by_value
      - .offset:         3048
        .size:           1
        .value_kind:     by_value
      - .offset:         3049
        .size:           1
        .value_kind:     by_value
      - .offset:         3050
        .size:           1
        .value_kind:     by_value
      - .offset:         3056
        .size:           4
        .value_kind:     hidden_block_count_x
      - .offset:         3060
        .size:           4
        .value_kind:     hidden_block_count_y
      - .offset:         3064
        .size:           4
        .value_kind:     hidden_block_count_z
      - .offset:         3068
        .size:           2
        .value_kind:     hidden_group_size_x
      - .offset:         3070
        .size:           2
        .value_kind:     hidden_group_size_y
      - .offset:         3072
        .size:           2
        .value_kind:     hidden_group_size_z
      - .offset:         3074
        .size:           2
        .value_kind:     hidden_remainder_x
      - .offset:         3076
        .size:           2
        .value_kind:     hidden_remainder_y
      - .offset:         3078
        .size:           2
        .value_kind:     hidden_remainder_z
      - .offset:         3096
        .size:           8
        .value_kind:     hidden_global_offset_x
      - .offset:         3104
        .size:           8
        .value_kind:     hidden_global_offset_y
      - .offset:         3112
        .size:           8
        .value_kind:     hidden_global_offset_z
      - .offset:         3120
        .size:           2
        .value_kind:     hidden_grid_dims
    .group_segment_fixed_size: 0
    .kernarg_segment_align: 8
    .kernarg_segment_size: 3312
    .language:       OpenCL C
    .language_version:
      - 2
      - 0
    .max_flat_workgroup_size: 512
    .name:           _ZN2at6native12_GLOBAL__N_125multi_tensor_apply_kernelINS1_18TensorListMetadataILi4EEENS1_24PointwiseOpScalarFunctorIaLi4ELi3ELi3EEEJSt10multipliesIaEaEEEvT_T0_DpT1_
    .private_segment_fixed_size: 0
    .sgpr_count:     33
    .sgpr_spill_count: 0
    .symbol:         _ZN2at6native12_GLOBAL__N_125multi_tensor_apply_kernelINS1_18TensorListMetadataILi4EEENS1_24PointwiseOpScalarFunctorIaLi4ELi3ELi3EEEJSt10multipliesIaEaEEEvT_T0_DpT1_.kd
    .uniform_work_group_size: 1
    .uses_dynamic_stack: false
    .vgpr_count:     53
    .vgpr_spill_count: 0
    .wavefront_size: 32
    .workgroup_processor_mode: 1
  - .args:
      - .offset:         0
        .size:           3048
        .value_kind:     by_value
      - .offset:         3048
        .size:           1
        .value_kind:     by_value
      - .offset:         3049
        .size:           1
        .value_kind:     by_value
      - .offset:         3052
        .size:           4
        .value_kind:     by_value
      - .offset:         3056
        .size:           4
        .value_kind:     hidden_block_count_x
      - .offset:         3060
        .size:           4
        .value_kind:     hidden_block_count_y
      - .offset:         3064
        .size:           4
        .value_kind:     hidden_block_count_z
      - .offset:         3068
        .size:           2
        .value_kind:     hidden_group_size_x
      - .offset:         3070
        .size:           2
        .value_kind:     hidden_group_size_y
      - .offset:         3072
        .size:           2
        .value_kind:     hidden_group_size_z
      - .offset:         3074
        .size:           2
        .value_kind:     hidden_remainder_x
      - .offset:         3076
        .size:           2
        .value_kind:     hidden_remainder_y
      - .offset:         3078
        .size:           2
        .value_kind:     hidden_remainder_z
      - .offset:         3096
        .size:           8
        .value_kind:     hidden_global_offset_x
      - .offset:         3104
        .size:           8
        .value_kind:     hidden_global_offset_y
      - .offset:         3112
        .size:           8
        .value_kind:     hidden_global_offset_z
      - .offset:         3120
        .size:           2
        .value_kind:     hidden_grid_dims
    .group_segment_fixed_size: 0
    .kernarg_segment_align: 8
    .kernarg_segment_size: 3312
    .language:       OpenCL C
    .language_version:
      - 2
      - 0
    .max_flat_workgroup_size: 512
    .name:           _ZN2at6native12_GLOBAL__N_125multi_tensor_apply_kernelINS1_18TensorListMetadataILi4EEENS1_24PointwiseOpScalarFunctorIiLi4ELi3ELi3EEEJSt10multipliesIiEiEEEvT_T0_DpT1_
    .private_segment_fixed_size: 0
    .sgpr_count:     31
    .sgpr_spill_count: 0
    .symbol:         _ZN2at6native12_GLOBAL__N_125multi_tensor_apply_kernelINS1_18TensorListMetadataILi4EEENS1_24PointwiseOpScalarFunctorIiLi4ELi3ELi3EEEJSt10multipliesIiEiEEEvT_T0_DpT1_.kd
    .uniform_work_group_size: 1
    .uses_dynamic_stack: false
    .vgpr_count:     53
    .vgpr_spill_count: 0
    .wavefront_size: 32
    .workgroup_processor_mode: 1
  - .args:
      - .offset:         0
        .size:           3048
        .value_kind:     by_value
      - .offset:         3048
        .size:           1
        .value_kind:     by_value
      - .offset:         3049
        .size:           1
        .value_kind:     by_value
      - .offset:         3056
        .size:           8
        .value_kind:     by_value
      - .offset:         3064
        .size:           4
        .value_kind:     hidden_block_count_x
      - .offset:         3068
        .size:           4
        .value_kind:     hidden_block_count_y
      - .offset:         3072
        .size:           4
        .value_kind:     hidden_block_count_z
      - .offset:         3076
        .size:           2
        .value_kind:     hidden_group_size_x
      - .offset:         3078
        .size:           2
        .value_kind:     hidden_group_size_y
      - .offset:         3080
        .size:           2
        .value_kind:     hidden_group_size_z
      - .offset:         3082
        .size:           2
        .value_kind:     hidden_remainder_x
      - .offset:         3084
        .size:           2
        .value_kind:     hidden_remainder_y
      - .offset:         3086
        .size:           2
        .value_kind:     hidden_remainder_z
      - .offset:         3104
        .size:           8
        .value_kind:     hidden_global_offset_x
      - .offset:         3112
        .size:           8
        .value_kind:     hidden_global_offset_y
      - .offset:         3120
        .size:           8
        .value_kind:     hidden_global_offset_z
      - .offset:         3128
        .size:           2
        .value_kind:     hidden_grid_dims
    .group_segment_fixed_size: 0
    .kernarg_segment_align: 8
    .kernarg_segment_size: 3320
    .language:       OpenCL C
    .language_version:
      - 2
      - 0
    .max_flat_workgroup_size: 512
    .name:           _ZN2at6native12_GLOBAL__N_125multi_tensor_apply_kernelINS1_18TensorListMetadataILi4EEENS1_24PointwiseOpScalarFunctorIlLi4ELi3ELi3EEEJSt10multipliesIlElEEEvT_T0_DpT1_
    .private_segment_fixed_size: 0
    .sgpr_count:     32
    .sgpr_spill_count: 0
    .symbol:         _ZN2at6native12_GLOBAL__N_125multi_tensor_apply_kernelINS1_18TensorListMetadataILi4EEENS1_24PointwiseOpScalarFunctorIlLi4ELi3ELi3EEEJSt10multipliesIlElEEEvT_T0_DpT1_.kd
    .uniform_work_group_size: 1
    .uses_dynamic_stack: false
    .vgpr_count:     66
    .vgpr_spill_count: 0
    .wavefront_size: 32
    .workgroup_processor_mode: 1
  - .args:
      - .offset:         0
        .size:           3048
        .value_kind:     by_value
      - .offset:         3048
        .size:           1
        .value_kind:     by_value
      - .offset:         3049
        .size:           1
        .value_kind:     by_value
      - .offset:         3050
        .size:           2
        .value_kind:     by_value
      - .offset:         3056
        .size:           4
        .value_kind:     hidden_block_count_x
      - .offset:         3060
        .size:           4
        .value_kind:     hidden_block_count_y
      - .offset:         3064
        .size:           4
        .value_kind:     hidden_block_count_z
      - .offset:         3068
        .size:           2
        .value_kind:     hidden_group_size_x
      - .offset:         3070
        .size:           2
        .value_kind:     hidden_group_size_y
      - .offset:         3072
        .size:           2
        .value_kind:     hidden_group_size_z
      - .offset:         3074
        .size:           2
        .value_kind:     hidden_remainder_x
      - .offset:         3076
        .size:           2
        .value_kind:     hidden_remainder_y
      - .offset:         3078
        .size:           2
        .value_kind:     hidden_remainder_z
      - .offset:         3096
        .size:           8
        .value_kind:     hidden_global_offset_x
      - .offset:         3104
        .size:           8
        .value_kind:     hidden_global_offset_y
      - .offset:         3112
        .size:           8
        .value_kind:     hidden_global_offset_z
      - .offset:         3120
        .size:           2
        .value_kind:     hidden_grid_dims
    .group_segment_fixed_size: 0
    .kernarg_segment_align: 8
    .kernarg_segment_size: 3312
    .language:       OpenCL C
    .language_version:
      - 2
      - 0
    .max_flat_workgroup_size: 512
    .name:           _ZN2at6native12_GLOBAL__N_125multi_tensor_apply_kernelINS1_18TensorListMetadataILi4EEENS1_24PointwiseOpScalarFunctorIsLi4ELi3ELi3EEEJSt10multipliesIsEsEEEvT_T0_DpT1_
    .private_segment_fixed_size: 0
    .sgpr_count:     28
    .sgpr_spill_count: 0
    .symbol:         _ZN2at6native12_GLOBAL__N_125multi_tensor_apply_kernelINS1_18TensorListMetadataILi4EEENS1_24PointwiseOpScalarFunctorIsLi4ELi3ELi3EEEJSt10multipliesIsEsEEEvT_T0_DpT1_.kd
    .uniform_work_group_size: 1
    .uses_dynamic_stack: false
    .vgpr_count:     53
    .vgpr_spill_count: 0
    .wavefront_size: 32
    .workgroup_processor_mode: 1
  - .args:
      - .offset:         0
        .size:           3048
        .value_kind:     by_value
      - .offset:         3048
        .size:           1
        .value_kind:     by_value
      - .offset:         3049
        .size:           1
        .value_kind:     by_value
      - .offset:         3056
        .size:           8
        .value_kind:     by_value
      - .offset:         3064
        .size:           4
        .value_kind:     hidden_block_count_x
      - .offset:         3068
        .size:           4
        .value_kind:     hidden_block_count_y
      - .offset:         3072
        .size:           4
        .value_kind:     hidden_block_count_z
      - .offset:         3076
        .size:           2
        .value_kind:     hidden_group_size_x
      - .offset:         3078
        .size:           2
        .value_kind:     hidden_group_size_y
      - .offset:         3080
        .size:           2
        .value_kind:     hidden_group_size_z
      - .offset:         3082
        .size:           2
        .value_kind:     hidden_remainder_x
      - .offset:         3084
        .size:           2
        .value_kind:     hidden_remainder_y
      - .offset:         3086
        .size:           2
        .value_kind:     hidden_remainder_z
      - .offset:         3104
        .size:           8
        .value_kind:     hidden_global_offset_x
      - .offset:         3112
        .size:           8
        .value_kind:     hidden_global_offset_y
      - .offset:         3120
        .size:           8
        .value_kind:     hidden_global_offset_z
      - .offset:         3128
        .size:           2
        .value_kind:     hidden_grid_dims
    .group_segment_fixed_size: 0
    .kernarg_segment_align: 8
    .kernarg_segment_size: 3320
    .language:       OpenCL C
    .language_version:
      - 2
      - 0
    .max_flat_workgroup_size: 512
    .name:           _ZN2at6native12_GLOBAL__N_125multi_tensor_apply_kernelINS1_18TensorListMetadataILi4EEENS1_24PointwiseOpScalarFunctorIdLi4ELi3ELi3EEEJSt10multipliesIdEdEEEvT_T0_DpT1_
    .private_segment_fixed_size: 0
    .sgpr_count:     33
    .sgpr_spill_count: 0
    .symbol:         _ZN2at6native12_GLOBAL__N_125multi_tensor_apply_kernelINS1_18TensorListMetadataILi4EEENS1_24PointwiseOpScalarFunctorIdLi4ELi3ELi3EEEJSt10multipliesIdEdEEEvT_T0_DpT1_.kd
    .uniform_work_group_size: 1
    .uses_dynamic_stack: false
    .vgpr_count:     65
    .vgpr_spill_count: 0
    .wavefront_size: 32
    .workgroup_processor_mode: 1
  - .args:
      - .offset:         0
        .size:           3048
        .value_kind:     by_value
      - .offset:         3048
        .size:           1
        .value_kind:     by_value
      - .offset:         3049
        .size:           1
        .value_kind:     by_value
      - .offset:         3052
        .size:           4
        .value_kind:     by_value
      - .offset:         3056
        .size:           4
        .value_kind:     hidden_block_count_x
      - .offset:         3060
        .size:           4
        .value_kind:     hidden_block_count_y
      - .offset:         3064
        .size:           4
        .value_kind:     hidden_block_count_z
      - .offset:         3068
        .size:           2
        .value_kind:     hidden_group_size_x
      - .offset:         3070
        .size:           2
        .value_kind:     hidden_group_size_y
      - .offset:         3072
        .size:           2
        .value_kind:     hidden_group_size_z
      - .offset:         3074
        .size:           2
        .value_kind:     hidden_remainder_x
      - .offset:         3076
        .size:           2
        .value_kind:     hidden_remainder_y
      - .offset:         3078
        .size:           2
        .value_kind:     hidden_remainder_z
      - .offset:         3096
        .size:           8
        .value_kind:     hidden_global_offset_x
      - .offset:         3104
        .size:           8
        .value_kind:     hidden_global_offset_y
      - .offset:         3112
        .size:           8
        .value_kind:     hidden_global_offset_z
      - .offset:         3120
        .size:           2
        .value_kind:     hidden_grid_dims
    .group_segment_fixed_size: 0
    .kernarg_segment_align: 8
    .kernarg_segment_size: 3312
    .language:       OpenCL C
    .language_version:
      - 2
      - 0
    .max_flat_workgroup_size: 512
    .name:           _ZN2at6native12_GLOBAL__N_125multi_tensor_apply_kernelINS1_18TensorListMetadataILi4EEENS1_24PointwiseOpScalarFunctorIfLi4ELi3ELi3EEEJSt10multipliesIfEfEEEvT_T0_DpT1_
    .private_segment_fixed_size: 0
    .sgpr_count:     32
    .sgpr_spill_count: 0
    .symbol:         _ZN2at6native12_GLOBAL__N_125multi_tensor_apply_kernelINS1_18TensorListMetadataILi4EEENS1_24PointwiseOpScalarFunctorIfLi4ELi3ELi3EEEJSt10multipliesIfEfEEEvT_T0_DpT1_.kd
    .uniform_work_group_size: 1
    .uses_dynamic_stack: false
    .vgpr_count:     54
    .vgpr_spill_count: 0
    .wavefront_size: 32
    .workgroup_processor_mode: 1
  - .args:
      - .offset:         0
        .size:           3048
        .value_kind:     by_value
      - .offset:         3048
        .size:           1
        .value_kind:     by_value
      - .offset:         3049
        .size:           1
        .value_kind:     by_value
      - .offset:         3056
        .size:           16
        .value_kind:     by_value
      - .offset:         3072
        .size:           4
        .value_kind:     hidden_block_count_x
      - .offset:         3076
        .size:           4
        .value_kind:     hidden_block_count_y
      - .offset:         3080
        .size:           4
        .value_kind:     hidden_block_count_z
      - .offset:         3084
        .size:           2
        .value_kind:     hidden_group_size_x
      - .offset:         3086
        .size:           2
        .value_kind:     hidden_group_size_y
      - .offset:         3088
        .size:           2
        .value_kind:     hidden_group_size_z
      - .offset:         3090
        .size:           2
        .value_kind:     hidden_remainder_x
      - .offset:         3092
        .size:           2
        .value_kind:     hidden_remainder_y
      - .offset:         3094
        .size:           2
        .value_kind:     hidden_remainder_z
      - .offset:         3112
        .size:           8
        .value_kind:     hidden_global_offset_x
      - .offset:         3120
        .size:           8
        .value_kind:     hidden_global_offset_y
      - .offset:         3128
        .size:           8
        .value_kind:     hidden_global_offset_z
      - .offset:         3136
        .size:           2
        .value_kind:     hidden_grid_dims
    .group_segment_fixed_size: 0
    .kernarg_segment_align: 16
    .kernarg_segment_size: 3328
    .language:       OpenCL C
    .language_version:
      - 2
      - 0
    .max_flat_workgroup_size: 512
    .name:           _ZN2at6native12_GLOBAL__N_125multi_tensor_apply_kernelINS1_18TensorListMetadataILi4EEENS1_24PointwiseOpScalarFunctorIN3c107complexIdEELi4ELi3ELi3EEEJSt10multipliesIS8_ES8_EEEvT_T0_DpT1_
    .private_segment_fixed_size: 0
    .sgpr_count:     38
    .sgpr_spill_count: 0
    .symbol:         _ZN2at6native12_GLOBAL__N_125multi_tensor_apply_kernelINS1_18TensorListMetadataILi4EEENS1_24PointwiseOpScalarFunctorIN3c107complexIdEELi4ELi3ELi3EEEJSt10multipliesIS8_ES8_EEEvT_T0_DpT1_.kd
    .uniform_work_group_size: 1
    .uses_dynamic_stack: false
    .vgpr_count:     85
    .vgpr_spill_count: 0
    .wavefront_size: 32
    .workgroup_processor_mode: 1
  - .args:
      - .offset:         0
        .size:           3048
        .value_kind:     by_value
      - .offset:         3048
        .size:           1
        .value_kind:     by_value
      - .offset:         3049
        .size:           1
        .value_kind:     by_value
      - .offset:         3056
        .size:           8
        .value_kind:     by_value
      - .offset:         3064
        .size:           4
        .value_kind:     hidden_block_count_x
      - .offset:         3068
        .size:           4
        .value_kind:     hidden_block_count_y
      - .offset:         3072
        .size:           4
        .value_kind:     hidden_block_count_z
      - .offset:         3076
        .size:           2
        .value_kind:     hidden_group_size_x
      - .offset:         3078
        .size:           2
        .value_kind:     hidden_group_size_y
      - .offset:         3080
        .size:           2
        .value_kind:     hidden_group_size_z
      - .offset:         3082
        .size:           2
        .value_kind:     hidden_remainder_x
      - .offset:         3084
        .size:           2
        .value_kind:     hidden_remainder_y
      - .offset:         3086
        .size:           2
        .value_kind:     hidden_remainder_z
      - .offset:         3104
        .size:           8
        .value_kind:     hidden_global_offset_x
      - .offset:         3112
        .size:           8
        .value_kind:     hidden_global_offset_y
      - .offset:         3120
        .size:           8
        .value_kind:     hidden_global_offset_z
      - .offset:         3128
        .size:           2
        .value_kind:     hidden_grid_dims
    .group_segment_fixed_size: 0
    .kernarg_segment_align: 8
    .kernarg_segment_size: 3320
    .language:       OpenCL C
    .language_version:
      - 2
      - 0
    .max_flat_workgroup_size: 512
    .name:           _ZN2at6native12_GLOBAL__N_125multi_tensor_apply_kernelINS1_18TensorListMetadataILi4EEENS1_24PointwiseOpScalarFunctorIN3c107complexIfEELi4ELi3ELi3EEEJSt10multipliesIS8_ES8_EEEvT_T0_DpT1_
    .private_segment_fixed_size: 0
    .sgpr_count:     36
    .sgpr_spill_count: 0
    .symbol:         _ZN2at6native12_GLOBAL__N_125multi_tensor_apply_kernelINS1_18TensorListMetadataILi4EEENS1_24PointwiseOpScalarFunctorIN3c107complexIfEELi4ELi3ELi3EEEJSt10multipliesIS8_ES8_EEEvT_T0_DpT1_.kd
    .uniform_work_group_size: 1
    .uses_dynamic_stack: false
    .vgpr_count:     60
    .vgpr_spill_count: 0
    .wavefront_size: 32
    .workgroup_processor_mode: 1
  - .args:
      - .offset:         0
        .size:           3048
        .value_kind:     by_value
      - .offset:         3048
        .size:           1
        .value_kind:     by_value
      - .offset:         3049
        .size:           1
        .value_kind:     by_value
      - .offset:         3052
        .size:           4
        .value_kind:     by_value
      - .offset:         3056
        .size:           4
        .value_kind:     hidden_block_count_x
      - .offset:         3060
        .size:           4
        .value_kind:     hidden_block_count_y
      - .offset:         3064
        .size:           4
        .value_kind:     hidden_block_count_z
      - .offset:         3068
        .size:           2
        .value_kind:     hidden_group_size_x
      - .offset:         3070
        .size:           2
        .value_kind:     hidden_group_size_y
      - .offset:         3072
        .size:           2
        .value_kind:     hidden_group_size_z
      - .offset:         3074
        .size:           2
        .value_kind:     hidden_remainder_x
      - .offset:         3076
        .size:           2
        .value_kind:     hidden_remainder_y
      - .offset:         3078
        .size:           2
        .value_kind:     hidden_remainder_z
      - .offset:         3096
        .size:           8
        .value_kind:     hidden_global_offset_x
      - .offset:         3104
        .size:           8
        .value_kind:     hidden_global_offset_y
      - .offset:         3112
        .size:           8
        .value_kind:     hidden_global_offset_z
      - .offset:         3120
        .size:           2
        .value_kind:     hidden_grid_dims
    .group_segment_fixed_size: 0
    .kernarg_segment_align: 8
    .kernarg_segment_size: 3312
    .language:       OpenCL C
    .language_version:
      - 2
      - 0
    .max_flat_workgroup_size: 512
    .name:           _ZN2at6native12_GLOBAL__N_125multi_tensor_apply_kernelINS1_18TensorListMetadataILi4EEENS1_24PointwiseOpScalarFunctorIN3c104HalfELi4ELi3ELi3EEEJSt10multipliesIfEfEEEvT_T0_DpT1_
    .private_segment_fixed_size: 0
    .sgpr_count:     33
    .sgpr_spill_count: 0
    .symbol:         _ZN2at6native12_GLOBAL__N_125multi_tensor_apply_kernelINS1_18TensorListMetadataILi4EEENS1_24PointwiseOpScalarFunctorIN3c104HalfELi4ELi3ELi3EEEJSt10multipliesIfEfEEEvT_T0_DpT1_.kd
    .uniform_work_group_size: 1
    .uses_dynamic_stack: false
    .vgpr_count:     54
    .vgpr_spill_count: 0
    .wavefront_size: 32
    .workgroup_processor_mode: 1
  - .args:
      - .offset:         0
        .size:           3048
        .value_kind:     by_value
      - .offset:         3048
        .size:           1
        .value_kind:     by_value
      - .offset:         3049
        .size:           1
        .value_kind:     by_value
      - .offset:         3052
        .size:           4
        .value_kind:     by_value
      - .offset:         3056
        .size:           4
        .value_kind:     hidden_block_count_x
      - .offset:         3060
        .size:           4
        .value_kind:     hidden_block_count_y
      - .offset:         3064
        .size:           4
        .value_kind:     hidden_block_count_z
      - .offset:         3068
        .size:           2
        .value_kind:     hidden_group_size_x
      - .offset:         3070
        .size:           2
        .value_kind:     hidden_group_size_y
      - .offset:         3072
        .size:           2
        .value_kind:     hidden_group_size_z
      - .offset:         3074
        .size:           2
        .value_kind:     hidden_remainder_x
      - .offset:         3076
        .size:           2
        .value_kind:     hidden_remainder_y
      - .offset:         3078
        .size:           2
        .value_kind:     hidden_remainder_z
      - .offset:         3096
        .size:           8
        .value_kind:     hidden_global_offset_x
      - .offset:         3104
        .size:           8
        .value_kind:     hidden_global_offset_y
      - .offset:         3112
        .size:           8
        .value_kind:     hidden_global_offset_z
      - .offset:         3120
        .size:           2
        .value_kind:     hidden_grid_dims
    .group_segment_fixed_size: 0
    .kernarg_segment_align: 8
    .kernarg_segment_size: 3312
    .language:       OpenCL C
    .language_version:
      - 2
      - 0
    .max_flat_workgroup_size: 512
    .name:           _ZN2at6native12_GLOBAL__N_125multi_tensor_apply_kernelINS1_18TensorListMetadataILi4EEENS1_24PointwiseOpScalarFunctorIN3c108BFloat16ELi4ELi3ELi3EEEJSt10multipliesIfEfEEEvT_T0_DpT1_
    .private_segment_fixed_size: 0
    .sgpr_count:     29
    .sgpr_spill_count: 0
    .symbol:         _ZN2at6native12_GLOBAL__N_125multi_tensor_apply_kernelINS1_18TensorListMetadataILi4EEENS1_24PointwiseOpScalarFunctorIN3c108BFloat16ELi4ELi3ELi3EEEJSt10multipliesIfEfEEEvT_T0_DpT1_.kd
    .uniform_work_group_size: 1
    .uses_dynamic_stack: false
    .vgpr_count:     54
    .vgpr_spill_count: 0
    .wavefront_size: 32
    .workgroup_processor_mode: 1
  - .args:
      - .offset:         0
        .size:           3048
        .value_kind:     by_value
      - .offset:         3048
        .size:           1
        .value_kind:     by_value
      - .offset:         3049
        .size:           1
        .value_kind:     by_value
      - .offset:         3050
        .size:           1
        .value_kind:     by_value
      - .offset:         3056
        .size:           4
        .value_kind:     hidden_block_count_x
      - .offset:         3060
        .size:           4
        .value_kind:     hidden_block_count_y
      - .offset:         3064
        .size:           4
        .value_kind:     hidden_block_count_z
      - .offset:         3068
        .size:           2
        .value_kind:     hidden_group_size_x
      - .offset:         3070
        .size:           2
        .value_kind:     hidden_group_size_y
      - .offset:         3072
        .size:           2
        .value_kind:     hidden_group_size_z
      - .offset:         3074
        .size:           2
        .value_kind:     hidden_remainder_x
      - .offset:         3076
        .size:           2
        .value_kind:     hidden_remainder_y
      - .offset:         3078
        .size:           2
        .value_kind:     hidden_remainder_z
      - .offset:         3096
        .size:           8
        .value_kind:     hidden_global_offset_x
      - .offset:         3104
        .size:           8
        .value_kind:     hidden_global_offset_y
      - .offset:         3112
        .size:           8
        .value_kind:     hidden_global_offset_z
      - .offset:         3120
        .size:           2
        .value_kind:     hidden_grid_dims
    .group_segment_fixed_size: 0
    .kernarg_segment_align: 8
    .kernarg_segment_size: 3312
    .language:       OpenCL C
    .language_version:
      - 2
      - 0
    .max_flat_workgroup_size: 512
    .name:           _ZN2at6native12_GLOBAL__N_125multi_tensor_apply_kernelINS1_18TensorListMetadataILi4EEENS1_32PointwiseOpScalar0dTensorFunctorIhLi4ELi2ELi3EEEJSt10multipliesIhEhEEEvT_T0_DpT1_
    .private_segment_fixed_size: 0
    .sgpr_count:     28
    .sgpr_spill_count: 0
    .symbol:         _ZN2at6native12_GLOBAL__N_125multi_tensor_apply_kernelINS1_18TensorListMetadataILi4EEENS1_32PointwiseOpScalar0dTensorFunctorIhLi4ELi2ELi3EEEJSt10multipliesIhEhEEEvT_T0_DpT1_.kd
    .uniform_work_group_size: 1
    .uses_dynamic_stack: false
    .vgpr_count:     45
    .vgpr_spill_count: 0
    .wavefront_size: 32
    .workgroup_processor_mode: 1
  - .args:
      - .offset:         0
        .size:           3048
        .value_kind:     by_value
      - .offset:         3048
        .size:           1
        .value_kind:     by_value
      - .offset:         3049
        .size:           1
        .value_kind:     by_value
      - .offset:         3050
        .size:           1
        .value_kind:     by_value
      - .offset:         3056
        .size:           4
        .value_kind:     hidden_block_count_x
      - .offset:         3060
        .size:           4
        .value_kind:     hidden_block_count_y
      - .offset:         3064
        .size:           4
        .value_kind:     hidden_block_count_z
      - .offset:         3068
        .size:           2
        .value_kind:     hidden_group_size_x
      - .offset:         3070
        .size:           2
        .value_kind:     hidden_group_size_y
      - .offset:         3072
        .size:           2
        .value_kind:     hidden_group_size_z
      - .offset:         3074
        .size:           2
        .value_kind:     hidden_remainder_x
      - .offset:         3076
        .size:           2
        .value_kind:     hidden_remainder_y
      - .offset:         3078
        .size:           2
        .value_kind:     hidden_remainder_z
      - .offset:         3096
        .size:           8
        .value_kind:     hidden_global_offset_x
      - .offset:         3104
        .size:           8
        .value_kind:     hidden_global_offset_y
      - .offset:         3112
        .size:           8
        .value_kind:     hidden_global_offset_z
      - .offset:         3120
        .size:           2
        .value_kind:     hidden_grid_dims
    .group_segment_fixed_size: 0
    .kernarg_segment_align: 8
    .kernarg_segment_size: 3312
    .language:       OpenCL C
    .language_version:
      - 2
      - 0
    .max_flat_workgroup_size: 512
    .name:           _ZN2at6native12_GLOBAL__N_125multi_tensor_apply_kernelINS1_18TensorListMetadataILi4EEENS1_32PointwiseOpScalar0dTensorFunctorIaLi4ELi2ELi3EEEJSt10multipliesIaEaEEEvT_T0_DpT1_
    .private_segment_fixed_size: 0
    .sgpr_count:     28
    .sgpr_spill_count: 0
    .symbol:         _ZN2at6native12_GLOBAL__N_125multi_tensor_apply_kernelINS1_18TensorListMetadataILi4EEENS1_32PointwiseOpScalar0dTensorFunctorIaLi4ELi2ELi3EEEJSt10multipliesIaEaEEEvT_T0_DpT1_.kd
    .uniform_work_group_size: 1
    .uses_dynamic_stack: false
    .vgpr_count:     45
    .vgpr_spill_count: 0
    .wavefront_size: 32
    .workgroup_processor_mode: 1
  - .args:
      - .offset:         0
        .size:           3048
        .value_kind:     by_value
      - .offset:         3048
        .size:           1
        .value_kind:     by_value
      - .offset:         3049
        .size:           1
        .value_kind:     by_value
      - .offset:         3052
        .size:           4
        .value_kind:     by_value
      - .offset:         3056
        .size:           4
        .value_kind:     hidden_block_count_x
      - .offset:         3060
        .size:           4
        .value_kind:     hidden_block_count_y
      - .offset:         3064
        .size:           4
        .value_kind:     hidden_block_count_z
      - .offset:         3068
        .size:           2
        .value_kind:     hidden_group_size_x
      - .offset:         3070
        .size:           2
        .value_kind:     hidden_group_size_y
      - .offset:         3072
        .size:           2
        .value_kind:     hidden_group_size_z
      - .offset:         3074
        .size:           2
        .value_kind:     hidden_remainder_x
      - .offset:         3076
        .size:           2
        .value_kind:     hidden_remainder_y
      - .offset:         3078
        .size:           2
        .value_kind:     hidden_remainder_z
      - .offset:         3096
        .size:           8
        .value_kind:     hidden_global_offset_x
      - .offset:         3104
        .size:           8
        .value_kind:     hidden_global_offset_y
      - .offset:         3112
        .size:           8
        .value_kind:     hidden_global_offset_z
      - .offset:         3120
        .size:           2
        .value_kind:     hidden_grid_dims
    .group_segment_fixed_size: 0
    .kernarg_segment_align: 8
    .kernarg_segment_size: 3312
    .language:       OpenCL C
    .language_version:
      - 2
      - 0
    .max_flat_workgroup_size: 512
    .name:           _ZN2at6native12_GLOBAL__N_125multi_tensor_apply_kernelINS1_18TensorListMetadataILi4EEENS1_32PointwiseOpScalar0dTensorFunctorIiLi4ELi2ELi3EEEJSt10multipliesIiEiEEEvT_T0_DpT1_
    .private_segment_fixed_size: 0
    .sgpr_count:     33
    .sgpr_spill_count: 0
    .symbol:         _ZN2at6native12_GLOBAL__N_125multi_tensor_apply_kernelINS1_18TensorListMetadataILi4EEENS1_32PointwiseOpScalar0dTensorFunctorIiLi4ELi2ELi3EEEJSt10multipliesIiEiEEEvT_T0_DpT1_.kd
    .uniform_work_group_size: 1
    .uses_dynamic_stack: false
    .vgpr_count:     43
    .vgpr_spill_count: 0
    .wavefront_size: 32
    .workgroup_processor_mode: 1
  - .args:
      - .offset:         0
        .size:           3048
        .value_kind:     by_value
      - .offset:         3048
        .size:           1
        .value_kind:     by_value
      - .offset:         3049
        .size:           1
        .value_kind:     by_value
      - .offset:         3056
        .size:           8
        .value_kind:     by_value
      - .offset:         3064
        .size:           4
        .value_kind:     hidden_block_count_x
      - .offset:         3068
        .size:           4
        .value_kind:     hidden_block_count_y
      - .offset:         3072
        .size:           4
        .value_kind:     hidden_block_count_z
      - .offset:         3076
        .size:           2
        .value_kind:     hidden_group_size_x
      - .offset:         3078
        .size:           2
        .value_kind:     hidden_group_size_y
      - .offset:         3080
        .size:           2
        .value_kind:     hidden_group_size_z
      - .offset:         3082
        .size:           2
        .value_kind:     hidden_remainder_x
      - .offset:         3084
        .size:           2
        .value_kind:     hidden_remainder_y
      - .offset:         3086
        .size:           2
        .value_kind:     hidden_remainder_z
      - .offset:         3104
        .size:           8
        .value_kind:     hidden_global_offset_x
      - .offset:         3112
        .size:           8
        .value_kind:     hidden_global_offset_y
      - .offset:         3120
        .size:           8
        .value_kind:     hidden_global_offset_z
      - .offset:         3128
        .size:           2
        .value_kind:     hidden_grid_dims
    .group_segment_fixed_size: 0
    .kernarg_segment_align: 8
    .kernarg_segment_size: 3320
    .language:       OpenCL C
    .language_version:
      - 2
      - 0
    .max_flat_workgroup_size: 512
    .name:           _ZN2at6native12_GLOBAL__N_125multi_tensor_apply_kernelINS1_18TensorListMetadataILi4EEENS1_32PointwiseOpScalar0dTensorFunctorIlLi4ELi2ELi3EEEJSt10multipliesIlElEEEvT_T0_DpT1_
    .private_segment_fixed_size: 0
    .sgpr_count:     33
    .sgpr_spill_count: 0
    .symbol:         _ZN2at6native12_GLOBAL__N_125multi_tensor_apply_kernelINS1_18TensorListMetadataILi4EEENS1_32PointwiseOpScalar0dTensorFunctorIlLi4ELi2ELi3EEEJSt10multipliesIlElEEEvT_T0_DpT1_.kd
    .uniform_work_group_size: 1
    .uses_dynamic_stack: false
    .vgpr_count:     50
    .vgpr_spill_count: 0
    .wavefront_size: 32
    .workgroup_processor_mode: 1
  - .args:
      - .offset:         0
        .size:           3048
        .value_kind:     by_value
      - .offset:         3048
        .size:           1
        .value_kind:     by_value
      - .offset:         3049
        .size:           1
        .value_kind:     by_value
      - .offset:         3050
        .size:           2
        .value_kind:     by_value
      - .offset:         3056
        .size:           4
        .value_kind:     hidden_block_count_x
      - .offset:         3060
        .size:           4
        .value_kind:     hidden_block_count_y
      - .offset:         3064
        .size:           4
        .value_kind:     hidden_block_count_z
      - .offset:         3068
        .size:           2
        .value_kind:     hidden_group_size_x
      - .offset:         3070
        .size:           2
        .value_kind:     hidden_group_size_y
      - .offset:         3072
        .size:           2
        .value_kind:     hidden_group_size_z
      - .offset:         3074
        .size:           2
        .value_kind:     hidden_remainder_x
      - .offset:         3076
        .size:           2
        .value_kind:     hidden_remainder_y
      - .offset:         3078
        .size:           2
        .value_kind:     hidden_remainder_z
      - .offset:         3096
        .size:           8
        .value_kind:     hidden_global_offset_x
      - .offset:         3104
        .size:           8
        .value_kind:     hidden_global_offset_y
      - .offset:         3112
        .size:           8
        .value_kind:     hidden_global_offset_z
      - .offset:         3120
        .size:           2
        .value_kind:     hidden_grid_dims
    .group_segment_fixed_size: 0
    .kernarg_segment_align: 8
    .kernarg_segment_size: 3312
    .language:       OpenCL C
    .language_version:
      - 2
      - 0
    .max_flat_workgroup_size: 512
    .name:           _ZN2at6native12_GLOBAL__N_125multi_tensor_apply_kernelINS1_18TensorListMetadataILi4EEENS1_32PointwiseOpScalar0dTensorFunctorIsLi4ELi2ELi3EEEJSt10multipliesIsEsEEEvT_T0_DpT1_
    .private_segment_fixed_size: 0
    .sgpr_count:     22
    .sgpr_spill_count: 0
    .symbol:         _ZN2at6native12_GLOBAL__N_125multi_tensor_apply_kernelINS1_18TensorListMetadataILi4EEENS1_32PointwiseOpScalar0dTensorFunctorIsLi4ELi2ELi3EEEJSt10multipliesIsEsEEEvT_T0_DpT1_.kd
    .uniform_work_group_size: 1
    .uses_dynamic_stack: false
    .vgpr_count:     43
    .vgpr_spill_count: 0
    .wavefront_size: 32
    .workgroup_processor_mode: 1
  - .args:
      - .offset:         0
        .size:           3048
        .value_kind:     by_value
      - .offset:         3048
        .size:           1
        .value_kind:     by_value
      - .offset:         3049
        .size:           1
        .value_kind:     by_value
      - .offset:         3056
        .size:           8
        .value_kind:     by_value
      - .offset:         3064
        .size:           4
        .value_kind:     hidden_block_count_x
      - .offset:         3068
        .size:           4
        .value_kind:     hidden_block_count_y
      - .offset:         3072
        .size:           4
        .value_kind:     hidden_block_count_z
      - .offset:         3076
        .size:           2
        .value_kind:     hidden_group_size_x
      - .offset:         3078
        .size:           2
        .value_kind:     hidden_group_size_y
      - .offset:         3080
        .size:           2
        .value_kind:     hidden_group_size_z
      - .offset:         3082
        .size:           2
        .value_kind:     hidden_remainder_x
      - .offset:         3084
        .size:           2
        .value_kind:     hidden_remainder_y
      - .offset:         3086
        .size:           2
        .value_kind:     hidden_remainder_z
      - .offset:         3104
        .size:           8
        .value_kind:     hidden_global_offset_x
      - .offset:         3112
        .size:           8
        .value_kind:     hidden_global_offset_y
      - .offset:         3120
        .size:           8
        .value_kind:     hidden_global_offset_z
      - .offset:         3128
        .size:           2
        .value_kind:     hidden_grid_dims
    .group_segment_fixed_size: 0
    .kernarg_segment_align: 8
    .kernarg_segment_size: 3320
    .language:       OpenCL C
    .language_version:
      - 2
      - 0
    .max_flat_workgroup_size: 512
    .name:           _ZN2at6native12_GLOBAL__N_125multi_tensor_apply_kernelINS1_18TensorListMetadataILi4EEENS1_32PointwiseOpScalar0dTensorFunctorIdLi4ELi2ELi3EEEJSt10multipliesIdEdEEEvT_T0_DpT1_
    .private_segment_fixed_size: 0
    .sgpr_count:     32
    .sgpr_spill_count: 0
    .symbol:         _ZN2at6native12_GLOBAL__N_125multi_tensor_apply_kernelINS1_18TensorListMetadataILi4EEENS1_32PointwiseOpScalar0dTensorFunctorIdLi4ELi2ELi3EEEJSt10multipliesIdEdEEEvT_T0_DpT1_.kd
    .uniform_work_group_size: 1
    .uses_dynamic_stack: false
    .vgpr_count:     50
    .vgpr_spill_count: 0
    .wavefront_size: 32
    .workgroup_processor_mode: 1
  - .args:
      - .offset:         0
        .size:           3048
        .value_kind:     by_value
      - .offset:         3048
        .size:           1
        .value_kind:     by_value
      - .offset:         3049
        .size:           1
        .value_kind:     by_value
      - .offset:         3052
        .size:           4
        .value_kind:     by_value
      - .offset:         3056
        .size:           4
        .value_kind:     hidden_block_count_x
      - .offset:         3060
        .size:           4
        .value_kind:     hidden_block_count_y
      - .offset:         3064
        .size:           4
        .value_kind:     hidden_block_count_z
      - .offset:         3068
        .size:           2
        .value_kind:     hidden_group_size_x
      - .offset:         3070
        .size:           2
        .value_kind:     hidden_group_size_y
      - .offset:         3072
        .size:           2
        .value_kind:     hidden_group_size_z
      - .offset:         3074
        .size:           2
        .value_kind:     hidden_remainder_x
      - .offset:         3076
        .size:           2
        .value_kind:     hidden_remainder_y
      - .offset:         3078
        .size:           2
        .value_kind:     hidden_remainder_z
      - .offset:         3096
        .size:           8
        .value_kind:     hidden_global_offset_x
      - .offset:         3104
        .size:           8
        .value_kind:     hidden_global_offset_y
      - .offset:         3112
        .size:           8
        .value_kind:     hidden_global_offset_z
      - .offset:         3120
        .size:           2
        .value_kind:     hidden_grid_dims
    .group_segment_fixed_size: 0
    .kernarg_segment_align: 8
    .kernarg_segment_size: 3312
    .language:       OpenCL C
    .language_version:
      - 2
      - 0
    .max_flat_workgroup_size: 512
    .name:           _ZN2at6native12_GLOBAL__N_125multi_tensor_apply_kernelINS1_18TensorListMetadataILi4EEENS1_32PointwiseOpScalar0dTensorFunctorIfLi4ELi2ELi3EEEJSt10multipliesIfEfEEEvT_T0_DpT1_
    .private_segment_fixed_size: 0
    .sgpr_count:     32
    .sgpr_spill_count: 0
    .symbol:         _ZN2at6native12_GLOBAL__N_125multi_tensor_apply_kernelINS1_18TensorListMetadataILi4EEENS1_32PointwiseOpScalar0dTensorFunctorIfLi4ELi2ELi3EEEJSt10multipliesIfEfEEEvT_T0_DpT1_.kd
    .uniform_work_group_size: 1
    .uses_dynamic_stack: false
    .vgpr_count:     42
    .vgpr_spill_count: 0
    .wavefront_size: 32
    .workgroup_processor_mode: 1
  - .args:
      - .offset:         0
        .size:           3048
        .value_kind:     by_value
      - .offset:         3048
        .size:           1
        .value_kind:     by_value
      - .offset:         3049
        .size:           1
        .value_kind:     by_value
      - .offset:         3056
        .size:           16
        .value_kind:     by_value
      - .offset:         3072
        .size:           4
        .value_kind:     hidden_block_count_x
      - .offset:         3076
        .size:           4
        .value_kind:     hidden_block_count_y
      - .offset:         3080
        .size:           4
        .value_kind:     hidden_block_count_z
      - .offset:         3084
        .size:           2
        .value_kind:     hidden_group_size_x
      - .offset:         3086
        .size:           2
        .value_kind:     hidden_group_size_y
      - .offset:         3088
        .size:           2
        .value_kind:     hidden_group_size_z
      - .offset:         3090
        .size:           2
        .value_kind:     hidden_remainder_x
      - .offset:         3092
        .size:           2
        .value_kind:     hidden_remainder_y
      - .offset:         3094
        .size:           2
        .value_kind:     hidden_remainder_z
      - .offset:         3112
        .size:           8
        .value_kind:     hidden_global_offset_x
      - .offset:         3120
        .size:           8
        .value_kind:     hidden_global_offset_y
      - .offset:         3128
        .size:           8
        .value_kind:     hidden_global_offset_z
      - .offset:         3136
        .size:           2
        .value_kind:     hidden_grid_dims
    .group_segment_fixed_size: 0
    .kernarg_segment_align: 16
    .kernarg_segment_size: 3328
    .language:       OpenCL C
    .language_version:
      - 2
      - 0
    .max_flat_workgroup_size: 512
    .name:           _ZN2at6native12_GLOBAL__N_125multi_tensor_apply_kernelINS1_18TensorListMetadataILi4EEENS1_32PointwiseOpScalar0dTensorFunctorIN3c107complexIdEELi4ELi2ELi3EEEJSt10multipliesIS8_ES8_EEEvT_T0_DpT1_
    .private_segment_fixed_size: 0
    .sgpr_count:     36
    .sgpr_spill_count: 0
    .symbol:         _ZN2at6native12_GLOBAL__N_125multi_tensor_apply_kernelINS1_18TensorListMetadataILi4EEENS1_32PointwiseOpScalar0dTensorFunctorIN3c107complexIdEELi4ELi2ELi3EEEJSt10multipliesIS8_ES8_EEEvT_T0_DpT1_.kd
    .uniform_work_group_size: 1
    .uses_dynamic_stack: false
    .vgpr_count:     70
    .vgpr_spill_count: 0
    .wavefront_size: 32
    .workgroup_processor_mode: 1
  - .args:
      - .offset:         0
        .size:           3048
        .value_kind:     by_value
      - .offset:         3048
        .size:           1
        .value_kind:     by_value
      - .offset:         3049
        .size:           1
        .value_kind:     by_value
      - .offset:         3056
        .size:           8
        .value_kind:     by_value
      - .offset:         3064
        .size:           4
        .value_kind:     hidden_block_count_x
      - .offset:         3068
        .size:           4
        .value_kind:     hidden_block_count_y
      - .offset:         3072
        .size:           4
        .value_kind:     hidden_block_count_z
      - .offset:         3076
        .size:           2
        .value_kind:     hidden_group_size_x
      - .offset:         3078
        .size:           2
        .value_kind:     hidden_group_size_y
      - .offset:         3080
        .size:           2
        .value_kind:     hidden_group_size_z
      - .offset:         3082
        .size:           2
        .value_kind:     hidden_remainder_x
      - .offset:         3084
        .size:           2
        .value_kind:     hidden_remainder_y
      - .offset:         3086
        .size:           2
        .value_kind:     hidden_remainder_z
      - .offset:         3104
        .size:           8
        .value_kind:     hidden_global_offset_x
      - .offset:         3112
        .size:           8
        .value_kind:     hidden_global_offset_y
      - .offset:         3120
        .size:           8
        .value_kind:     hidden_global_offset_z
      - .offset:         3128
        .size:           2
        .value_kind:     hidden_grid_dims
    .group_segment_fixed_size: 0
    .kernarg_segment_align: 8
    .kernarg_segment_size: 3320
    .language:       OpenCL C
    .language_version:
      - 2
      - 0
    .max_flat_workgroup_size: 512
    .name:           _ZN2at6native12_GLOBAL__N_125multi_tensor_apply_kernelINS1_18TensorListMetadataILi4EEENS1_32PointwiseOpScalar0dTensorFunctorIN3c107complexIfEELi4ELi2ELi3EEEJSt10multipliesIS8_ES8_EEEvT_T0_DpT1_
    .private_segment_fixed_size: 0
    .sgpr_count:     34
    .sgpr_spill_count: 0
    .symbol:         _ZN2at6native12_GLOBAL__N_125multi_tensor_apply_kernelINS1_18TensorListMetadataILi4EEENS1_32PointwiseOpScalar0dTensorFunctorIN3c107complexIfEELi4ELi2ELi3EEEJSt10multipliesIS8_ES8_EEEvT_T0_DpT1_.kd
    .uniform_work_group_size: 1
    .uses_dynamic_stack: false
    .vgpr_count:     50
    .vgpr_spill_count: 0
    .wavefront_size: 32
    .workgroup_processor_mode: 1
  - .args:
      - .offset:         0
        .size:           3048
        .value_kind:     by_value
      - .offset:         3048
        .size:           1
        .value_kind:     by_value
      - .offset:         3049
        .size:           1
        .value_kind:     by_value
      - .offset:         3052
        .size:           4
        .value_kind:     by_value
      - .offset:         3056
        .size:           4
        .value_kind:     hidden_block_count_x
      - .offset:         3060
        .size:           4
        .value_kind:     hidden_block_count_y
      - .offset:         3064
        .size:           4
        .value_kind:     hidden_block_count_z
      - .offset:         3068
        .size:           2
        .value_kind:     hidden_group_size_x
      - .offset:         3070
        .size:           2
        .value_kind:     hidden_group_size_y
      - .offset:         3072
        .size:           2
        .value_kind:     hidden_group_size_z
      - .offset:         3074
        .size:           2
        .value_kind:     hidden_remainder_x
      - .offset:         3076
        .size:           2
        .value_kind:     hidden_remainder_y
      - .offset:         3078
        .size:           2
        .value_kind:     hidden_remainder_z
      - .offset:         3096
        .size:           8
        .value_kind:     hidden_global_offset_x
      - .offset:         3104
        .size:           8
        .value_kind:     hidden_global_offset_y
      - .offset:         3112
        .size:           8
        .value_kind:     hidden_global_offset_z
      - .offset:         3120
        .size:           2
        .value_kind:     hidden_grid_dims
    .group_segment_fixed_size: 0
    .kernarg_segment_align: 8
    .kernarg_segment_size: 3312
    .language:       OpenCL C
    .language_version:
      - 2
      - 0
    .max_flat_workgroup_size: 512
    .name:           _ZN2at6native12_GLOBAL__N_125multi_tensor_apply_kernelINS1_18TensorListMetadataILi4EEENS1_32PointwiseOpScalar0dTensorFunctorIN3c104HalfELi4ELi2ELi3EEEJSt10multipliesIfEfEEEvT_T0_DpT1_
    .private_segment_fixed_size: 0
    .sgpr_count:     28
    .sgpr_spill_count: 0
    .symbol:         _ZN2at6native12_GLOBAL__N_125multi_tensor_apply_kernelINS1_18TensorListMetadataILi4EEENS1_32PointwiseOpScalar0dTensorFunctorIN3c104HalfELi4ELi2ELi3EEEJSt10multipliesIfEfEEEvT_T0_DpT1_.kd
    .uniform_work_group_size: 1
    .uses_dynamic_stack: false
    .vgpr_count:     45
    .vgpr_spill_count: 0
    .wavefront_size: 32
    .workgroup_processor_mode: 1
  - .args:
      - .offset:         0
        .size:           3048
        .value_kind:     by_value
      - .offset:         3048
        .size:           1
        .value_kind:     by_value
      - .offset:         3049
        .size:           1
        .value_kind:     by_value
      - .offset:         3052
        .size:           4
        .value_kind:     by_value
      - .offset:         3056
        .size:           4
        .value_kind:     hidden_block_count_x
      - .offset:         3060
        .size:           4
        .value_kind:     hidden_block_count_y
      - .offset:         3064
        .size:           4
        .value_kind:     hidden_block_count_z
      - .offset:         3068
        .size:           2
        .value_kind:     hidden_group_size_x
      - .offset:         3070
        .size:           2
        .value_kind:     hidden_group_size_y
      - .offset:         3072
        .size:           2
        .value_kind:     hidden_group_size_z
      - .offset:         3074
        .size:           2
        .value_kind:     hidden_remainder_x
      - .offset:         3076
        .size:           2
        .value_kind:     hidden_remainder_y
      - .offset:         3078
        .size:           2
        .value_kind:     hidden_remainder_z
      - .offset:         3096
        .size:           8
        .value_kind:     hidden_global_offset_x
      - .offset:         3104
        .size:           8
        .value_kind:     hidden_global_offset_y
      - .offset:         3112
        .size:           8
        .value_kind:     hidden_global_offset_z
      - .offset:         3120
        .size:           2
        .value_kind:     hidden_grid_dims
    .group_segment_fixed_size: 0
    .kernarg_segment_align: 8
    .kernarg_segment_size: 3312
    .language:       OpenCL C
    .language_version:
      - 2
      - 0
    .max_flat_workgroup_size: 512
    .name:           _ZN2at6native12_GLOBAL__N_125multi_tensor_apply_kernelINS1_18TensorListMetadataILi4EEENS1_32PointwiseOpScalar0dTensorFunctorIN3c108BFloat16ELi4ELi2ELi3EEEJSt10multipliesIfEfEEEvT_T0_DpT1_
    .private_segment_fixed_size: 0
    .sgpr_count:     22
    .sgpr_spill_count: 0
    .symbol:         _ZN2at6native12_GLOBAL__N_125multi_tensor_apply_kernelINS1_18TensorListMetadataILi4EEENS1_32PointwiseOpScalar0dTensorFunctorIN3c108BFloat16ELi4ELi2ELi3EEEJSt10multipliesIfEfEEEvT_T0_DpT1_.kd
    .uniform_work_group_size: 1
    .uses_dynamic_stack: false
    .vgpr_count:     43
    .vgpr_spill_count: 0
    .wavefront_size: 32
    .workgroup_processor_mode: 1
  - .args:
      - .offset:         0
        .size:           3144
        .value_kind:     by_value
      - .offset:         3144
        .size:           1
        .value_kind:     by_value
      - .offset:         3145
        .size:           1
        .value_kind:     by_value
      - .offset:         3146
        .size:           1
        .value_kind:     by_value
      - .offset:         3152
        .size:           4
        .value_kind:     hidden_block_count_x
      - .offset:         3156
        .size:           4
        .value_kind:     hidden_block_count_y
      - .offset:         3160
        .size:           4
        .value_kind:     hidden_block_count_z
      - .offset:         3164
        .size:           2
        .value_kind:     hidden_group_size_x
      - .offset:         3166
        .size:           2
        .value_kind:     hidden_group_size_y
      - .offset:         3168
        .size:           2
        .value_kind:     hidden_group_size_z
      - .offset:         3170
        .size:           2
        .value_kind:     hidden_remainder_x
      - .offset:         3172
        .size:           2
        .value_kind:     hidden_remainder_y
      - .offset:         3174
        .size:           2
        .value_kind:     hidden_remainder_z
      - .offset:         3192
        .size:           8
        .value_kind:     hidden_global_offset_x
      - .offset:         3200
        .size:           8
        .value_kind:     hidden_global_offset_y
      - .offset:         3208
        .size:           8
        .value_kind:     hidden_global_offset_z
      - .offset:         3216
        .size:           2
        .value_kind:     hidden_grid_dims
    .group_segment_fixed_size: 0
    .kernarg_segment_align: 8
    .kernarg_segment_size: 3408
    .language:       OpenCL C
    .language_version:
      - 2
      - 0
    .max_flat_workgroup_size: 512
    .name:           _ZN2at6native12_GLOBAL__N_125multi_tensor_apply_kernelINS1_18TensorListMetadataILi3EEENS1_24PointwiseOpScalarFunctorIhLi3ELi3ELi0EEEJSt10multipliesIhEhEEEvT_T0_DpT1_
    .private_segment_fixed_size: 0
    .sgpr_count:     29
    .sgpr_spill_count: 0
    .symbol:         _ZN2at6native12_GLOBAL__N_125multi_tensor_apply_kernelINS1_18TensorListMetadataILi3EEENS1_24PointwiseOpScalarFunctorIhLi3ELi3ELi0EEEJSt10multipliesIhEhEEEvT_T0_DpT1_.kd
    .uniform_work_group_size: 1
    .uses_dynamic_stack: false
    .vgpr_count:     45
    .vgpr_spill_count: 0
    .wavefront_size: 32
    .workgroup_processor_mode: 1
  - .args:
      - .offset:         0
        .size:           3144
        .value_kind:     by_value
      - .offset:         3144
        .size:           1
        .value_kind:     by_value
      - .offset:         3145
        .size:           1
        .value_kind:     by_value
      - .offset:         3146
        .size:           1
        .value_kind:     by_value
      - .offset:         3152
        .size:           4
        .value_kind:     hidden_block_count_x
      - .offset:         3156
        .size:           4
        .value_kind:     hidden_block_count_y
      - .offset:         3160
        .size:           4
        .value_kind:     hidden_block_count_z
      - .offset:         3164
        .size:           2
        .value_kind:     hidden_group_size_x
      - .offset:         3166
        .size:           2
        .value_kind:     hidden_group_size_y
      - .offset:         3168
        .size:           2
        .value_kind:     hidden_group_size_z
      - .offset:         3170
        .size:           2
        .value_kind:     hidden_remainder_x
      - .offset:         3172
        .size:           2
        .value_kind:     hidden_remainder_y
      - .offset:         3174
        .size:           2
        .value_kind:     hidden_remainder_z
      - .offset:         3192
        .size:           8
        .value_kind:     hidden_global_offset_x
      - .offset:         3200
        .size:           8
        .value_kind:     hidden_global_offset_y
      - .offset:         3208
        .size:           8
        .value_kind:     hidden_global_offset_z
      - .offset:         3216
        .size:           2
        .value_kind:     hidden_grid_dims
    .group_segment_fixed_size: 0
    .kernarg_segment_align: 8
    .kernarg_segment_size: 3408
    .language:       OpenCL C
    .language_version:
      - 2
      - 0
    .max_flat_workgroup_size: 512
    .name:           _ZN2at6native12_GLOBAL__N_125multi_tensor_apply_kernelINS1_18TensorListMetadataILi3EEENS1_24PointwiseOpScalarFunctorIaLi3ELi3ELi0EEEJSt10multipliesIaEaEEEvT_T0_DpT1_
    .private_segment_fixed_size: 0
    .sgpr_count:     29
    .sgpr_spill_count: 0
    .symbol:         _ZN2at6native12_GLOBAL__N_125multi_tensor_apply_kernelINS1_18TensorListMetadataILi3EEENS1_24PointwiseOpScalarFunctorIaLi3ELi3ELi0EEEJSt10multipliesIaEaEEEvT_T0_DpT1_.kd
    .uniform_work_group_size: 1
    .uses_dynamic_stack: false
    .vgpr_count:     45
    .vgpr_spill_count: 0
    .wavefront_size: 32
    .workgroup_processor_mode: 1
  - .args:
      - .offset:         0
        .size:           3144
        .value_kind:     by_value
      - .offset:         3144
        .size:           1
        .value_kind:     by_value
      - .offset:         3145
        .size:           1
        .value_kind:     by_value
      - .offset:         3148
        .size:           4
        .value_kind:     by_value
      - .offset:         3152
        .size:           4
        .value_kind:     hidden_block_count_x
      - .offset:         3156
        .size:           4
        .value_kind:     hidden_block_count_y
      - .offset:         3160
        .size:           4
        .value_kind:     hidden_block_count_z
      - .offset:         3164
        .size:           2
        .value_kind:     hidden_group_size_x
      - .offset:         3166
        .size:           2
        .value_kind:     hidden_group_size_y
      - .offset:         3168
        .size:           2
        .value_kind:     hidden_group_size_z
      - .offset:         3170
        .size:           2
        .value_kind:     hidden_remainder_x
      - .offset:         3172
        .size:           2
        .value_kind:     hidden_remainder_y
      - .offset:         3174
        .size:           2
        .value_kind:     hidden_remainder_z
      - .offset:         3192
        .size:           8
        .value_kind:     hidden_global_offset_x
      - .offset:         3200
        .size:           8
        .value_kind:     hidden_global_offset_y
      - .offset:         3208
        .size:           8
        .value_kind:     hidden_global_offset_z
      - .offset:         3216
        .size:           2
        .value_kind:     hidden_grid_dims
    .group_segment_fixed_size: 0
    .kernarg_segment_align: 8
    .kernarg_segment_size: 3408
    .language:       OpenCL C
    .language_version:
      - 2
      - 0
    .max_flat_workgroup_size: 512
    .name:           _ZN2at6native12_GLOBAL__N_125multi_tensor_apply_kernelINS1_18TensorListMetadataILi3EEENS1_24PointwiseOpScalarFunctorIiLi3ELi3ELi0EEEJSt10multipliesIiEiEEEvT_T0_DpT1_
    .private_segment_fixed_size: 0
    .sgpr_count:     27
    .sgpr_spill_count: 0
    .symbol:         _ZN2at6native12_GLOBAL__N_125multi_tensor_apply_kernelINS1_18TensorListMetadataILi3EEENS1_24PointwiseOpScalarFunctorIiLi3ELi3ELi0EEEJSt10multipliesIiEiEEEvT_T0_DpT1_.kd
    .uniform_work_group_size: 1
    .uses_dynamic_stack: false
    .vgpr_count:     45
    .vgpr_spill_count: 0
    .wavefront_size: 32
    .workgroup_processor_mode: 1
  - .args:
      - .offset:         0
        .size:           3144
        .value_kind:     by_value
      - .offset:         3144
        .size:           1
        .value_kind:     by_value
      - .offset:         3145
        .size:           1
        .value_kind:     by_value
      - .offset:         3152
        .size:           8
        .value_kind:     by_value
      - .offset:         3160
        .size:           4
        .value_kind:     hidden_block_count_x
      - .offset:         3164
        .size:           4
        .value_kind:     hidden_block_count_y
      - .offset:         3168
        .size:           4
        .value_kind:     hidden_block_count_z
      - .offset:         3172
        .size:           2
        .value_kind:     hidden_group_size_x
      - .offset:         3174
        .size:           2
        .value_kind:     hidden_group_size_y
      - .offset:         3176
        .size:           2
        .value_kind:     hidden_group_size_z
      - .offset:         3178
        .size:           2
        .value_kind:     hidden_remainder_x
      - .offset:         3180
        .size:           2
        .value_kind:     hidden_remainder_y
      - .offset:         3182
        .size:           2
        .value_kind:     hidden_remainder_z
      - .offset:         3200
        .size:           8
        .value_kind:     hidden_global_offset_x
      - .offset:         3208
        .size:           8
        .value_kind:     hidden_global_offset_y
      - .offset:         3216
        .size:           8
        .value_kind:     hidden_global_offset_z
      - .offset:         3224
        .size:           2
        .value_kind:     hidden_grid_dims
    .group_segment_fixed_size: 0
    .kernarg_segment_align: 8
    .kernarg_segment_size: 3416
    .language:       OpenCL C
    .language_version:
      - 2
      - 0
    .max_flat_workgroup_size: 512
    .name:           _ZN2at6native12_GLOBAL__N_125multi_tensor_apply_kernelINS1_18TensorListMetadataILi3EEENS1_24PointwiseOpScalarFunctorIlLi3ELi3ELi0EEEJSt10multipliesIlElEEEvT_T0_DpT1_
    .private_segment_fixed_size: 0
    .sgpr_count:     28
    .sgpr_spill_count: 0
    .symbol:         _ZN2at6native12_GLOBAL__N_125multi_tensor_apply_kernelINS1_18TensorListMetadataILi3EEENS1_24PointwiseOpScalarFunctorIlLi3ELi3ELi0EEEJSt10multipliesIlElEEEvT_T0_DpT1_.kd
    .uniform_work_group_size: 1
    .uses_dynamic_stack: false
    .vgpr_count:     58
    .vgpr_spill_count: 0
    .wavefront_size: 32
    .workgroup_processor_mode: 1
  - .args:
      - .offset:         0
        .size:           3144
        .value_kind:     by_value
      - .offset:         3144
        .size:           1
        .value_kind:     by_value
      - .offset:         3145
        .size:           1
        .value_kind:     by_value
      - .offset:         3146
        .size:           2
        .value_kind:     by_value
      - .offset:         3152
        .size:           4
        .value_kind:     hidden_block_count_x
      - .offset:         3156
        .size:           4
        .value_kind:     hidden_block_count_y
      - .offset:         3160
        .size:           4
        .value_kind:     hidden_block_count_z
      - .offset:         3164
        .size:           2
        .value_kind:     hidden_group_size_x
      - .offset:         3166
        .size:           2
        .value_kind:     hidden_group_size_y
      - .offset:         3168
        .size:           2
        .value_kind:     hidden_group_size_z
      - .offset:         3170
        .size:           2
        .value_kind:     hidden_remainder_x
      - .offset:         3172
        .size:           2
        .value_kind:     hidden_remainder_y
      - .offset:         3174
        .size:           2
        .value_kind:     hidden_remainder_z
      - .offset:         3192
        .size:           8
        .value_kind:     hidden_global_offset_x
      - .offset:         3200
        .size:           8
        .value_kind:     hidden_global_offset_y
      - .offset:         3208
        .size:           8
        .value_kind:     hidden_global_offset_z
      - .offset:         3216
        .size:           2
        .value_kind:     hidden_grid_dims
    .group_segment_fixed_size: 0
    .kernarg_segment_align: 8
    .kernarg_segment_size: 3408
    .language:       OpenCL C
    .language_version:
      - 2
      - 0
    .max_flat_workgroup_size: 512
    .name:           _ZN2at6native12_GLOBAL__N_125multi_tensor_apply_kernelINS1_18TensorListMetadataILi3EEENS1_24PointwiseOpScalarFunctorIsLi3ELi3ELi0EEEJSt10multipliesIsEsEEEvT_T0_DpT1_
    .private_segment_fixed_size: 0
    .sgpr_count:     26
    .sgpr_spill_count: 0
    .symbol:         _ZN2at6native12_GLOBAL__N_125multi_tensor_apply_kernelINS1_18TensorListMetadataILi3EEENS1_24PointwiseOpScalarFunctorIsLi3ELi3ELi0EEEJSt10multipliesIsEsEEEvT_T0_DpT1_.kd
    .uniform_work_group_size: 1
    .uses_dynamic_stack: false
    .vgpr_count:     45
    .vgpr_spill_count: 0
    .wavefront_size: 32
    .workgroup_processor_mode: 1
  - .args:
      - .offset:         0
        .size:           3144
        .value_kind:     by_value
      - .offset:         3144
        .size:           1
        .value_kind:     by_value
      - .offset:         3145
        .size:           1
        .value_kind:     by_value
      - .offset:         3152
        .size:           8
        .value_kind:     by_value
      - .offset:         3160
        .size:           4
        .value_kind:     hidden_block_count_x
      - .offset:         3164
        .size:           4
        .value_kind:     hidden_block_count_y
      - .offset:         3168
        .size:           4
        .value_kind:     hidden_block_count_z
      - .offset:         3172
        .size:           2
        .value_kind:     hidden_group_size_x
      - .offset:         3174
        .size:           2
        .value_kind:     hidden_group_size_y
      - .offset:         3176
        .size:           2
        .value_kind:     hidden_group_size_z
      - .offset:         3178
        .size:           2
        .value_kind:     hidden_remainder_x
      - .offset:         3180
        .size:           2
        .value_kind:     hidden_remainder_y
      - .offset:         3182
        .size:           2
        .value_kind:     hidden_remainder_z
      - .offset:         3200
        .size:           8
        .value_kind:     hidden_global_offset_x
      - .offset:         3208
        .size:           8
        .value_kind:     hidden_global_offset_y
      - .offset:         3216
        .size:           8
        .value_kind:     hidden_global_offset_z
      - .offset:         3224
        .size:           2
        .value_kind:     hidden_grid_dims
    .group_segment_fixed_size: 0
    .kernarg_segment_align: 8
    .kernarg_segment_size: 3416
    .language:       OpenCL C
    .language_version:
      - 2
      - 0
    .max_flat_workgroup_size: 512
    .name:           _ZN2at6native12_GLOBAL__N_125multi_tensor_apply_kernelINS1_18TensorListMetadataILi3EEENS1_24PointwiseOpScalarFunctorIdLi3ELi3ELi0EEEJSt10multipliesIdEdEEEvT_T0_DpT1_
    .private_segment_fixed_size: 0
    .sgpr_count:     29
    .sgpr_spill_count: 0
    .symbol:         _ZN2at6native12_GLOBAL__N_125multi_tensor_apply_kernelINS1_18TensorListMetadataILi3EEENS1_24PointwiseOpScalarFunctorIdLi3ELi3ELi0EEEJSt10multipliesIdEdEEEvT_T0_DpT1_.kd
    .uniform_work_group_size: 1
    .uses_dynamic_stack: false
    .vgpr_count:     57
    .vgpr_spill_count: 0
    .wavefront_size: 32
    .workgroup_processor_mode: 1
  - .args:
      - .offset:         0
        .size:           3144
        .value_kind:     by_value
      - .offset:         3144
        .size:           1
        .value_kind:     by_value
      - .offset:         3145
        .size:           1
        .value_kind:     by_value
      - .offset:         3148
        .size:           4
        .value_kind:     by_value
      - .offset:         3152
        .size:           4
        .value_kind:     hidden_block_count_x
      - .offset:         3156
        .size:           4
        .value_kind:     hidden_block_count_y
      - .offset:         3160
        .size:           4
        .value_kind:     hidden_block_count_z
      - .offset:         3164
        .size:           2
        .value_kind:     hidden_group_size_x
      - .offset:         3166
        .size:           2
        .value_kind:     hidden_group_size_y
      - .offset:         3168
        .size:           2
        .value_kind:     hidden_group_size_z
      - .offset:         3170
        .size:           2
        .value_kind:     hidden_remainder_x
      - .offset:         3172
        .size:           2
        .value_kind:     hidden_remainder_y
      - .offset:         3174
        .size:           2
        .value_kind:     hidden_remainder_z
      - .offset:         3192
        .size:           8
        .value_kind:     hidden_global_offset_x
      - .offset:         3200
        .size:           8
        .value_kind:     hidden_global_offset_y
      - .offset:         3208
        .size:           8
        .value_kind:     hidden_global_offset_z
      - .offset:         3216
        .size:           2
        .value_kind:     hidden_grid_dims
    .group_segment_fixed_size: 0
    .kernarg_segment_align: 8
    .kernarg_segment_size: 3408
    .language:       OpenCL C
    .language_version:
      - 2
      - 0
    .max_flat_workgroup_size: 512
    .name:           _ZN2at6native12_GLOBAL__N_125multi_tensor_apply_kernelINS1_18TensorListMetadataILi3EEENS1_24PointwiseOpScalarFunctorIfLi3ELi3ELi0EEEJSt10multipliesIfEfEEEvT_T0_DpT1_
    .private_segment_fixed_size: 0
    .sgpr_count:     28
    .sgpr_spill_count: 0
    .symbol:         _ZN2at6native12_GLOBAL__N_125multi_tensor_apply_kernelINS1_18TensorListMetadataILi3EEENS1_24PointwiseOpScalarFunctorIfLi3ELi3ELi0EEEJSt10multipliesIfEfEEEvT_T0_DpT1_.kd
    .uniform_work_group_size: 1
    .uses_dynamic_stack: false
    .vgpr_count:     46
    .vgpr_spill_count: 0
    .wavefront_size: 32
    .workgroup_processor_mode: 1
  - .args:
      - .offset:         0
        .size:           3144
        .value_kind:     by_value
      - .offset:         3144
        .size:           1
        .value_kind:     by_value
      - .offset:         3145
        .size:           1
        .value_kind:     by_value
      - .offset:         3152
        .size:           16
        .value_kind:     by_value
      - .offset:         3168
        .size:           4
        .value_kind:     hidden_block_count_x
      - .offset:         3172
        .size:           4
        .value_kind:     hidden_block_count_y
      - .offset:         3176
        .size:           4
        .value_kind:     hidden_block_count_z
      - .offset:         3180
        .size:           2
        .value_kind:     hidden_group_size_x
      - .offset:         3182
        .size:           2
        .value_kind:     hidden_group_size_y
      - .offset:         3184
        .size:           2
        .value_kind:     hidden_group_size_z
      - .offset:         3186
        .size:           2
        .value_kind:     hidden_remainder_x
      - .offset:         3188
        .size:           2
        .value_kind:     hidden_remainder_y
      - .offset:         3190
        .size:           2
        .value_kind:     hidden_remainder_z
      - .offset:         3208
        .size:           8
        .value_kind:     hidden_global_offset_x
      - .offset:         3216
        .size:           8
        .value_kind:     hidden_global_offset_y
      - .offset:         3224
        .size:           8
        .value_kind:     hidden_global_offset_z
      - .offset:         3232
        .size:           2
        .value_kind:     hidden_grid_dims
    .group_segment_fixed_size: 0
    .kernarg_segment_align: 16
    .kernarg_segment_size: 3424
    .language:       OpenCL C
    .language_version:
      - 2
      - 0
    .max_flat_workgroup_size: 512
    .name:           _ZN2at6native12_GLOBAL__N_125multi_tensor_apply_kernelINS1_18TensorListMetadataILi3EEENS1_24PointwiseOpScalarFunctorIN3c107complexIdEELi3ELi3ELi0EEEJSt10multipliesIS8_ES8_EEEvT_T0_DpT1_
    .private_segment_fixed_size: 0
    .sgpr_count:     33
    .sgpr_spill_count: 0
    .symbol:         _ZN2at6native12_GLOBAL__N_125multi_tensor_apply_kernelINS1_18TensorListMetadataILi3EEENS1_24PointwiseOpScalarFunctorIN3c107complexIdEELi3ELi3ELi0EEEJSt10multipliesIS8_ES8_EEEvT_T0_DpT1_.kd
    .uniform_work_group_size: 1
    .uses_dynamic_stack: false
    .vgpr_count:     77
    .vgpr_spill_count: 0
    .wavefront_size: 32
    .workgroup_processor_mode: 1
  - .args:
      - .offset:         0
        .size:           3144
        .value_kind:     by_value
      - .offset:         3144
        .size:           1
        .value_kind:     by_value
      - .offset:         3145
        .size:           1
        .value_kind:     by_value
      - .offset:         3152
        .size:           8
        .value_kind:     by_value
      - .offset:         3160
        .size:           4
        .value_kind:     hidden_block_count_x
      - .offset:         3164
        .size:           4
        .value_kind:     hidden_block_count_y
      - .offset:         3168
        .size:           4
        .value_kind:     hidden_block_count_z
      - .offset:         3172
        .size:           2
        .value_kind:     hidden_group_size_x
      - .offset:         3174
        .size:           2
        .value_kind:     hidden_group_size_y
      - .offset:         3176
        .size:           2
        .value_kind:     hidden_group_size_z
      - .offset:         3178
        .size:           2
        .value_kind:     hidden_remainder_x
      - .offset:         3180
        .size:           2
        .value_kind:     hidden_remainder_y
      - .offset:         3182
        .size:           2
        .value_kind:     hidden_remainder_z
      - .offset:         3200
        .size:           8
        .value_kind:     hidden_global_offset_x
      - .offset:         3208
        .size:           8
        .value_kind:     hidden_global_offset_y
      - .offset:         3216
        .size:           8
        .value_kind:     hidden_global_offset_z
      - .offset:         3224
        .size:           2
        .value_kind:     hidden_grid_dims
    .group_segment_fixed_size: 0
    .kernarg_segment_align: 8
    .kernarg_segment_size: 3416
    .language:       OpenCL C
    .language_version:
      - 2
      - 0
    .max_flat_workgroup_size: 512
    .name:           _ZN2at6native12_GLOBAL__N_125multi_tensor_apply_kernelINS1_18TensorListMetadataILi3EEENS1_24PointwiseOpScalarFunctorIN3c107complexIfEELi3ELi3ELi0EEEJSt10multipliesIS8_ES8_EEEvT_T0_DpT1_
    .private_segment_fixed_size: 0
    .sgpr_count:     29
    .sgpr_spill_count: 0
    .symbol:         _ZN2at6native12_GLOBAL__N_125multi_tensor_apply_kernelINS1_18TensorListMetadataILi3EEENS1_24PointwiseOpScalarFunctorIN3c107complexIfEELi3ELi3ELi0EEEJSt10multipliesIS8_ES8_EEEvT_T0_DpT1_.kd
    .uniform_work_group_size: 1
    .uses_dynamic_stack: false
    .vgpr_count:     56
    .vgpr_spill_count: 0
    .wavefront_size: 32
    .workgroup_processor_mode: 1
  - .args:
      - .offset:         0
        .size:           3144
        .value_kind:     by_value
      - .offset:         3144
        .size:           1
        .value_kind:     by_value
      - .offset:         3145
        .size:           1
        .value_kind:     by_value
      - .offset:         3148
        .size:           4
        .value_kind:     by_value
      - .offset:         3152
        .size:           4
        .value_kind:     hidden_block_count_x
      - .offset:         3156
        .size:           4
        .value_kind:     hidden_block_count_y
      - .offset:         3160
        .size:           4
        .value_kind:     hidden_block_count_z
      - .offset:         3164
        .size:           2
        .value_kind:     hidden_group_size_x
      - .offset:         3166
        .size:           2
        .value_kind:     hidden_group_size_y
      - .offset:         3168
        .size:           2
        .value_kind:     hidden_group_size_z
      - .offset:         3170
        .size:           2
        .value_kind:     hidden_remainder_x
      - .offset:         3172
        .size:           2
        .value_kind:     hidden_remainder_y
      - .offset:         3174
        .size:           2
        .value_kind:     hidden_remainder_z
      - .offset:         3192
        .size:           8
        .value_kind:     hidden_global_offset_x
      - .offset:         3200
        .size:           8
        .value_kind:     hidden_global_offset_y
      - .offset:         3208
        .size:           8
        .value_kind:     hidden_global_offset_z
      - .offset:         3216
        .size:           2
        .value_kind:     hidden_grid_dims
    .group_segment_fixed_size: 0
    .kernarg_segment_align: 8
    .kernarg_segment_size: 3408
    .language:       OpenCL C
    .language_version:
      - 2
      - 0
    .max_flat_workgroup_size: 512
    .name:           _ZN2at6native12_GLOBAL__N_125multi_tensor_apply_kernelINS1_18TensorListMetadataILi3EEENS1_24PointwiseOpScalarFunctorIN3c104HalfELi3ELi3ELi0EEEJSt10multipliesIfEfEEEvT_T0_DpT1_
    .private_segment_fixed_size: 0
    .sgpr_count:     29
    .sgpr_spill_count: 0
    .symbol:         _ZN2at6native12_GLOBAL__N_125multi_tensor_apply_kernelINS1_18TensorListMetadataILi3EEENS1_24PointwiseOpScalarFunctorIN3c104HalfELi3ELi3ELi0EEEJSt10multipliesIfEfEEEvT_T0_DpT1_.kd
    .uniform_work_group_size: 1
    .uses_dynamic_stack: false
    .vgpr_count:     46
    .vgpr_spill_count: 0
    .wavefront_size: 32
    .workgroup_processor_mode: 1
  - .args:
      - .offset:         0
        .size:           3144
        .value_kind:     by_value
      - .offset:         3144
        .size:           1
        .value_kind:     by_value
      - .offset:         3145
        .size:           1
        .value_kind:     by_value
      - .offset:         3148
        .size:           4
        .value_kind:     by_value
      - .offset:         3152
        .size:           4
        .value_kind:     hidden_block_count_x
      - .offset:         3156
        .size:           4
        .value_kind:     hidden_block_count_y
      - .offset:         3160
        .size:           4
        .value_kind:     hidden_block_count_z
      - .offset:         3164
        .size:           2
        .value_kind:     hidden_group_size_x
      - .offset:         3166
        .size:           2
        .value_kind:     hidden_group_size_y
      - .offset:         3168
        .size:           2
        .value_kind:     hidden_group_size_z
      - .offset:         3170
        .size:           2
        .value_kind:     hidden_remainder_x
      - .offset:         3172
        .size:           2
        .value_kind:     hidden_remainder_y
      - .offset:         3174
        .size:           2
        .value_kind:     hidden_remainder_z
      - .offset:         3192
        .size:           8
        .value_kind:     hidden_global_offset_x
      - .offset:         3200
        .size:           8
        .value_kind:     hidden_global_offset_y
      - .offset:         3208
        .size:           8
        .value_kind:     hidden_global_offset_z
      - .offset:         3216
        .size:           2
        .value_kind:     hidden_grid_dims
    .group_segment_fixed_size: 0
    .kernarg_segment_align: 8
    .kernarg_segment_size: 3408
    .language:       OpenCL C
    .language_version:
      - 2
      - 0
    .max_flat_workgroup_size: 512
    .name:           _ZN2at6native12_GLOBAL__N_125multi_tensor_apply_kernelINS1_18TensorListMetadataILi3EEENS1_24PointwiseOpScalarFunctorIN3c108BFloat16ELi3ELi3ELi0EEEJSt10multipliesIfEfEEEvT_T0_DpT1_
    .private_segment_fixed_size: 0
    .sgpr_count:     27
    .sgpr_spill_count: 0
    .symbol:         _ZN2at6native12_GLOBAL__N_125multi_tensor_apply_kernelINS1_18TensorListMetadataILi3EEENS1_24PointwiseOpScalarFunctorIN3c108BFloat16ELi3ELi3ELi0EEEJSt10multipliesIfEfEEEvT_T0_DpT1_.kd
    .uniform_work_group_size: 1
    .uses_dynamic_stack: false
    .vgpr_count:     46
    .vgpr_spill_count: 0
    .wavefront_size: 32
    .workgroup_processor_mode: 1
  - .args:
      - .offset:         0
        .size:           3144
        .value_kind:     by_value
      - .offset:         3144
        .size:           1
        .value_kind:     by_value
      - .offset:         3145
        .size:           1
        .value_kind:     by_value
      - .offset:         3146
        .size:           1
        .value_kind:     by_value
      - .offset:         3152
        .size:           4
        .value_kind:     hidden_block_count_x
      - .offset:         3156
        .size:           4
        .value_kind:     hidden_block_count_y
      - .offset:         3160
        .size:           4
        .value_kind:     hidden_block_count_z
      - .offset:         3164
        .size:           2
        .value_kind:     hidden_group_size_x
      - .offset:         3166
        .size:           2
        .value_kind:     hidden_group_size_y
      - .offset:         3168
        .size:           2
        .value_kind:     hidden_group_size_z
      - .offset:         3170
        .size:           2
        .value_kind:     hidden_remainder_x
      - .offset:         3172
        .size:           2
        .value_kind:     hidden_remainder_y
      - .offset:         3174
        .size:           2
        .value_kind:     hidden_remainder_z
      - .offset:         3192
        .size:           8
        .value_kind:     hidden_global_offset_x
      - .offset:         3200
        .size:           8
        .value_kind:     hidden_global_offset_y
      - .offset:         3208
        .size:           8
        .value_kind:     hidden_global_offset_z
      - .offset:         3216
        .size:           2
        .value_kind:     hidden_grid_dims
    .group_segment_fixed_size: 0
    .kernarg_segment_align: 8
    .kernarg_segment_size: 3408
    .language:       OpenCL C
    .language_version:
      - 2
      - 0
    .max_flat_workgroup_size: 512
    .name:           _ZN2at6native12_GLOBAL__N_125multi_tensor_apply_kernelINS1_18TensorListMetadataILi3EEENS1_32PointwiseOpScalar0dTensorFunctorIhLi3ELi2ELi0EEEJSt10multipliesIhEhEEEvT_T0_DpT1_
    .private_segment_fixed_size: 0
    .sgpr_count:     23
    .sgpr_spill_count: 0
    .symbol:         _ZN2at6native12_GLOBAL__N_125multi_tensor_apply_kernelINS1_18TensorListMetadataILi3EEENS1_32PointwiseOpScalar0dTensorFunctorIhLi3ELi2ELi0EEEJSt10multipliesIhEhEEEvT_T0_DpT1_.kd
    .uniform_work_group_size: 1
    .uses_dynamic_stack: false
    .vgpr_count:     37
    .vgpr_spill_count: 0
    .wavefront_size: 32
    .workgroup_processor_mode: 1
  - .args:
      - .offset:         0
        .size:           3144
        .value_kind:     by_value
      - .offset:         3144
        .size:           1
        .value_kind:     by_value
      - .offset:         3145
        .size:           1
        .value_kind:     by_value
      - .offset:         3146
        .size:           1
        .value_kind:     by_value
      - .offset:         3152
        .size:           4
        .value_kind:     hidden_block_count_x
      - .offset:         3156
        .size:           4
        .value_kind:     hidden_block_count_y
      - .offset:         3160
        .size:           4
        .value_kind:     hidden_block_count_z
      - .offset:         3164
        .size:           2
        .value_kind:     hidden_group_size_x
      - .offset:         3166
        .size:           2
        .value_kind:     hidden_group_size_y
      - .offset:         3168
        .size:           2
        .value_kind:     hidden_group_size_z
      - .offset:         3170
        .size:           2
        .value_kind:     hidden_remainder_x
      - .offset:         3172
        .size:           2
        .value_kind:     hidden_remainder_y
      - .offset:         3174
        .size:           2
        .value_kind:     hidden_remainder_z
      - .offset:         3192
        .size:           8
        .value_kind:     hidden_global_offset_x
      - .offset:         3200
        .size:           8
        .value_kind:     hidden_global_offset_y
      - .offset:         3208
        .size:           8
        .value_kind:     hidden_global_offset_z
      - .offset:         3216
        .size:           2
        .value_kind:     hidden_grid_dims
    .group_segment_fixed_size: 0
    .kernarg_segment_align: 8
    .kernarg_segment_size: 3408
    .language:       OpenCL C
    .language_version:
      - 2
      - 0
    .max_flat_workgroup_size: 512
    .name:           _ZN2at6native12_GLOBAL__N_125multi_tensor_apply_kernelINS1_18TensorListMetadataILi3EEENS1_32PointwiseOpScalar0dTensorFunctorIaLi3ELi2ELi0EEEJSt10multipliesIaEaEEEvT_T0_DpT1_
    .private_segment_fixed_size: 0
    .sgpr_count:     23
    .sgpr_spill_count: 0
    .symbol:         _ZN2at6native12_GLOBAL__N_125multi_tensor_apply_kernelINS1_18TensorListMetadataILi3EEENS1_32PointwiseOpScalar0dTensorFunctorIaLi3ELi2ELi0EEEJSt10multipliesIaEaEEEvT_T0_DpT1_.kd
    .uniform_work_group_size: 1
    .uses_dynamic_stack: false
    .vgpr_count:     37
    .vgpr_spill_count: 0
    .wavefront_size: 32
    .workgroup_processor_mode: 1
  - .args:
      - .offset:         0
        .size:           3144
        .value_kind:     by_value
      - .offset:         3144
        .size:           1
        .value_kind:     by_value
      - .offset:         3145
        .size:           1
        .value_kind:     by_value
      - .offset:         3148
        .size:           4
        .value_kind:     by_value
      - .offset:         3152
        .size:           4
        .value_kind:     hidden_block_count_x
      - .offset:         3156
        .size:           4
        .value_kind:     hidden_block_count_y
      - .offset:         3160
        .size:           4
        .value_kind:     hidden_block_count_z
      - .offset:         3164
        .size:           2
        .value_kind:     hidden_group_size_x
      - .offset:         3166
        .size:           2
        .value_kind:     hidden_group_size_y
      - .offset:         3168
        .size:           2
        .value_kind:     hidden_group_size_z
      - .offset:         3170
        .size:           2
        .value_kind:     hidden_remainder_x
      - .offset:         3172
        .size:           2
        .value_kind:     hidden_remainder_y
      - .offset:         3174
        .size:           2
        .value_kind:     hidden_remainder_z
      - .offset:         3192
        .size:           8
        .value_kind:     hidden_global_offset_x
      - .offset:         3200
        .size:           8
        .value_kind:     hidden_global_offset_y
      - .offset:         3208
        .size:           8
        .value_kind:     hidden_global_offset_z
      - .offset:         3216
        .size:           2
        .value_kind:     hidden_grid_dims
    .group_segment_fixed_size: 0
    .kernarg_segment_align: 8
    .kernarg_segment_size: 3408
    .language:       OpenCL C
    .language_version:
      - 2
      - 0
    .max_flat_workgroup_size: 512
    .name:           _ZN2at6native12_GLOBAL__N_125multi_tensor_apply_kernelINS1_18TensorListMetadataILi3EEENS1_32PointwiseOpScalar0dTensorFunctorIiLi3ELi2ELi0EEEJSt10multipliesIiEiEEEvT_T0_DpT1_
    .private_segment_fixed_size: 0
    .sgpr_count:     29
    .sgpr_spill_count: 0
    .symbol:         _ZN2at6native12_GLOBAL__N_125multi_tensor_apply_kernelINS1_18TensorListMetadataILi3EEENS1_32PointwiseOpScalar0dTensorFunctorIiLi3ELi2ELi0EEEJSt10multipliesIiEiEEEvT_T0_DpT1_.kd
    .uniform_work_group_size: 1
    .uses_dynamic_stack: false
    .vgpr_count:     35
    .vgpr_spill_count: 0
    .wavefront_size: 32
    .workgroup_processor_mode: 1
  - .args:
      - .offset:         0
        .size:           3144
        .value_kind:     by_value
      - .offset:         3144
        .size:           1
        .value_kind:     by_value
      - .offset:         3145
        .size:           1
        .value_kind:     by_value
      - .offset:         3152
        .size:           8
        .value_kind:     by_value
      - .offset:         3160
        .size:           4
        .value_kind:     hidden_block_count_x
      - .offset:         3164
        .size:           4
        .value_kind:     hidden_block_count_y
      - .offset:         3168
        .size:           4
        .value_kind:     hidden_block_count_z
      - .offset:         3172
        .size:           2
        .value_kind:     hidden_group_size_x
      - .offset:         3174
        .size:           2
        .value_kind:     hidden_group_size_y
      - .offset:         3176
        .size:           2
        .value_kind:     hidden_group_size_z
      - .offset:         3178
        .size:           2
        .value_kind:     hidden_remainder_x
      - .offset:         3180
        .size:           2
        .value_kind:     hidden_remainder_y
      - .offset:         3182
        .size:           2
        .value_kind:     hidden_remainder_z
      - .offset:         3200
        .size:           8
        .value_kind:     hidden_global_offset_x
      - .offset:         3208
        .size:           8
        .value_kind:     hidden_global_offset_y
      - .offset:         3216
        .size:           8
        .value_kind:     hidden_global_offset_z
      - .offset:         3224
        .size:           2
        .value_kind:     hidden_grid_dims
    .group_segment_fixed_size: 0
    .kernarg_segment_align: 8
    .kernarg_segment_size: 3416
    .language:       OpenCL C
    .language_version:
      - 2
      - 0
    .max_flat_workgroup_size: 512
    .name:           _ZN2at6native12_GLOBAL__N_125multi_tensor_apply_kernelINS1_18TensorListMetadataILi3EEENS1_32PointwiseOpScalar0dTensorFunctorIlLi3ELi2ELi0EEEJSt10multipliesIlElEEEvT_T0_DpT1_
    .private_segment_fixed_size: 0
    .sgpr_count:     29
    .sgpr_spill_count: 0
    .symbol:         _ZN2at6native12_GLOBAL__N_125multi_tensor_apply_kernelINS1_18TensorListMetadataILi3EEENS1_32PointwiseOpScalar0dTensorFunctorIlLi3ELi2ELi0EEEJSt10multipliesIlElEEEvT_T0_DpT1_.kd
    .uniform_work_group_size: 1
    .uses_dynamic_stack: false
    .vgpr_count:     42
    .vgpr_spill_count: 0
    .wavefront_size: 32
    .workgroup_processor_mode: 1
  - .args:
      - .offset:         0
        .size:           3144
        .value_kind:     by_value
      - .offset:         3144
        .size:           1
        .value_kind:     by_value
      - .offset:         3145
        .size:           1
        .value_kind:     by_value
      - .offset:         3146
        .size:           2
        .value_kind:     by_value
      - .offset:         3152
        .size:           4
        .value_kind:     hidden_block_count_x
      - .offset:         3156
        .size:           4
        .value_kind:     hidden_block_count_y
      - .offset:         3160
        .size:           4
        .value_kind:     hidden_block_count_z
      - .offset:         3164
        .size:           2
        .value_kind:     hidden_group_size_x
      - .offset:         3166
        .size:           2
        .value_kind:     hidden_group_size_y
      - .offset:         3168
        .size:           2
        .value_kind:     hidden_group_size_z
      - .offset:         3170
        .size:           2
        .value_kind:     hidden_remainder_x
      - .offset:         3172
        .size:           2
        .value_kind:     hidden_remainder_y
      - .offset:         3174
        .size:           2
        .value_kind:     hidden_remainder_z
      - .offset:         3192
        .size:           8
        .value_kind:     hidden_global_offset_x
      - .offset:         3200
        .size:           8
        .value_kind:     hidden_global_offset_y
      - .offset:         3208
        .size:           8
        .value_kind:     hidden_global_offset_z
      - .offset:         3216
        .size:           2
        .value_kind:     hidden_grid_dims
    .group_segment_fixed_size: 0
    .kernarg_segment_align: 8
    .kernarg_segment_size: 3408
    .language:       OpenCL C
    .language_version:
      - 2
      - 0
    .max_flat_workgroup_size: 512
    .name:           _ZN2at6native12_GLOBAL__N_125multi_tensor_apply_kernelINS1_18TensorListMetadataILi3EEENS1_32PointwiseOpScalar0dTensorFunctorIsLi3ELi2ELi0EEEJSt10multipliesIsEsEEEvT_T0_DpT1_
    .private_segment_fixed_size: 0
    .sgpr_count:     20
    .sgpr_spill_count: 0
    .symbol:         _ZN2at6native12_GLOBAL__N_125multi_tensor_apply_kernelINS1_18TensorListMetadataILi3EEENS1_32PointwiseOpScalar0dTensorFunctorIsLi3ELi2ELi0EEEJSt10multipliesIsEsEEEvT_T0_DpT1_.kd
    .uniform_work_group_size: 1
    .uses_dynamic_stack: false
    .vgpr_count:     35
    .vgpr_spill_count: 0
    .wavefront_size: 32
    .workgroup_processor_mode: 1
  - .args:
      - .offset:         0
        .size:           3144
        .value_kind:     by_value
      - .offset:         3144
        .size:           1
        .value_kind:     by_value
      - .offset:         3145
        .size:           1
        .value_kind:     by_value
      - .offset:         3152
        .size:           8
        .value_kind:     by_value
      - .offset:         3160
        .size:           4
        .value_kind:     hidden_block_count_x
      - .offset:         3164
        .size:           4
        .value_kind:     hidden_block_count_y
      - .offset:         3168
        .size:           4
        .value_kind:     hidden_block_count_z
      - .offset:         3172
        .size:           2
        .value_kind:     hidden_group_size_x
      - .offset:         3174
        .size:           2
        .value_kind:     hidden_group_size_y
      - .offset:         3176
        .size:           2
        .value_kind:     hidden_group_size_z
      - .offset:         3178
        .size:           2
        .value_kind:     hidden_remainder_x
      - .offset:         3180
        .size:           2
        .value_kind:     hidden_remainder_y
      - .offset:         3182
        .size:           2
        .value_kind:     hidden_remainder_z
      - .offset:         3200
        .size:           8
        .value_kind:     hidden_global_offset_x
      - .offset:         3208
        .size:           8
        .value_kind:     hidden_global_offset_y
      - .offset:         3216
        .size:           8
        .value_kind:     hidden_global_offset_z
      - .offset:         3224
        .size:           2
        .value_kind:     hidden_grid_dims
    .group_segment_fixed_size: 0
    .kernarg_segment_align: 8
    .kernarg_segment_size: 3416
    .language:       OpenCL C
    .language_version:
      - 2
      - 0
    .max_flat_workgroup_size: 512
    .name:           _ZN2at6native12_GLOBAL__N_125multi_tensor_apply_kernelINS1_18TensorListMetadataILi3EEENS1_32PointwiseOpScalar0dTensorFunctorIdLi3ELi2ELi0EEEJSt10multipliesIdEdEEEvT_T0_DpT1_
    .private_segment_fixed_size: 0
    .sgpr_count:     28
    .sgpr_spill_count: 0
    .symbol:         _ZN2at6native12_GLOBAL__N_125multi_tensor_apply_kernelINS1_18TensorListMetadataILi3EEENS1_32PointwiseOpScalar0dTensorFunctorIdLi3ELi2ELi0EEEJSt10multipliesIdEdEEEvT_T0_DpT1_.kd
    .uniform_work_group_size: 1
    .uses_dynamic_stack: false
    .vgpr_count:     42
    .vgpr_spill_count: 0
    .wavefront_size: 32
    .workgroup_processor_mode: 1
  - .args:
      - .offset:         0
        .size:           3144
        .value_kind:     by_value
      - .offset:         3144
        .size:           1
        .value_kind:     by_value
      - .offset:         3145
        .size:           1
        .value_kind:     by_value
      - .offset:         3148
        .size:           4
        .value_kind:     by_value
      - .offset:         3152
        .size:           4
        .value_kind:     hidden_block_count_x
      - .offset:         3156
        .size:           4
        .value_kind:     hidden_block_count_y
      - .offset:         3160
        .size:           4
        .value_kind:     hidden_block_count_z
      - .offset:         3164
        .size:           2
        .value_kind:     hidden_group_size_x
      - .offset:         3166
        .size:           2
        .value_kind:     hidden_group_size_y
      - .offset:         3168
        .size:           2
        .value_kind:     hidden_group_size_z
      - .offset:         3170
        .size:           2
        .value_kind:     hidden_remainder_x
      - .offset:         3172
        .size:           2
        .value_kind:     hidden_remainder_y
      - .offset:         3174
        .size:           2
        .value_kind:     hidden_remainder_z
      - .offset:         3192
        .size:           8
        .value_kind:     hidden_global_offset_x
      - .offset:         3200
        .size:           8
        .value_kind:     hidden_global_offset_y
      - .offset:         3208
        .size:           8
        .value_kind:     hidden_global_offset_z
      - .offset:         3216
        .size:           2
        .value_kind:     hidden_grid_dims
    .group_segment_fixed_size: 0
    .kernarg_segment_align: 8
    .kernarg_segment_size: 3408
    .language:       OpenCL C
    .language_version:
      - 2
      - 0
    .max_flat_workgroup_size: 512
    .name:           _ZN2at6native12_GLOBAL__N_125multi_tensor_apply_kernelINS1_18TensorListMetadataILi3EEENS1_32PointwiseOpScalar0dTensorFunctorIfLi3ELi2ELi0EEEJSt10multipliesIfEfEEEvT_T0_DpT1_
    .private_segment_fixed_size: 0
    .sgpr_count:     28
    .sgpr_spill_count: 0
    .symbol:         _ZN2at6native12_GLOBAL__N_125multi_tensor_apply_kernelINS1_18TensorListMetadataILi3EEENS1_32PointwiseOpScalar0dTensorFunctorIfLi3ELi2ELi0EEEJSt10multipliesIfEfEEEvT_T0_DpT1_.kd
    .uniform_work_group_size: 1
    .uses_dynamic_stack: false
    .vgpr_count:     34
    .vgpr_spill_count: 0
    .wavefront_size: 32
    .workgroup_processor_mode: 1
  - .args:
      - .offset:         0
        .size:           3144
        .value_kind:     by_value
      - .offset:         3144
        .size:           1
        .value_kind:     by_value
      - .offset:         3145
        .size:           1
        .value_kind:     by_value
      - .offset:         3152
        .size:           16
        .value_kind:     by_value
      - .offset:         3168
        .size:           4
        .value_kind:     hidden_block_count_x
      - .offset:         3172
        .size:           4
        .value_kind:     hidden_block_count_y
      - .offset:         3176
        .size:           4
        .value_kind:     hidden_block_count_z
      - .offset:         3180
        .size:           2
        .value_kind:     hidden_group_size_x
      - .offset:         3182
        .size:           2
        .value_kind:     hidden_group_size_y
      - .offset:         3184
        .size:           2
        .value_kind:     hidden_group_size_z
      - .offset:         3186
        .size:           2
        .value_kind:     hidden_remainder_x
      - .offset:         3188
        .size:           2
        .value_kind:     hidden_remainder_y
      - .offset:         3190
        .size:           2
        .value_kind:     hidden_remainder_z
      - .offset:         3208
        .size:           8
        .value_kind:     hidden_global_offset_x
      - .offset:         3216
        .size:           8
        .value_kind:     hidden_global_offset_y
      - .offset:         3224
        .size:           8
        .value_kind:     hidden_global_offset_z
      - .offset:         3232
        .size:           2
        .value_kind:     hidden_grid_dims
    .group_segment_fixed_size: 0
    .kernarg_segment_align: 16
    .kernarg_segment_size: 3424
    .language:       OpenCL C
    .language_version:
      - 2
      - 0
    .max_flat_workgroup_size: 512
    .name:           _ZN2at6native12_GLOBAL__N_125multi_tensor_apply_kernelINS1_18TensorListMetadataILi3EEENS1_32PointwiseOpScalar0dTensorFunctorIN3c107complexIdEELi3ELi2ELi0EEEJSt10multipliesIS8_ES8_EEEvT_T0_DpT1_
    .private_segment_fixed_size: 0
    .sgpr_count:     32
    .sgpr_spill_count: 0
    .symbol:         _ZN2at6native12_GLOBAL__N_125multi_tensor_apply_kernelINS1_18TensorListMetadataILi3EEENS1_32PointwiseOpScalar0dTensorFunctorIN3c107complexIdEELi3ELi2ELi0EEEJSt10multipliesIS8_ES8_EEEvT_T0_DpT1_.kd
    .uniform_work_group_size: 1
    .uses_dynamic_stack: false
    .vgpr_count:     62
    .vgpr_spill_count: 0
    .wavefront_size: 32
    .workgroup_processor_mode: 1
  - .args:
      - .offset:         0
        .size:           3144
        .value_kind:     by_value
      - .offset:         3144
        .size:           1
        .value_kind:     by_value
      - .offset:         3145
        .size:           1
        .value_kind:     by_value
      - .offset:         3152
        .size:           8
        .value_kind:     by_value
      - .offset:         3160
        .size:           4
        .value_kind:     hidden_block_count_x
      - .offset:         3164
        .size:           4
        .value_kind:     hidden_block_count_y
      - .offset:         3168
        .size:           4
        .value_kind:     hidden_block_count_z
      - .offset:         3172
        .size:           2
        .value_kind:     hidden_group_size_x
      - .offset:         3174
        .size:           2
        .value_kind:     hidden_group_size_y
      - .offset:         3176
        .size:           2
        .value_kind:     hidden_group_size_z
      - .offset:         3178
        .size:           2
        .value_kind:     hidden_remainder_x
      - .offset:         3180
        .size:           2
        .value_kind:     hidden_remainder_y
      - .offset:         3182
        .size:           2
        .value_kind:     hidden_remainder_z
      - .offset:         3200
        .size:           8
        .value_kind:     hidden_global_offset_x
      - .offset:         3208
        .size:           8
        .value_kind:     hidden_global_offset_y
      - .offset:         3216
        .size:           8
        .value_kind:     hidden_global_offset_z
      - .offset:         3224
        .size:           2
        .value_kind:     hidden_grid_dims
    .group_segment_fixed_size: 0
    .kernarg_segment_align: 8
    .kernarg_segment_size: 3416
    .language:       OpenCL C
    .language_version:
      - 2
      - 0
    .max_flat_workgroup_size: 512
    .name:           _ZN2at6native12_GLOBAL__N_125multi_tensor_apply_kernelINS1_18TensorListMetadataILi3EEENS1_32PointwiseOpScalar0dTensorFunctorIN3c107complexIfEELi3ELi2ELi0EEEJSt10multipliesIS8_ES8_EEEvT_T0_DpT1_
    .private_segment_fixed_size: 0
    .sgpr_count:     30
    .sgpr_spill_count: 0
    .symbol:         _ZN2at6native12_GLOBAL__N_125multi_tensor_apply_kernelINS1_18TensorListMetadataILi3EEENS1_32PointwiseOpScalar0dTensorFunctorIN3c107complexIfEELi3ELi2ELi0EEEJSt10multipliesIS8_ES8_EEEvT_T0_DpT1_.kd
    .uniform_work_group_size: 1
    .uses_dynamic_stack: false
    .vgpr_count:     42
    .vgpr_spill_count: 0
    .wavefront_size: 32
    .workgroup_processor_mode: 1
  - .args:
      - .offset:         0
        .size:           3144
        .value_kind:     by_value
      - .offset:         3144
        .size:           1
        .value_kind:     by_value
      - .offset:         3145
        .size:           1
        .value_kind:     by_value
      - .offset:         3148
        .size:           4
        .value_kind:     by_value
      - .offset:         3152
        .size:           4
        .value_kind:     hidden_block_count_x
      - .offset:         3156
        .size:           4
        .value_kind:     hidden_block_count_y
      - .offset:         3160
        .size:           4
        .value_kind:     hidden_block_count_z
      - .offset:         3164
        .size:           2
        .value_kind:     hidden_group_size_x
      - .offset:         3166
        .size:           2
        .value_kind:     hidden_group_size_y
      - .offset:         3168
        .size:           2
        .value_kind:     hidden_group_size_z
      - .offset:         3170
        .size:           2
        .value_kind:     hidden_remainder_x
      - .offset:         3172
        .size:           2
        .value_kind:     hidden_remainder_y
      - .offset:         3174
        .size:           2
        .value_kind:     hidden_remainder_z
      - .offset:         3192
        .size:           8
        .value_kind:     hidden_global_offset_x
      - .offset:         3200
        .size:           8
        .value_kind:     hidden_global_offset_y
      - .offset:         3208
        .size:           8
        .value_kind:     hidden_global_offset_z
      - .offset:         3216
        .size:           2
        .value_kind:     hidden_grid_dims
    .group_segment_fixed_size: 0
    .kernarg_segment_align: 8
    .kernarg_segment_size: 3408
    .language:       OpenCL C
    .language_version:
      - 2
      - 0
    .max_flat_workgroup_size: 512
    .name:           _ZN2at6native12_GLOBAL__N_125multi_tensor_apply_kernelINS1_18TensorListMetadataILi3EEENS1_32PointwiseOpScalar0dTensorFunctorIN3c104HalfELi3ELi2ELi0EEEJSt10multipliesIfEfEEEvT_T0_DpT1_
    .private_segment_fixed_size: 0
    .sgpr_count:     23
    .sgpr_spill_count: 0
    .symbol:         _ZN2at6native12_GLOBAL__N_125multi_tensor_apply_kernelINS1_18TensorListMetadataILi3EEENS1_32PointwiseOpScalar0dTensorFunctorIN3c104HalfELi3ELi2ELi0EEEJSt10multipliesIfEfEEEvT_T0_DpT1_.kd
    .uniform_work_group_size: 1
    .uses_dynamic_stack: false
    .vgpr_count:     37
    .vgpr_spill_count: 0
    .wavefront_size: 32
    .workgroup_processor_mode: 1
  - .args:
      - .offset:         0
        .size:           3144
        .value_kind:     by_value
      - .offset:         3144
        .size:           1
        .value_kind:     by_value
      - .offset:         3145
        .size:           1
        .value_kind:     by_value
      - .offset:         3148
        .size:           4
        .value_kind:     by_value
      - .offset:         3152
        .size:           4
        .value_kind:     hidden_block_count_x
      - .offset:         3156
        .size:           4
        .value_kind:     hidden_block_count_y
      - .offset:         3160
        .size:           4
        .value_kind:     hidden_block_count_z
      - .offset:         3164
        .size:           2
        .value_kind:     hidden_group_size_x
      - .offset:         3166
        .size:           2
        .value_kind:     hidden_group_size_y
      - .offset:         3168
        .size:           2
        .value_kind:     hidden_group_size_z
      - .offset:         3170
        .size:           2
        .value_kind:     hidden_remainder_x
      - .offset:         3172
        .size:           2
        .value_kind:     hidden_remainder_y
      - .offset:         3174
        .size:           2
        .value_kind:     hidden_remainder_z
      - .offset:         3192
        .size:           8
        .value_kind:     hidden_global_offset_x
      - .offset:         3200
        .size:           8
        .value_kind:     hidden_global_offset_y
      - .offset:         3208
        .size:           8
        .value_kind:     hidden_global_offset_z
      - .offset:         3216
        .size:           2
        .value_kind:     hidden_grid_dims
    .group_segment_fixed_size: 0
    .kernarg_segment_align: 8
    .kernarg_segment_size: 3408
    .language:       OpenCL C
    .language_version:
      - 2
      - 0
    .max_flat_workgroup_size: 512
    .name:           _ZN2at6native12_GLOBAL__N_125multi_tensor_apply_kernelINS1_18TensorListMetadataILi3EEENS1_32PointwiseOpScalar0dTensorFunctorIN3c108BFloat16ELi3ELi2ELi0EEEJSt10multipliesIfEfEEEvT_T0_DpT1_
    .private_segment_fixed_size: 0
    .sgpr_count:     20
    .sgpr_spill_count: 0
    .symbol:         _ZN2at6native12_GLOBAL__N_125multi_tensor_apply_kernelINS1_18TensorListMetadataILi3EEENS1_32PointwiseOpScalar0dTensorFunctorIN3c108BFloat16ELi3ELi2ELi0EEEJSt10multipliesIfEfEEEvT_T0_DpT1_.kd
    .uniform_work_group_size: 1
    .uses_dynamic_stack: false
    .vgpr_count:     35
    .vgpr_spill_count: 0
    .wavefront_size: 32
    .workgroup_processor_mode: 1
  - .args:
      - .offset:         0
        .size:           3048
        .value_kind:     by_value
      - .offset:         3048
        .size:           1
        .value_kind:     by_value
      - .offset:         3049
        .size:           1
        .value_kind:     by_value
      - .offset:         3050
        .size:           1
        .value_kind:     by_value
      - .offset:         3056
        .size:           4
        .value_kind:     hidden_block_count_x
      - .offset:         3060
        .size:           4
        .value_kind:     hidden_block_count_y
      - .offset:         3064
        .size:           4
        .value_kind:     hidden_block_count_z
      - .offset:         3068
        .size:           2
        .value_kind:     hidden_group_size_x
      - .offset:         3070
        .size:           2
        .value_kind:     hidden_group_size_y
      - .offset:         3072
        .size:           2
        .value_kind:     hidden_group_size_z
      - .offset:         3074
        .size:           2
        .value_kind:     hidden_remainder_x
      - .offset:         3076
        .size:           2
        .value_kind:     hidden_remainder_y
      - .offset:         3078
        .size:           2
        .value_kind:     hidden_remainder_z
      - .offset:         3096
        .size:           8
        .value_kind:     hidden_global_offset_x
      - .offset:         3104
        .size:           8
        .value_kind:     hidden_global_offset_y
      - .offset:         3112
        .size:           8
        .value_kind:     hidden_global_offset_z
      - .offset:         3120
        .size:           2
        .value_kind:     hidden_grid_dims
    .group_segment_fixed_size: 0
    .kernarg_segment_align: 8
    .kernarg_segment_size: 3312
    .language:       OpenCL C
    .language_version:
      - 2
      - 0
    .max_flat_workgroup_size: 512
    .name:           _ZN2at6native12_GLOBAL__N_125multi_tensor_apply_kernelINS1_18TensorListMetadataILi4EEENS1_24PointwiseOpScalarFunctorIhLi4ELi3ELi3EEEJSt7dividesIhEhEEEvT_T0_DpT1_
    .private_segment_fixed_size: 0
    .sgpr_count:     33
    .sgpr_spill_count: 0
    .symbol:         _ZN2at6native12_GLOBAL__N_125multi_tensor_apply_kernelINS1_18TensorListMetadataILi4EEENS1_24PointwiseOpScalarFunctorIhLi4ELi3ELi3EEEJSt7dividesIhEhEEEvT_T0_DpT1_.kd
    .uniform_work_group_size: 1
    .uses_dynamic_stack: false
    .vgpr_count:     53
    .vgpr_spill_count: 0
    .wavefront_size: 32
    .workgroup_processor_mode: 1
  - .args:
      - .offset:         0
        .size:           3048
        .value_kind:     by_value
      - .offset:         3048
        .size:           1
        .value_kind:     by_value
      - .offset:         3049
        .size:           1
        .value_kind:     by_value
      - .offset:         3050
        .size:           1
        .value_kind:     by_value
      - .offset:         3056
        .size:           4
        .value_kind:     hidden_block_count_x
      - .offset:         3060
        .size:           4
        .value_kind:     hidden_block_count_y
      - .offset:         3064
        .size:           4
        .value_kind:     hidden_block_count_z
      - .offset:         3068
        .size:           2
        .value_kind:     hidden_group_size_x
      - .offset:         3070
        .size:           2
        .value_kind:     hidden_group_size_y
      - .offset:         3072
        .size:           2
        .value_kind:     hidden_group_size_z
      - .offset:         3074
        .size:           2
        .value_kind:     hidden_remainder_x
      - .offset:         3076
        .size:           2
        .value_kind:     hidden_remainder_y
      - .offset:         3078
        .size:           2
        .value_kind:     hidden_remainder_z
      - .offset:         3096
        .size:           8
        .value_kind:     hidden_global_offset_x
      - .offset:         3104
        .size:           8
        .value_kind:     hidden_global_offset_y
      - .offset:         3112
        .size:           8
        .value_kind:     hidden_global_offset_z
      - .offset:         3120
        .size:           2
        .value_kind:     hidden_grid_dims
    .group_segment_fixed_size: 0
    .kernarg_segment_align: 8
    .kernarg_segment_size: 3312
    .language:       OpenCL C
    .language_version:
      - 2
      - 0
    .max_flat_workgroup_size: 512
    .name:           _ZN2at6native12_GLOBAL__N_125multi_tensor_apply_kernelINS1_18TensorListMetadataILi4EEENS1_24PointwiseOpScalarFunctorIaLi4ELi3ELi3EEEJSt7dividesIaEaEEEvT_T0_DpT1_
    .private_segment_fixed_size: 0
    .sgpr_count:     33
    .sgpr_spill_count: 0
    .symbol:         _ZN2at6native12_GLOBAL__N_125multi_tensor_apply_kernelINS1_18TensorListMetadataILi4EEENS1_24PointwiseOpScalarFunctorIaLi4ELi3ELi3EEEJSt7dividesIaEaEEEvT_T0_DpT1_.kd
    .uniform_work_group_size: 1
    .uses_dynamic_stack: false
    .vgpr_count:     54
    .vgpr_spill_count: 0
    .wavefront_size: 32
    .workgroup_processor_mode: 1
  - .args:
      - .offset:         0
        .size:           3048
        .value_kind:     by_value
      - .offset:         3048
        .size:           1
        .value_kind:     by_value
      - .offset:         3049
        .size:           1
        .value_kind:     by_value
      - .offset:         3052
        .size:           4
        .value_kind:     by_value
      - .offset:         3056
        .size:           4
        .value_kind:     hidden_block_count_x
      - .offset:         3060
        .size:           4
        .value_kind:     hidden_block_count_y
      - .offset:         3064
        .size:           4
        .value_kind:     hidden_block_count_z
      - .offset:         3068
        .size:           2
        .value_kind:     hidden_group_size_x
      - .offset:         3070
        .size:           2
        .value_kind:     hidden_group_size_y
      - .offset:         3072
        .size:           2
        .value_kind:     hidden_group_size_z
      - .offset:         3074
        .size:           2
        .value_kind:     hidden_remainder_x
      - .offset:         3076
        .size:           2
        .value_kind:     hidden_remainder_y
      - .offset:         3078
        .size:           2
        .value_kind:     hidden_remainder_z
      - .offset:         3096
        .size:           8
        .value_kind:     hidden_global_offset_x
      - .offset:         3104
        .size:           8
        .value_kind:     hidden_global_offset_y
      - .offset:         3112
        .size:           8
        .value_kind:     hidden_global_offset_z
      - .offset:         3120
        .size:           2
        .value_kind:     hidden_grid_dims
    .group_segment_fixed_size: 0
    .kernarg_segment_align: 8
    .kernarg_segment_size: 3312
    .language:       OpenCL C
    .language_version:
      - 2
      - 0
    .max_flat_workgroup_size: 512
    .name:           _ZN2at6native12_GLOBAL__N_125multi_tensor_apply_kernelINS1_18TensorListMetadataILi4EEENS1_24PointwiseOpScalarFunctorIiLi4ELi3ELi3EEEJSt7dividesIiEiEEEvT_T0_DpT1_
    .private_segment_fixed_size: 0
    .sgpr_count:     31
    .sgpr_spill_count: 0
    .symbol:         _ZN2at6native12_GLOBAL__N_125multi_tensor_apply_kernelINS1_18TensorListMetadataILi4EEENS1_24PointwiseOpScalarFunctorIiLi4ELi3ELi3EEEJSt7dividesIiEiEEEvT_T0_DpT1_.kd
    .uniform_work_group_size: 1
    .uses_dynamic_stack: false
    .vgpr_count:     56
    .vgpr_spill_count: 0
    .wavefront_size: 32
    .workgroup_processor_mode: 1
  - .args:
      - .offset:         0
        .size:           3048
        .value_kind:     by_value
      - .offset:         3048
        .size:           1
        .value_kind:     by_value
      - .offset:         3049
        .size:           1
        .value_kind:     by_value
      - .offset:         3056
        .size:           8
        .value_kind:     by_value
      - .offset:         3064
        .size:           4
        .value_kind:     hidden_block_count_x
      - .offset:         3068
        .size:           4
        .value_kind:     hidden_block_count_y
      - .offset:         3072
        .size:           4
        .value_kind:     hidden_block_count_z
      - .offset:         3076
        .size:           2
        .value_kind:     hidden_group_size_x
      - .offset:         3078
        .size:           2
        .value_kind:     hidden_group_size_y
      - .offset:         3080
        .size:           2
        .value_kind:     hidden_group_size_z
      - .offset:         3082
        .size:           2
        .value_kind:     hidden_remainder_x
      - .offset:         3084
        .size:           2
        .value_kind:     hidden_remainder_y
      - .offset:         3086
        .size:           2
        .value_kind:     hidden_remainder_z
      - .offset:         3104
        .size:           8
        .value_kind:     hidden_global_offset_x
      - .offset:         3112
        .size:           8
        .value_kind:     hidden_global_offset_y
      - .offset:         3120
        .size:           8
        .value_kind:     hidden_global_offset_z
      - .offset:         3128
        .size:           2
        .value_kind:     hidden_grid_dims
    .group_segment_fixed_size: 0
    .kernarg_segment_align: 8
    .kernarg_segment_size: 3320
    .language:       OpenCL C
    .language_version:
      - 2
      - 0
    .max_flat_workgroup_size: 512
    .name:           _ZN2at6native12_GLOBAL__N_125multi_tensor_apply_kernelINS1_18TensorListMetadataILi4EEENS1_24PointwiseOpScalarFunctorIlLi4ELi3ELi3EEEJSt7dividesIlElEEEvT_T0_DpT1_
    .private_segment_fixed_size: 0
    .sgpr_count:     32
    .sgpr_spill_count: 0
    .symbol:         _ZN2at6native12_GLOBAL__N_125multi_tensor_apply_kernelINS1_18TensorListMetadataILi4EEENS1_24PointwiseOpScalarFunctorIlLi4ELi3ELi3EEEJSt7dividesIlElEEEvT_T0_DpT1_.kd
    .uniform_work_group_size: 1
    .uses_dynamic_stack: false
    .vgpr_count:     77
    .vgpr_spill_count: 0
    .wavefront_size: 32
    .workgroup_processor_mode: 1
  - .args:
      - .offset:         0
        .size:           3048
        .value_kind:     by_value
      - .offset:         3048
        .size:           1
        .value_kind:     by_value
      - .offset:         3049
        .size:           1
        .value_kind:     by_value
      - .offset:         3050
        .size:           2
        .value_kind:     by_value
      - .offset:         3056
        .size:           4
        .value_kind:     hidden_block_count_x
      - .offset:         3060
        .size:           4
        .value_kind:     hidden_block_count_y
      - .offset:         3064
        .size:           4
        .value_kind:     hidden_block_count_z
      - .offset:         3068
        .size:           2
        .value_kind:     hidden_group_size_x
      - .offset:         3070
        .size:           2
        .value_kind:     hidden_group_size_y
      - .offset:         3072
        .size:           2
        .value_kind:     hidden_group_size_z
      - .offset:         3074
        .size:           2
        .value_kind:     hidden_remainder_x
      - .offset:         3076
        .size:           2
        .value_kind:     hidden_remainder_y
      - .offset:         3078
        .size:           2
        .value_kind:     hidden_remainder_z
      - .offset:         3096
        .size:           8
        .value_kind:     hidden_global_offset_x
      - .offset:         3104
        .size:           8
        .value_kind:     hidden_global_offset_y
      - .offset:         3112
        .size:           8
        .value_kind:     hidden_global_offset_z
      - .offset:         3120
        .size:           2
        .value_kind:     hidden_grid_dims
    .group_segment_fixed_size: 0
    .kernarg_segment_align: 8
    .kernarg_segment_size: 3312
    .language:       OpenCL C
    .language_version:
      - 2
      - 0
    .max_flat_workgroup_size: 512
    .name:           _ZN2at6native12_GLOBAL__N_125multi_tensor_apply_kernelINS1_18TensorListMetadataILi4EEENS1_24PointwiseOpScalarFunctorIsLi4ELi3ELi3EEEJSt7dividesIsEsEEEvT_T0_DpT1_
    .private_segment_fixed_size: 0
    .sgpr_count:     28
    .sgpr_spill_count: 0
    .symbol:         _ZN2at6native12_GLOBAL__N_125multi_tensor_apply_kernelINS1_18TensorListMetadataILi4EEENS1_24PointwiseOpScalarFunctorIsLi4ELi3ELi3EEEJSt7dividesIsEsEEEvT_T0_DpT1_.kd
    .uniform_work_group_size: 1
    .uses_dynamic_stack: false
    .vgpr_count:     54
    .vgpr_spill_count: 0
    .wavefront_size: 32
    .workgroup_processor_mode: 1
  - .args:
      - .offset:         0
        .size:           3048
        .value_kind:     by_value
      - .offset:         3048
        .size:           1
        .value_kind:     by_value
      - .offset:         3049
        .size:           1
        .value_kind:     by_value
      - .offset:         3056
        .size:           8
        .value_kind:     by_value
      - .offset:         3064
        .size:           4
        .value_kind:     hidden_block_count_x
      - .offset:         3068
        .size:           4
        .value_kind:     hidden_block_count_y
      - .offset:         3072
        .size:           4
        .value_kind:     hidden_block_count_z
      - .offset:         3076
        .size:           2
        .value_kind:     hidden_group_size_x
      - .offset:         3078
        .size:           2
        .value_kind:     hidden_group_size_y
      - .offset:         3080
        .size:           2
        .value_kind:     hidden_group_size_z
      - .offset:         3082
        .size:           2
        .value_kind:     hidden_remainder_x
      - .offset:         3084
        .size:           2
        .value_kind:     hidden_remainder_y
      - .offset:         3086
        .size:           2
        .value_kind:     hidden_remainder_z
      - .offset:         3104
        .size:           8
        .value_kind:     hidden_global_offset_x
      - .offset:         3112
        .size:           8
        .value_kind:     hidden_global_offset_y
      - .offset:         3120
        .size:           8
        .value_kind:     hidden_global_offset_z
      - .offset:         3128
        .size:           2
        .value_kind:     hidden_grid_dims
    .group_segment_fixed_size: 0
    .kernarg_segment_align: 8
    .kernarg_segment_size: 3320
    .language:       OpenCL C
    .language_version:
      - 2
      - 0
    .max_flat_workgroup_size: 512
    .name:           _ZN2at6native12_GLOBAL__N_125multi_tensor_apply_kernelINS1_18TensorListMetadataILi4EEENS1_24PointwiseOpScalarFunctorIdLi4ELi3ELi3EEEJSt7dividesIdEdEEEvT_T0_DpT1_
    .private_segment_fixed_size: 0
    .sgpr_count:     33
    .sgpr_spill_count: 0
    .symbol:         _ZN2at6native12_GLOBAL__N_125multi_tensor_apply_kernelINS1_18TensorListMetadataILi4EEENS1_24PointwiseOpScalarFunctorIdLi4ELi3ELi3EEEJSt7dividesIdEdEEEvT_T0_DpT1_.kd
    .uniform_work_group_size: 1
    .uses_dynamic_stack: false
    .vgpr_count:     71
    .vgpr_spill_count: 0
    .wavefront_size: 32
    .workgroup_processor_mode: 1
  - .args:
      - .offset:         0
        .size:           3048
        .value_kind:     by_value
      - .offset:         3048
        .size:           1
        .value_kind:     by_value
      - .offset:         3049
        .size:           1
        .value_kind:     by_value
      - .offset:         3052
        .size:           4
        .value_kind:     by_value
      - .offset:         3056
        .size:           4
        .value_kind:     hidden_block_count_x
      - .offset:         3060
        .size:           4
        .value_kind:     hidden_block_count_y
      - .offset:         3064
        .size:           4
        .value_kind:     hidden_block_count_z
      - .offset:         3068
        .size:           2
        .value_kind:     hidden_group_size_x
      - .offset:         3070
        .size:           2
        .value_kind:     hidden_group_size_y
      - .offset:         3072
        .size:           2
        .value_kind:     hidden_group_size_z
      - .offset:         3074
        .size:           2
        .value_kind:     hidden_remainder_x
      - .offset:         3076
        .size:           2
        .value_kind:     hidden_remainder_y
      - .offset:         3078
        .size:           2
        .value_kind:     hidden_remainder_z
      - .offset:         3096
        .size:           8
        .value_kind:     hidden_global_offset_x
      - .offset:         3104
        .size:           8
        .value_kind:     hidden_global_offset_y
      - .offset:         3112
        .size:           8
        .value_kind:     hidden_global_offset_z
      - .offset:         3120
        .size:           2
        .value_kind:     hidden_grid_dims
    .group_segment_fixed_size: 0
    .kernarg_segment_align: 8
    .kernarg_segment_size: 3312
    .language:       OpenCL C
    .language_version:
      - 2
      - 0
    .max_flat_workgroup_size: 512
    .name:           _ZN2at6native12_GLOBAL__N_125multi_tensor_apply_kernelINS1_18TensorListMetadataILi4EEENS1_24PointwiseOpScalarFunctorIfLi4ELi3ELi3EEEJSt7dividesIfEfEEEvT_T0_DpT1_
    .private_segment_fixed_size: 0
    .sgpr_count:     32
    .sgpr_spill_count: 0
    .symbol:         _ZN2at6native12_GLOBAL__N_125multi_tensor_apply_kernelINS1_18TensorListMetadataILi4EEENS1_24PointwiseOpScalarFunctorIfLi4ELi3ELi3EEEJSt7dividesIfEfEEEvT_T0_DpT1_.kd
    .uniform_work_group_size: 1
    .uses_dynamic_stack: false
    .vgpr_count:     56
    .vgpr_spill_count: 0
    .wavefront_size: 32
    .workgroup_processor_mode: 1
  - .args:
      - .offset:         0
        .size:           3048
        .value_kind:     by_value
      - .offset:         3048
        .size:           1
        .value_kind:     by_value
      - .offset:         3049
        .size:           1
        .value_kind:     by_value
      - .offset:         3056
        .size:           16
        .value_kind:     by_value
      - .offset:         3072
        .size:           4
        .value_kind:     hidden_block_count_x
      - .offset:         3076
        .size:           4
        .value_kind:     hidden_block_count_y
      - .offset:         3080
        .size:           4
        .value_kind:     hidden_block_count_z
      - .offset:         3084
        .size:           2
        .value_kind:     hidden_group_size_x
      - .offset:         3086
        .size:           2
        .value_kind:     hidden_group_size_y
      - .offset:         3088
        .size:           2
        .value_kind:     hidden_group_size_z
      - .offset:         3090
        .size:           2
        .value_kind:     hidden_remainder_x
      - .offset:         3092
        .size:           2
        .value_kind:     hidden_remainder_y
      - .offset:         3094
        .size:           2
        .value_kind:     hidden_remainder_z
      - .offset:         3112
        .size:           8
        .value_kind:     hidden_global_offset_x
      - .offset:         3120
        .size:           8
        .value_kind:     hidden_global_offset_y
      - .offset:         3128
        .size:           8
        .value_kind:     hidden_global_offset_z
      - .offset:         3136
        .size:           2
        .value_kind:     hidden_grid_dims
    .group_segment_fixed_size: 0
    .kernarg_segment_align: 16
    .kernarg_segment_size: 3328
    .language:       OpenCL C
    .language_version:
      - 2
      - 0
    .max_flat_workgroup_size: 512
    .name:           _ZN2at6native12_GLOBAL__N_125multi_tensor_apply_kernelINS1_18TensorListMetadataILi4EEENS1_24PointwiseOpScalarFunctorIN3c107complexIdEELi4ELi3ELi3EEEJSt7dividesIS8_ES8_EEEvT_T0_DpT1_
    .private_segment_fixed_size: 0
    .sgpr_count:     39
    .sgpr_spill_count: 0
    .symbol:         _ZN2at6native12_GLOBAL__N_125multi_tensor_apply_kernelINS1_18TensorListMetadataILi4EEENS1_24PointwiseOpScalarFunctorIN3c107complexIdEELi4ELi3ELi3EEEJSt7dividesIS8_ES8_EEEvT_T0_DpT1_.kd
    .uniform_work_group_size: 1
    .uses_dynamic_stack: false
    .vgpr_count:     103
    .vgpr_spill_count: 0
    .wavefront_size: 32
    .workgroup_processor_mode: 1
  - .args:
      - .offset:         0
        .size:           3048
        .value_kind:     by_value
      - .offset:         3048
        .size:           1
        .value_kind:     by_value
      - .offset:         3049
        .size:           1
        .value_kind:     by_value
      - .offset:         3056
        .size:           8
        .value_kind:     by_value
      - .offset:         3064
        .size:           4
        .value_kind:     hidden_block_count_x
      - .offset:         3068
        .size:           4
        .value_kind:     hidden_block_count_y
      - .offset:         3072
        .size:           4
        .value_kind:     hidden_block_count_z
      - .offset:         3076
        .size:           2
        .value_kind:     hidden_group_size_x
      - .offset:         3078
        .size:           2
        .value_kind:     hidden_group_size_y
      - .offset:         3080
        .size:           2
        .value_kind:     hidden_group_size_z
      - .offset:         3082
        .size:           2
        .value_kind:     hidden_remainder_x
      - .offset:         3084
        .size:           2
        .value_kind:     hidden_remainder_y
      - .offset:         3086
        .size:           2
        .value_kind:     hidden_remainder_z
      - .offset:         3104
        .size:           8
        .value_kind:     hidden_global_offset_x
      - .offset:         3112
        .size:           8
        .value_kind:     hidden_global_offset_y
      - .offset:         3120
        .size:           8
        .value_kind:     hidden_global_offset_z
      - .offset:         3128
        .size:           2
        .value_kind:     hidden_grid_dims
    .group_segment_fixed_size: 0
    .kernarg_segment_align: 8
    .kernarg_segment_size: 3320
    .language:       OpenCL C
    .language_version:
      - 2
      - 0
    .max_flat_workgroup_size: 512
    .name:           _ZN2at6native12_GLOBAL__N_125multi_tensor_apply_kernelINS1_18TensorListMetadataILi4EEENS1_24PointwiseOpScalarFunctorIN3c107complexIfEELi4ELi3ELi3EEEJSt7dividesIS8_ES8_EEEvT_T0_DpT1_
    .private_segment_fixed_size: 0
    .sgpr_count:     37
    .sgpr_spill_count: 0
    .symbol:         _ZN2at6native12_GLOBAL__N_125multi_tensor_apply_kernelINS1_18TensorListMetadataILi4EEENS1_24PointwiseOpScalarFunctorIN3c107complexIfEELi4ELi3ELi3EEEJSt7dividesIS8_ES8_EEEvT_T0_DpT1_.kd
    .uniform_work_group_size: 1
    .uses_dynamic_stack: false
    .vgpr_count:     71
    .vgpr_spill_count: 0
    .wavefront_size: 32
    .workgroup_processor_mode: 1
  - .args:
      - .offset:         0
        .size:           3048
        .value_kind:     by_value
      - .offset:         3048
        .size:           1
        .value_kind:     by_value
      - .offset:         3049
        .size:           1
        .value_kind:     by_value
      - .offset:         3052
        .size:           4
        .value_kind:     by_value
      - .offset:         3056
        .size:           4
        .value_kind:     hidden_block_count_x
      - .offset:         3060
        .size:           4
        .value_kind:     hidden_block_count_y
      - .offset:         3064
        .size:           4
        .value_kind:     hidden_block_count_z
      - .offset:         3068
        .size:           2
        .value_kind:     hidden_group_size_x
      - .offset:         3070
        .size:           2
        .value_kind:     hidden_group_size_y
      - .offset:         3072
        .size:           2
        .value_kind:     hidden_group_size_z
      - .offset:         3074
        .size:           2
        .value_kind:     hidden_remainder_x
      - .offset:         3076
        .size:           2
        .value_kind:     hidden_remainder_y
      - .offset:         3078
        .size:           2
        .value_kind:     hidden_remainder_z
      - .offset:         3096
        .size:           8
        .value_kind:     hidden_global_offset_x
      - .offset:         3104
        .size:           8
        .value_kind:     hidden_global_offset_y
      - .offset:         3112
        .size:           8
        .value_kind:     hidden_global_offset_z
      - .offset:         3120
        .size:           2
        .value_kind:     hidden_grid_dims
    .group_segment_fixed_size: 0
    .kernarg_segment_align: 8
    .kernarg_segment_size: 3312
    .language:       OpenCL C
    .language_version:
      - 2
      - 0
    .max_flat_workgroup_size: 512
    .name:           _ZN2at6native12_GLOBAL__N_125multi_tensor_apply_kernelINS1_18TensorListMetadataILi4EEENS1_24PointwiseOpScalarFunctorIN3c104HalfELi4ELi3ELi3EEEJSt7dividesIfEfEEEvT_T0_DpT1_
    .private_segment_fixed_size: 0
    .sgpr_count:     29
    .sgpr_spill_count: 0
    .symbol:         _ZN2at6native12_GLOBAL__N_125multi_tensor_apply_kernelINS1_18TensorListMetadataILi4EEENS1_24PointwiseOpScalarFunctorIN3c104HalfELi4ELi3ELi3EEEJSt7dividesIfEfEEEvT_T0_DpT1_.kd
    .uniform_work_group_size: 1
    .uses_dynamic_stack: false
    .vgpr_count:     56
    .vgpr_spill_count: 0
    .wavefront_size: 32
    .workgroup_processor_mode: 1
  - .args:
      - .offset:         0
        .size:           3048
        .value_kind:     by_value
      - .offset:         3048
        .size:           1
        .value_kind:     by_value
      - .offset:         3049
        .size:           1
        .value_kind:     by_value
      - .offset:         3052
        .size:           4
        .value_kind:     by_value
      - .offset:         3056
        .size:           4
        .value_kind:     hidden_block_count_x
      - .offset:         3060
        .size:           4
        .value_kind:     hidden_block_count_y
      - .offset:         3064
        .size:           4
        .value_kind:     hidden_block_count_z
      - .offset:         3068
        .size:           2
        .value_kind:     hidden_group_size_x
      - .offset:         3070
        .size:           2
        .value_kind:     hidden_group_size_y
      - .offset:         3072
        .size:           2
        .value_kind:     hidden_group_size_z
      - .offset:         3074
        .size:           2
        .value_kind:     hidden_remainder_x
      - .offset:         3076
        .size:           2
        .value_kind:     hidden_remainder_y
      - .offset:         3078
        .size:           2
        .value_kind:     hidden_remainder_z
      - .offset:         3096
        .size:           8
        .value_kind:     hidden_global_offset_x
      - .offset:         3104
        .size:           8
        .value_kind:     hidden_global_offset_y
      - .offset:         3112
        .size:           8
        .value_kind:     hidden_global_offset_z
      - .offset:         3120
        .size:           2
        .value_kind:     hidden_grid_dims
    .group_segment_fixed_size: 0
    .kernarg_segment_align: 8
    .kernarg_segment_size: 3312
    .language:       OpenCL C
    .language_version:
      - 2
      - 0
    .max_flat_workgroup_size: 512
    .name:           _ZN2at6native12_GLOBAL__N_125multi_tensor_apply_kernelINS1_18TensorListMetadataILi4EEENS1_24PointwiseOpScalarFunctorIN3c108BFloat16ELi4ELi3ELi3EEEJSt7dividesIfEfEEEvT_T0_DpT1_
    .private_segment_fixed_size: 0
    .sgpr_count:     29
    .sgpr_spill_count: 0
    .symbol:         _ZN2at6native12_GLOBAL__N_125multi_tensor_apply_kernelINS1_18TensorListMetadataILi4EEENS1_24PointwiseOpScalarFunctorIN3c108BFloat16ELi4ELi3ELi3EEEJSt7dividesIfEfEEEvT_T0_DpT1_.kd
    .uniform_work_group_size: 1
    .uses_dynamic_stack: false
    .vgpr_count:     56
    .vgpr_spill_count: 0
    .wavefront_size: 32
    .workgroup_processor_mode: 1
  - .args:
      - .offset:         0
        .size:           3048
        .value_kind:     by_value
      - .offset:         3048
        .size:           1
        .value_kind:     by_value
      - .offset:         3049
        .size:           1
        .value_kind:     by_value
      - .offset:         3050
        .size:           1
        .value_kind:     by_value
      - .offset:         3056
        .size:           4
        .value_kind:     hidden_block_count_x
      - .offset:         3060
        .size:           4
        .value_kind:     hidden_block_count_y
      - .offset:         3064
        .size:           4
        .value_kind:     hidden_block_count_z
      - .offset:         3068
        .size:           2
        .value_kind:     hidden_group_size_x
      - .offset:         3070
        .size:           2
        .value_kind:     hidden_group_size_y
      - .offset:         3072
        .size:           2
        .value_kind:     hidden_group_size_z
      - .offset:         3074
        .size:           2
        .value_kind:     hidden_remainder_x
      - .offset:         3076
        .size:           2
        .value_kind:     hidden_remainder_y
      - .offset:         3078
        .size:           2
        .value_kind:     hidden_remainder_z
      - .offset:         3096
        .size:           8
        .value_kind:     hidden_global_offset_x
      - .offset:         3104
        .size:           8
        .value_kind:     hidden_global_offset_y
      - .offset:         3112
        .size:           8
        .value_kind:     hidden_global_offset_z
      - .offset:         3120
        .size:           2
        .value_kind:     hidden_grid_dims
    .group_segment_fixed_size: 0
    .kernarg_segment_align: 8
    .kernarg_segment_size: 3312
    .language:       OpenCL C
    .language_version:
      - 2
      - 0
    .max_flat_workgroup_size: 512
    .name:           _ZN2at6native12_GLOBAL__N_125multi_tensor_apply_kernelINS1_18TensorListMetadataILi4EEENS1_32PointwiseOpScalar0dTensorFunctorIhLi4ELi2ELi3EEEJSt7dividesIhEhEEEvT_T0_DpT1_
    .private_segment_fixed_size: 0
    .sgpr_count:     26
    .sgpr_spill_count: 0
    .symbol:         _ZN2at6native12_GLOBAL__N_125multi_tensor_apply_kernelINS1_18TensorListMetadataILi4EEENS1_32PointwiseOpScalar0dTensorFunctorIhLi4ELi2ELi3EEEJSt7dividesIhEhEEEvT_T0_DpT1_.kd
    .uniform_work_group_size: 1
    .uses_dynamic_stack: false
    .vgpr_count:     46
    .vgpr_spill_count: 0
    .wavefront_size: 32
    .workgroup_processor_mode: 1
  - .args:
      - .offset:         0
        .size:           3048
        .value_kind:     by_value
      - .offset:         3048
        .size:           1
        .value_kind:     by_value
      - .offset:         3049
        .size:           1
        .value_kind:     by_value
      - .offset:         3050
        .size:           1
        .value_kind:     by_value
      - .offset:         3056
        .size:           4
        .value_kind:     hidden_block_count_x
      - .offset:         3060
        .size:           4
        .value_kind:     hidden_block_count_y
      - .offset:         3064
        .size:           4
        .value_kind:     hidden_block_count_z
      - .offset:         3068
        .size:           2
        .value_kind:     hidden_group_size_x
      - .offset:         3070
        .size:           2
        .value_kind:     hidden_group_size_y
      - .offset:         3072
        .size:           2
        .value_kind:     hidden_group_size_z
      - .offset:         3074
        .size:           2
        .value_kind:     hidden_remainder_x
      - .offset:         3076
        .size:           2
        .value_kind:     hidden_remainder_y
      - .offset:         3078
        .size:           2
        .value_kind:     hidden_remainder_z
      - .offset:         3096
        .size:           8
        .value_kind:     hidden_global_offset_x
      - .offset:         3104
        .size:           8
        .value_kind:     hidden_global_offset_y
      - .offset:         3112
        .size:           8
        .value_kind:     hidden_global_offset_z
      - .offset:         3120
        .size:           2
        .value_kind:     hidden_grid_dims
    .group_segment_fixed_size: 0
    .kernarg_segment_align: 8
    .kernarg_segment_size: 3312
    .language:       OpenCL C
    .language_version:
      - 2
      - 0
    .max_flat_workgroup_size: 512
    .name:           _ZN2at6native12_GLOBAL__N_125multi_tensor_apply_kernelINS1_18TensorListMetadataILi4EEENS1_32PointwiseOpScalar0dTensorFunctorIaLi4ELi2ELi3EEEJSt7dividesIaEaEEEvT_T0_DpT1_
    .private_segment_fixed_size: 0
    .sgpr_count:     26
    .sgpr_spill_count: 0
    .symbol:         _ZN2at6native12_GLOBAL__N_125multi_tensor_apply_kernelINS1_18TensorListMetadataILi4EEENS1_32PointwiseOpScalar0dTensorFunctorIaLi4ELi2ELi3EEEJSt7dividesIaEaEEEvT_T0_DpT1_.kd
    .uniform_work_group_size: 1
    .uses_dynamic_stack: false
    .vgpr_count:     47
    .vgpr_spill_count: 0
    .wavefront_size: 32
    .workgroup_processor_mode: 1
  - .args:
      - .offset:         0
        .size:           3048
        .value_kind:     by_value
      - .offset:         3048
        .size:           1
        .value_kind:     by_value
      - .offset:         3049
        .size:           1
        .value_kind:     by_value
      - .offset:         3052
        .size:           4
        .value_kind:     by_value
      - .offset:         3056
        .size:           4
        .value_kind:     hidden_block_count_x
      - .offset:         3060
        .size:           4
        .value_kind:     hidden_block_count_y
      - .offset:         3064
        .size:           4
        .value_kind:     hidden_block_count_z
      - .offset:         3068
        .size:           2
        .value_kind:     hidden_group_size_x
      - .offset:         3070
        .size:           2
        .value_kind:     hidden_group_size_y
      - .offset:         3072
        .size:           2
        .value_kind:     hidden_group_size_z
      - .offset:         3074
        .size:           2
        .value_kind:     hidden_remainder_x
      - .offset:         3076
        .size:           2
        .value_kind:     hidden_remainder_y
      - .offset:         3078
        .size:           2
        .value_kind:     hidden_remainder_z
      - .offset:         3096
        .size:           8
        .value_kind:     hidden_global_offset_x
      - .offset:         3104
        .size:           8
        .value_kind:     hidden_global_offset_y
      - .offset:         3112
        .size:           8
        .value_kind:     hidden_global_offset_z
      - .offset:         3120
        .size:           2
        .value_kind:     hidden_grid_dims
    .group_segment_fixed_size: 0
    .kernarg_segment_align: 8
    .kernarg_segment_size: 3312
    .language:       OpenCL C
    .language_version:
      - 2
      - 0
    .max_flat_workgroup_size: 512
    .name:           _ZN2at6native12_GLOBAL__N_125multi_tensor_apply_kernelINS1_18TensorListMetadataILi4EEENS1_32PointwiseOpScalar0dTensorFunctorIiLi4ELi2ELi3EEEJSt7dividesIiEiEEEvT_T0_DpT1_
    .private_segment_fixed_size: 0
    .sgpr_count:     34
    .sgpr_spill_count: 0
    .symbol:         _ZN2at6native12_GLOBAL__N_125multi_tensor_apply_kernelINS1_18TensorListMetadataILi4EEENS1_32PointwiseOpScalar0dTensorFunctorIiLi4ELi2ELi3EEEJSt7dividesIiEiEEEvT_T0_DpT1_.kd
    .uniform_work_group_size: 1
    .uses_dynamic_stack: false
    .vgpr_count:     45
    .vgpr_spill_count: 0
    .wavefront_size: 32
    .workgroup_processor_mode: 1
  - .args:
      - .offset:         0
        .size:           3048
        .value_kind:     by_value
      - .offset:         3048
        .size:           1
        .value_kind:     by_value
      - .offset:         3049
        .size:           1
        .value_kind:     by_value
      - .offset:         3056
        .size:           8
        .value_kind:     by_value
      - .offset:         3064
        .size:           4
        .value_kind:     hidden_block_count_x
      - .offset:         3068
        .size:           4
        .value_kind:     hidden_block_count_y
      - .offset:         3072
        .size:           4
        .value_kind:     hidden_block_count_z
      - .offset:         3076
        .size:           2
        .value_kind:     hidden_group_size_x
      - .offset:         3078
        .size:           2
        .value_kind:     hidden_group_size_y
      - .offset:         3080
        .size:           2
        .value_kind:     hidden_group_size_z
      - .offset:         3082
        .size:           2
        .value_kind:     hidden_remainder_x
      - .offset:         3084
        .size:           2
        .value_kind:     hidden_remainder_y
      - .offset:         3086
        .size:           2
        .value_kind:     hidden_remainder_z
      - .offset:         3104
        .size:           8
        .value_kind:     hidden_global_offset_x
      - .offset:         3112
        .size:           8
        .value_kind:     hidden_global_offset_y
      - .offset:         3120
        .size:           8
        .value_kind:     hidden_global_offset_z
      - .offset:         3128
        .size:           2
        .value_kind:     hidden_grid_dims
    .group_segment_fixed_size: 0
    .kernarg_segment_align: 8
    .kernarg_segment_size: 3320
    .language:       OpenCL C
    .language_version:
      - 2
      - 0
    .max_flat_workgroup_size: 512
    .name:           _ZN2at6native12_GLOBAL__N_125multi_tensor_apply_kernelINS1_18TensorListMetadataILi4EEENS1_32PointwiseOpScalar0dTensorFunctorIlLi4ELi2ELi3EEEJSt7dividesIlElEEEvT_T0_DpT1_
    .private_segment_fixed_size: 0
    .sgpr_count:     34
    .sgpr_spill_count: 0
    .symbol:         _ZN2at6native12_GLOBAL__N_125multi_tensor_apply_kernelINS1_18TensorListMetadataILi4EEENS1_32PointwiseOpScalar0dTensorFunctorIlLi4ELi2ELi3EEEJSt7dividesIlElEEEvT_T0_DpT1_.kd
    .uniform_work_group_size: 1
    .uses_dynamic_stack: false
    .vgpr_count:     63
    .vgpr_spill_count: 0
    .wavefront_size: 32
    .workgroup_processor_mode: 1
  - .args:
      - .offset:         0
        .size:           3048
        .value_kind:     by_value
      - .offset:         3048
        .size:           1
        .value_kind:     by_value
      - .offset:         3049
        .size:           1
        .value_kind:     by_value
      - .offset:         3050
        .size:           2
        .value_kind:     by_value
      - .offset:         3056
        .size:           4
        .value_kind:     hidden_block_count_x
      - .offset:         3060
        .size:           4
        .value_kind:     hidden_block_count_y
      - .offset:         3064
        .size:           4
        .value_kind:     hidden_block_count_z
      - .offset:         3068
        .size:           2
        .value_kind:     hidden_group_size_x
      - .offset:         3070
        .size:           2
        .value_kind:     hidden_group_size_y
      - .offset:         3072
        .size:           2
        .value_kind:     hidden_group_size_z
      - .offset:         3074
        .size:           2
        .value_kind:     hidden_remainder_x
      - .offset:         3076
        .size:           2
        .value_kind:     hidden_remainder_y
      - .offset:         3078
        .size:           2
        .value_kind:     hidden_remainder_z
      - .offset:         3096
        .size:           8
        .value_kind:     hidden_global_offset_x
      - .offset:         3104
        .size:           8
        .value_kind:     hidden_global_offset_y
      - .offset:         3112
        .size:           8
        .value_kind:     hidden_global_offset_z
      - .offset:         3120
        .size:           2
        .value_kind:     hidden_grid_dims
    .group_segment_fixed_size: 0
    .kernarg_segment_align: 8
    .kernarg_segment_size: 3312
    .language:       OpenCL C
    .language_version:
      - 2
      - 0
    .max_flat_workgroup_size: 512
    .name:           _ZN2at6native12_GLOBAL__N_125multi_tensor_apply_kernelINS1_18TensorListMetadataILi4EEENS1_32PointwiseOpScalar0dTensorFunctorIsLi4ELi2ELi3EEEJSt7dividesIsEsEEEvT_T0_DpT1_
    .private_segment_fixed_size: 0
    .sgpr_count:     22
    .sgpr_spill_count: 0
    .symbol:         _ZN2at6native12_GLOBAL__N_125multi_tensor_apply_kernelINS1_18TensorListMetadataILi4EEENS1_32PointwiseOpScalar0dTensorFunctorIsLi4ELi2ELi3EEEJSt7dividesIsEsEEEvT_T0_DpT1_.kd
    .uniform_work_group_size: 1
    .uses_dynamic_stack: false
    .vgpr_count:     44
    .vgpr_spill_count: 0
    .wavefront_size: 32
    .workgroup_processor_mode: 1
  - .args:
      - .offset:         0
        .size:           3048
        .value_kind:     by_value
      - .offset:         3048
        .size:           1
        .value_kind:     by_value
      - .offset:         3049
        .size:           1
        .value_kind:     by_value
      - .offset:         3056
        .size:           8
        .value_kind:     by_value
      - .offset:         3064
        .size:           4
        .value_kind:     hidden_block_count_x
      - .offset:         3068
        .size:           4
        .value_kind:     hidden_block_count_y
      - .offset:         3072
        .size:           4
        .value_kind:     hidden_block_count_z
      - .offset:         3076
        .size:           2
        .value_kind:     hidden_group_size_x
      - .offset:         3078
        .size:           2
        .value_kind:     hidden_group_size_y
      - .offset:         3080
        .size:           2
        .value_kind:     hidden_group_size_z
      - .offset:         3082
        .size:           2
        .value_kind:     hidden_remainder_x
      - .offset:         3084
        .size:           2
        .value_kind:     hidden_remainder_y
      - .offset:         3086
        .size:           2
        .value_kind:     hidden_remainder_z
      - .offset:         3104
        .size:           8
        .value_kind:     hidden_global_offset_x
      - .offset:         3112
        .size:           8
        .value_kind:     hidden_global_offset_y
      - .offset:         3120
        .size:           8
        .value_kind:     hidden_global_offset_z
      - .offset:         3128
        .size:           2
        .value_kind:     hidden_grid_dims
    .group_segment_fixed_size: 0
    .kernarg_segment_align: 8
    .kernarg_segment_size: 3320
    .language:       OpenCL C
    .language_version:
      - 2
      - 0
    .max_flat_workgroup_size: 512
    .name:           _ZN2at6native12_GLOBAL__N_125multi_tensor_apply_kernelINS1_18TensorListMetadataILi4EEENS1_32PointwiseOpScalar0dTensorFunctorIdLi4ELi2ELi3EEEJSt7dividesIdEdEEEvT_T0_DpT1_
    .private_segment_fixed_size: 0
    .sgpr_count:     32
    .sgpr_spill_count: 0
    .symbol:         _ZN2at6native12_GLOBAL__N_125multi_tensor_apply_kernelINS1_18TensorListMetadataILi4EEENS1_32PointwiseOpScalar0dTensorFunctorIdLi4ELi2ELi3EEEJSt7dividesIdEdEEEvT_T0_DpT1_.kd
    .uniform_work_group_size: 1
    .uses_dynamic_stack: false
    .vgpr_count:     56
    .vgpr_spill_count: 0
    .wavefront_size: 32
    .workgroup_processor_mode: 1
  - .args:
      - .offset:         0
        .size:           3048
        .value_kind:     by_value
      - .offset:         3048
        .size:           1
        .value_kind:     by_value
      - .offset:         3049
        .size:           1
        .value_kind:     by_value
      - .offset:         3052
        .size:           4
        .value_kind:     by_value
      - .offset:         3056
        .size:           4
        .value_kind:     hidden_block_count_x
      - .offset:         3060
        .size:           4
        .value_kind:     hidden_block_count_y
      - .offset:         3064
        .size:           4
        .value_kind:     hidden_block_count_z
      - .offset:         3068
        .size:           2
        .value_kind:     hidden_group_size_x
      - .offset:         3070
        .size:           2
        .value_kind:     hidden_group_size_y
      - .offset:         3072
        .size:           2
        .value_kind:     hidden_group_size_z
      - .offset:         3074
        .size:           2
        .value_kind:     hidden_remainder_x
      - .offset:         3076
        .size:           2
        .value_kind:     hidden_remainder_y
      - .offset:         3078
        .size:           2
        .value_kind:     hidden_remainder_z
      - .offset:         3096
        .size:           8
        .value_kind:     hidden_global_offset_x
      - .offset:         3104
        .size:           8
        .value_kind:     hidden_global_offset_y
      - .offset:         3112
        .size:           8
        .value_kind:     hidden_global_offset_z
      - .offset:         3120
        .size:           2
        .value_kind:     hidden_grid_dims
    .group_segment_fixed_size: 0
    .kernarg_segment_align: 8
    .kernarg_segment_size: 3312
    .language:       OpenCL C
    .language_version:
      - 2
      - 0
    .max_flat_workgroup_size: 512
    .name:           _ZN2at6native12_GLOBAL__N_125multi_tensor_apply_kernelINS1_18TensorListMetadataILi4EEENS1_32PointwiseOpScalar0dTensorFunctorIfLi4ELi2ELi3EEEJSt7dividesIfEfEEEvT_T0_DpT1_
    .private_segment_fixed_size: 0
    .sgpr_count:     33
    .sgpr_spill_count: 0
    .symbol:         _ZN2at6native12_GLOBAL__N_125multi_tensor_apply_kernelINS1_18TensorListMetadataILi4EEENS1_32PointwiseOpScalar0dTensorFunctorIfLi4ELi2ELi3EEEJSt7dividesIfEfEEEvT_T0_DpT1_.kd
    .uniform_work_group_size: 1
    .uses_dynamic_stack: false
    .vgpr_count:     45
    .vgpr_spill_count: 0
    .wavefront_size: 32
    .workgroup_processor_mode: 1
  - .args:
      - .offset:         0
        .size:           3048
        .value_kind:     by_value
      - .offset:         3048
        .size:           1
        .value_kind:     by_value
      - .offset:         3049
        .size:           1
        .value_kind:     by_value
      - .offset:         3056
        .size:           16
        .value_kind:     by_value
      - .offset:         3072
        .size:           4
        .value_kind:     hidden_block_count_x
      - .offset:         3076
        .size:           4
        .value_kind:     hidden_block_count_y
      - .offset:         3080
        .size:           4
        .value_kind:     hidden_block_count_z
      - .offset:         3084
        .size:           2
        .value_kind:     hidden_group_size_x
      - .offset:         3086
        .size:           2
        .value_kind:     hidden_group_size_y
      - .offset:         3088
        .size:           2
        .value_kind:     hidden_group_size_z
      - .offset:         3090
        .size:           2
        .value_kind:     hidden_remainder_x
      - .offset:         3092
        .size:           2
        .value_kind:     hidden_remainder_y
      - .offset:         3094
        .size:           2
        .value_kind:     hidden_remainder_z
      - .offset:         3112
        .size:           8
        .value_kind:     hidden_global_offset_x
      - .offset:         3120
        .size:           8
        .value_kind:     hidden_global_offset_y
      - .offset:         3128
        .size:           8
        .value_kind:     hidden_global_offset_z
      - .offset:         3136
        .size:           2
        .value_kind:     hidden_grid_dims
    .group_segment_fixed_size: 0
    .kernarg_segment_align: 16
    .kernarg_segment_size: 3328
    .language:       OpenCL C
    .language_version:
      - 2
      - 0
    .max_flat_workgroup_size: 512
    .name:           _ZN2at6native12_GLOBAL__N_125multi_tensor_apply_kernelINS1_18TensorListMetadataILi4EEENS1_32PointwiseOpScalar0dTensorFunctorIN3c107complexIdEELi4ELi2ELi3EEEJSt7dividesIS8_ES8_EEEvT_T0_DpT1_
    .private_segment_fixed_size: 0
    .sgpr_count:     38
    .sgpr_spill_count: 0
    .symbol:         _ZN2at6native12_GLOBAL__N_125multi_tensor_apply_kernelINS1_18TensorListMetadataILi4EEENS1_32PointwiseOpScalar0dTensorFunctorIN3c107complexIdEELi4ELi2ELi3EEEJSt7dividesIS8_ES8_EEEvT_T0_DpT1_.kd
    .uniform_work_group_size: 1
    .uses_dynamic_stack: false
    .vgpr_count:     84
    .vgpr_spill_count: 0
    .wavefront_size: 32
    .workgroup_processor_mode: 1
  - .args:
      - .offset:         0
        .size:           3048
        .value_kind:     by_value
      - .offset:         3048
        .size:           1
        .value_kind:     by_value
      - .offset:         3049
        .size:           1
        .value_kind:     by_value
      - .offset:         3056
        .size:           8
        .value_kind:     by_value
      - .offset:         3064
        .size:           4
        .value_kind:     hidden_block_count_x
      - .offset:         3068
        .size:           4
        .value_kind:     hidden_block_count_y
      - .offset:         3072
        .size:           4
        .value_kind:     hidden_block_count_z
      - .offset:         3076
        .size:           2
        .value_kind:     hidden_group_size_x
      - .offset:         3078
        .size:           2
        .value_kind:     hidden_group_size_y
      - .offset:         3080
        .size:           2
        .value_kind:     hidden_group_size_z
      - .offset:         3082
        .size:           2
        .value_kind:     hidden_remainder_x
      - .offset:         3084
        .size:           2
        .value_kind:     hidden_remainder_y
      - .offset:         3086
        .size:           2
        .value_kind:     hidden_remainder_z
      - .offset:         3104
        .size:           8
        .value_kind:     hidden_global_offset_x
      - .offset:         3112
        .size:           8
        .value_kind:     hidden_global_offset_y
      - .offset:         3120
        .size:           8
        .value_kind:     hidden_global_offset_z
      - .offset:         3128
        .size:           2
        .value_kind:     hidden_grid_dims
    .group_segment_fixed_size: 0
    .kernarg_segment_align: 8
    .kernarg_segment_size: 3320
    .language:       OpenCL C
    .language_version:
      - 2
      - 0
    .max_flat_workgroup_size: 512
    .name:           _ZN2at6native12_GLOBAL__N_125multi_tensor_apply_kernelINS1_18TensorListMetadataILi4EEENS1_32PointwiseOpScalar0dTensorFunctorIN3c107complexIfEELi4ELi2ELi3EEEJSt7dividesIS8_ES8_EEEvT_T0_DpT1_
    .private_segment_fixed_size: 0
    .sgpr_count:     33
    .sgpr_spill_count: 0
    .symbol:         _ZN2at6native12_GLOBAL__N_125multi_tensor_apply_kernelINS1_18TensorListMetadataILi4EEENS1_32PointwiseOpScalar0dTensorFunctorIN3c107complexIfEELi4ELi2ELi3EEEJSt7dividesIS8_ES8_EEEvT_T0_DpT1_.kd
    .uniform_work_group_size: 1
    .uses_dynamic_stack: false
    .vgpr_count:     60
    .vgpr_spill_count: 0
    .wavefront_size: 32
    .workgroup_processor_mode: 1
  - .args:
      - .offset:         0
        .size:           3048
        .value_kind:     by_value
      - .offset:         3048
        .size:           1
        .value_kind:     by_value
      - .offset:         3049
        .size:           1
        .value_kind:     by_value
      - .offset:         3052
        .size:           4
        .value_kind:     by_value
      - .offset:         3056
        .size:           4
        .value_kind:     hidden_block_count_x
      - .offset:         3060
        .size:           4
        .value_kind:     hidden_block_count_y
      - .offset:         3064
        .size:           4
        .value_kind:     hidden_block_count_z
      - .offset:         3068
        .size:           2
        .value_kind:     hidden_group_size_x
      - .offset:         3070
        .size:           2
        .value_kind:     hidden_group_size_y
      - .offset:         3072
        .size:           2
        .value_kind:     hidden_group_size_z
      - .offset:         3074
        .size:           2
        .value_kind:     hidden_remainder_x
      - .offset:         3076
        .size:           2
        .value_kind:     hidden_remainder_y
      - .offset:         3078
        .size:           2
        .value_kind:     hidden_remainder_z
      - .offset:         3096
        .size:           8
        .value_kind:     hidden_global_offset_x
      - .offset:         3104
        .size:           8
        .value_kind:     hidden_global_offset_y
      - .offset:         3112
        .size:           8
        .value_kind:     hidden_global_offset_z
      - .offset:         3120
        .size:           2
        .value_kind:     hidden_grid_dims
    .group_segment_fixed_size: 0
    .kernarg_segment_align: 8
    .kernarg_segment_size: 3312
    .language:       OpenCL C
    .language_version:
      - 2
      - 0
    .max_flat_workgroup_size: 512
    .name:           _ZN2at6native12_GLOBAL__N_125multi_tensor_apply_kernelINS1_18TensorListMetadataILi4EEENS1_32PointwiseOpScalar0dTensorFunctorIN3c104HalfELi4ELi2ELi3EEEJSt7dividesIfEfEEEvT_T0_DpT1_
    .private_segment_fixed_size: 0
    .sgpr_count:     30
    .sgpr_spill_count: 0
    .symbol:         _ZN2at6native12_GLOBAL__N_125multi_tensor_apply_kernelINS1_18TensorListMetadataILi4EEENS1_32PointwiseOpScalar0dTensorFunctorIN3c104HalfELi4ELi2ELi3EEEJSt7dividesIfEfEEEvT_T0_DpT1_.kd
    .uniform_work_group_size: 1
    .uses_dynamic_stack: false
    .vgpr_count:     46
    .vgpr_spill_count: 0
    .wavefront_size: 32
    .workgroup_processor_mode: 1
  - .args:
      - .offset:         0
        .size:           3048
        .value_kind:     by_value
      - .offset:         3048
        .size:           1
        .value_kind:     by_value
      - .offset:         3049
        .size:           1
        .value_kind:     by_value
      - .offset:         3052
        .size:           4
        .value_kind:     by_value
      - .offset:         3056
        .size:           4
        .value_kind:     hidden_block_count_x
      - .offset:         3060
        .size:           4
        .value_kind:     hidden_block_count_y
      - .offset:         3064
        .size:           4
        .value_kind:     hidden_block_count_z
      - .offset:         3068
        .size:           2
        .value_kind:     hidden_group_size_x
      - .offset:         3070
        .size:           2
        .value_kind:     hidden_group_size_y
      - .offset:         3072
        .size:           2
        .value_kind:     hidden_group_size_z
      - .offset:         3074
        .size:           2
        .value_kind:     hidden_remainder_x
      - .offset:         3076
        .size:           2
        .value_kind:     hidden_remainder_y
      - .offset:         3078
        .size:           2
        .value_kind:     hidden_remainder_z
      - .offset:         3096
        .size:           8
        .value_kind:     hidden_global_offset_x
      - .offset:         3104
        .size:           8
        .value_kind:     hidden_global_offset_y
      - .offset:         3112
        .size:           8
        .value_kind:     hidden_global_offset_z
      - .offset:         3120
        .size:           2
        .value_kind:     hidden_grid_dims
    .group_segment_fixed_size: 0
    .kernarg_segment_align: 8
    .kernarg_segment_size: 3312
    .language:       OpenCL C
    .language_version:
      - 2
      - 0
    .max_flat_workgroup_size: 512
    .name:           _ZN2at6native12_GLOBAL__N_125multi_tensor_apply_kernelINS1_18TensorListMetadataILi4EEENS1_32PointwiseOpScalar0dTensorFunctorIN3c108BFloat16ELi4ELi2ELi3EEEJSt7dividesIfEfEEEvT_T0_DpT1_
    .private_segment_fixed_size: 0
    .sgpr_count:     26
    .sgpr_spill_count: 0
    .symbol:         _ZN2at6native12_GLOBAL__N_125multi_tensor_apply_kernelINS1_18TensorListMetadataILi4EEENS1_32PointwiseOpScalar0dTensorFunctorIN3c108BFloat16ELi4ELi2ELi3EEEJSt7dividesIfEfEEEvT_T0_DpT1_.kd
    .uniform_work_group_size: 1
    .uses_dynamic_stack: false
    .vgpr_count:     43
    .vgpr_spill_count: 0
    .wavefront_size: 32
    .workgroup_processor_mode: 1
  - .args:
      - .offset:         0
        .size:           3144
        .value_kind:     by_value
      - .offset:         3144
        .size:           1
        .value_kind:     by_value
      - .offset:         3145
        .size:           1
        .value_kind:     by_value
      - .offset:         3146
        .size:           1
        .value_kind:     by_value
      - .offset:         3152
        .size:           4
        .value_kind:     hidden_block_count_x
      - .offset:         3156
        .size:           4
        .value_kind:     hidden_block_count_y
      - .offset:         3160
        .size:           4
        .value_kind:     hidden_block_count_z
      - .offset:         3164
        .size:           2
        .value_kind:     hidden_group_size_x
      - .offset:         3166
        .size:           2
        .value_kind:     hidden_group_size_y
      - .offset:         3168
        .size:           2
        .value_kind:     hidden_group_size_z
      - .offset:         3170
        .size:           2
        .value_kind:     hidden_remainder_x
      - .offset:         3172
        .size:           2
        .value_kind:     hidden_remainder_y
      - .offset:         3174
        .size:           2
        .value_kind:     hidden_remainder_z
      - .offset:         3192
        .size:           8
        .value_kind:     hidden_global_offset_x
      - .offset:         3200
        .size:           8
        .value_kind:     hidden_global_offset_y
      - .offset:         3208
        .size:           8
        .value_kind:     hidden_global_offset_z
      - .offset:         3216
        .size:           2
        .value_kind:     hidden_grid_dims
    .group_segment_fixed_size: 0
    .kernarg_segment_align: 8
    .kernarg_segment_size: 3408
    .language:       OpenCL C
    .language_version:
      - 2
      - 0
    .max_flat_workgroup_size: 512
    .name:           _ZN2at6native12_GLOBAL__N_125multi_tensor_apply_kernelINS1_18TensorListMetadataILi3EEENS1_24PointwiseOpScalarFunctorIhLi3ELi3ELi0EEEJSt7dividesIhEhEEEvT_T0_DpT1_
    .private_segment_fixed_size: 0
    .sgpr_count:     29
    .sgpr_spill_count: 0
    .symbol:         _ZN2at6native12_GLOBAL__N_125multi_tensor_apply_kernelINS1_18TensorListMetadataILi3EEENS1_24PointwiseOpScalarFunctorIhLi3ELi3ELi0EEEJSt7dividesIhEhEEEvT_T0_DpT1_.kd
    .uniform_work_group_size: 1
    .uses_dynamic_stack: false
    .vgpr_count:     45
    .vgpr_spill_count: 0
    .wavefront_size: 32
    .workgroup_processor_mode: 1
  - .args:
      - .offset:         0
        .size:           3144
        .value_kind:     by_value
      - .offset:         3144
        .size:           1
        .value_kind:     by_value
      - .offset:         3145
        .size:           1
        .value_kind:     by_value
      - .offset:         3146
        .size:           1
        .value_kind:     by_value
      - .offset:         3152
        .size:           4
        .value_kind:     hidden_block_count_x
      - .offset:         3156
        .size:           4
        .value_kind:     hidden_block_count_y
      - .offset:         3160
        .size:           4
        .value_kind:     hidden_block_count_z
      - .offset:         3164
        .size:           2
        .value_kind:     hidden_group_size_x
      - .offset:         3166
        .size:           2
        .value_kind:     hidden_group_size_y
      - .offset:         3168
        .size:           2
        .value_kind:     hidden_group_size_z
      - .offset:         3170
        .size:           2
        .value_kind:     hidden_remainder_x
      - .offset:         3172
        .size:           2
        .value_kind:     hidden_remainder_y
      - .offset:         3174
        .size:           2
        .value_kind:     hidden_remainder_z
      - .offset:         3192
        .size:           8
        .value_kind:     hidden_global_offset_x
      - .offset:         3200
        .size:           8
        .value_kind:     hidden_global_offset_y
      - .offset:         3208
        .size:           8
        .value_kind:     hidden_global_offset_z
      - .offset:         3216
        .size:           2
        .value_kind:     hidden_grid_dims
    .group_segment_fixed_size: 0
    .kernarg_segment_align: 8
    .kernarg_segment_size: 3408
    .language:       OpenCL C
    .language_version:
      - 2
      - 0
    .max_flat_workgroup_size: 512
    .name:           _ZN2at6native12_GLOBAL__N_125multi_tensor_apply_kernelINS1_18TensorListMetadataILi3EEENS1_24PointwiseOpScalarFunctorIaLi3ELi3ELi0EEEJSt7dividesIaEaEEEvT_T0_DpT1_
    .private_segment_fixed_size: 0
    .sgpr_count:     29
    .sgpr_spill_count: 0
    .symbol:         _ZN2at6native12_GLOBAL__N_125multi_tensor_apply_kernelINS1_18TensorListMetadataILi3EEENS1_24PointwiseOpScalarFunctorIaLi3ELi3ELi0EEEJSt7dividesIaEaEEEvT_T0_DpT1_.kd
    .uniform_work_group_size: 1
    .uses_dynamic_stack: false
    .vgpr_count:     46
    .vgpr_spill_count: 0
    .wavefront_size: 32
    .workgroup_processor_mode: 1
  - .args:
      - .offset:         0
        .size:           3144
        .value_kind:     by_value
      - .offset:         3144
        .size:           1
        .value_kind:     by_value
      - .offset:         3145
        .size:           1
        .value_kind:     by_value
      - .offset:         3148
        .size:           4
        .value_kind:     by_value
      - .offset:         3152
        .size:           4
        .value_kind:     hidden_block_count_x
      - .offset:         3156
        .size:           4
        .value_kind:     hidden_block_count_y
      - .offset:         3160
        .size:           4
        .value_kind:     hidden_block_count_z
      - .offset:         3164
        .size:           2
        .value_kind:     hidden_group_size_x
      - .offset:         3166
        .size:           2
        .value_kind:     hidden_group_size_y
      - .offset:         3168
        .size:           2
        .value_kind:     hidden_group_size_z
      - .offset:         3170
        .size:           2
        .value_kind:     hidden_remainder_x
      - .offset:         3172
        .size:           2
        .value_kind:     hidden_remainder_y
      - .offset:         3174
        .size:           2
        .value_kind:     hidden_remainder_z
      - .offset:         3192
        .size:           8
        .value_kind:     hidden_global_offset_x
      - .offset:         3200
        .size:           8
        .value_kind:     hidden_global_offset_y
      - .offset:         3208
        .size:           8
        .value_kind:     hidden_global_offset_z
      - .offset:         3216
        .size:           2
        .value_kind:     hidden_grid_dims
    .group_segment_fixed_size: 0
    .kernarg_segment_align: 8
    .kernarg_segment_size: 3408
    .language:       OpenCL C
    .language_version:
      - 2
      - 0
    .max_flat_workgroup_size: 512
    .name:           _ZN2at6native12_GLOBAL__N_125multi_tensor_apply_kernelINS1_18TensorListMetadataILi3EEENS1_24PointwiseOpScalarFunctorIiLi3ELi3ELi0EEEJSt7dividesIiEiEEEvT_T0_DpT1_
    .private_segment_fixed_size: 0
    .sgpr_count:     27
    .sgpr_spill_count: 0
    .symbol:         _ZN2at6native12_GLOBAL__N_125multi_tensor_apply_kernelINS1_18TensorListMetadataILi3EEENS1_24PointwiseOpScalarFunctorIiLi3ELi3ELi0EEEJSt7dividesIiEiEEEvT_T0_DpT1_.kd
    .uniform_work_group_size: 1
    .uses_dynamic_stack: false
    .vgpr_count:     48
    .vgpr_spill_count: 0
    .wavefront_size: 32
    .workgroup_processor_mode: 1
  - .args:
      - .offset:         0
        .size:           3144
        .value_kind:     by_value
      - .offset:         3144
        .size:           1
        .value_kind:     by_value
      - .offset:         3145
        .size:           1
        .value_kind:     by_value
      - .offset:         3152
        .size:           8
        .value_kind:     by_value
      - .offset:         3160
        .size:           4
        .value_kind:     hidden_block_count_x
      - .offset:         3164
        .size:           4
        .value_kind:     hidden_block_count_y
      - .offset:         3168
        .size:           4
        .value_kind:     hidden_block_count_z
      - .offset:         3172
        .size:           2
        .value_kind:     hidden_group_size_x
      - .offset:         3174
        .size:           2
        .value_kind:     hidden_group_size_y
      - .offset:         3176
        .size:           2
        .value_kind:     hidden_group_size_z
      - .offset:         3178
        .size:           2
        .value_kind:     hidden_remainder_x
      - .offset:         3180
        .size:           2
        .value_kind:     hidden_remainder_y
      - .offset:         3182
        .size:           2
        .value_kind:     hidden_remainder_z
      - .offset:         3200
        .size:           8
        .value_kind:     hidden_global_offset_x
      - .offset:         3208
        .size:           8
        .value_kind:     hidden_global_offset_y
      - .offset:         3216
        .size:           8
        .value_kind:     hidden_global_offset_z
      - .offset:         3224
        .size:           2
        .value_kind:     hidden_grid_dims
    .group_segment_fixed_size: 0
    .kernarg_segment_align: 8
    .kernarg_segment_size: 3416
    .language:       OpenCL C
    .language_version:
      - 2
      - 0
    .max_flat_workgroup_size: 512
    .name:           _ZN2at6native12_GLOBAL__N_125multi_tensor_apply_kernelINS1_18TensorListMetadataILi3EEENS1_24PointwiseOpScalarFunctorIlLi3ELi3ELi0EEEJSt7dividesIlElEEEvT_T0_DpT1_
    .private_segment_fixed_size: 0
    .sgpr_count:     28
    .sgpr_spill_count: 0
    .symbol:         _ZN2at6native12_GLOBAL__N_125multi_tensor_apply_kernelINS1_18TensorListMetadataILi3EEENS1_24PointwiseOpScalarFunctorIlLi3ELi3ELi0EEEJSt7dividesIlElEEEvT_T0_DpT1_.kd
    .uniform_work_group_size: 1
    .uses_dynamic_stack: false
    .vgpr_count:     69
    .vgpr_spill_count: 0
    .wavefront_size: 32
    .workgroup_processor_mode: 1
  - .args:
      - .offset:         0
        .size:           3144
        .value_kind:     by_value
      - .offset:         3144
        .size:           1
        .value_kind:     by_value
      - .offset:         3145
        .size:           1
        .value_kind:     by_value
      - .offset:         3146
        .size:           2
        .value_kind:     by_value
      - .offset:         3152
        .size:           4
        .value_kind:     hidden_block_count_x
      - .offset:         3156
        .size:           4
        .value_kind:     hidden_block_count_y
      - .offset:         3160
        .size:           4
        .value_kind:     hidden_block_count_z
      - .offset:         3164
        .size:           2
        .value_kind:     hidden_group_size_x
      - .offset:         3166
        .size:           2
        .value_kind:     hidden_group_size_y
      - .offset:         3168
        .size:           2
        .value_kind:     hidden_group_size_z
      - .offset:         3170
        .size:           2
        .value_kind:     hidden_remainder_x
      - .offset:         3172
        .size:           2
        .value_kind:     hidden_remainder_y
      - .offset:         3174
        .size:           2
        .value_kind:     hidden_remainder_z
      - .offset:         3192
        .size:           8
        .value_kind:     hidden_global_offset_x
      - .offset:         3200
        .size:           8
        .value_kind:     hidden_global_offset_y
      - .offset:         3208
        .size:           8
        .value_kind:     hidden_global_offset_z
      - .offset:         3216
        .size:           2
        .value_kind:     hidden_grid_dims
    .group_segment_fixed_size: 0
    .kernarg_segment_align: 8
    .kernarg_segment_size: 3408
    .language:       OpenCL C
    .language_version:
      - 2
      - 0
    .max_flat_workgroup_size: 512
    .name:           _ZN2at6native12_GLOBAL__N_125multi_tensor_apply_kernelINS1_18TensorListMetadataILi3EEENS1_24PointwiseOpScalarFunctorIsLi3ELi3ELi0EEEJSt7dividesIsEsEEEvT_T0_DpT1_
    .private_segment_fixed_size: 0
    .sgpr_count:     26
    .sgpr_spill_count: 0
    .symbol:         _ZN2at6native12_GLOBAL__N_125multi_tensor_apply_kernelINS1_18TensorListMetadataILi3EEENS1_24PointwiseOpScalarFunctorIsLi3ELi3ELi0EEEJSt7dividesIsEsEEEvT_T0_DpT1_.kd
    .uniform_work_group_size: 1
    .uses_dynamic_stack: false
    .vgpr_count:     46
    .vgpr_spill_count: 0
    .wavefront_size: 32
    .workgroup_processor_mode: 1
  - .args:
      - .offset:         0
        .size:           3144
        .value_kind:     by_value
      - .offset:         3144
        .size:           1
        .value_kind:     by_value
      - .offset:         3145
        .size:           1
        .value_kind:     by_value
      - .offset:         3152
        .size:           8
        .value_kind:     by_value
      - .offset:         3160
        .size:           4
        .value_kind:     hidden_block_count_x
      - .offset:         3164
        .size:           4
        .value_kind:     hidden_block_count_y
      - .offset:         3168
        .size:           4
        .value_kind:     hidden_block_count_z
      - .offset:         3172
        .size:           2
        .value_kind:     hidden_group_size_x
      - .offset:         3174
        .size:           2
        .value_kind:     hidden_group_size_y
      - .offset:         3176
        .size:           2
        .value_kind:     hidden_group_size_z
      - .offset:         3178
        .size:           2
        .value_kind:     hidden_remainder_x
      - .offset:         3180
        .size:           2
        .value_kind:     hidden_remainder_y
      - .offset:         3182
        .size:           2
        .value_kind:     hidden_remainder_z
      - .offset:         3200
        .size:           8
        .value_kind:     hidden_global_offset_x
      - .offset:         3208
        .size:           8
        .value_kind:     hidden_global_offset_y
      - .offset:         3216
        .size:           8
        .value_kind:     hidden_global_offset_z
      - .offset:         3224
        .size:           2
        .value_kind:     hidden_grid_dims
    .group_segment_fixed_size: 0
    .kernarg_segment_align: 8
    .kernarg_segment_size: 3416
    .language:       OpenCL C
    .language_version:
      - 2
      - 0
    .max_flat_workgroup_size: 512
    .name:           _ZN2at6native12_GLOBAL__N_125multi_tensor_apply_kernelINS1_18TensorListMetadataILi3EEENS1_24PointwiseOpScalarFunctorIdLi3ELi3ELi0EEEJSt7dividesIdEdEEEvT_T0_DpT1_
    .private_segment_fixed_size: 0
    .sgpr_count:     29
    .sgpr_spill_count: 0
    .symbol:         _ZN2at6native12_GLOBAL__N_125multi_tensor_apply_kernelINS1_18TensorListMetadataILi3EEENS1_24PointwiseOpScalarFunctorIdLi3ELi3ELi0EEEJSt7dividesIdEdEEEvT_T0_DpT1_.kd
    .uniform_work_group_size: 1
    .uses_dynamic_stack: false
    .vgpr_count:     63
    .vgpr_spill_count: 0
    .wavefront_size: 32
    .workgroup_processor_mode: 1
  - .args:
      - .offset:         0
        .size:           3144
        .value_kind:     by_value
      - .offset:         3144
        .size:           1
        .value_kind:     by_value
      - .offset:         3145
        .size:           1
        .value_kind:     by_value
      - .offset:         3148
        .size:           4
        .value_kind:     by_value
      - .offset:         3152
        .size:           4
        .value_kind:     hidden_block_count_x
      - .offset:         3156
        .size:           4
        .value_kind:     hidden_block_count_y
      - .offset:         3160
        .size:           4
        .value_kind:     hidden_block_count_z
      - .offset:         3164
        .size:           2
        .value_kind:     hidden_group_size_x
      - .offset:         3166
        .size:           2
        .value_kind:     hidden_group_size_y
      - .offset:         3168
        .size:           2
        .value_kind:     hidden_group_size_z
      - .offset:         3170
        .size:           2
        .value_kind:     hidden_remainder_x
      - .offset:         3172
        .size:           2
        .value_kind:     hidden_remainder_y
      - .offset:         3174
        .size:           2
        .value_kind:     hidden_remainder_z
      - .offset:         3192
        .size:           8
        .value_kind:     hidden_global_offset_x
      - .offset:         3200
        .size:           8
        .value_kind:     hidden_global_offset_y
      - .offset:         3208
        .size:           8
        .value_kind:     hidden_global_offset_z
      - .offset:         3216
        .size:           2
        .value_kind:     hidden_grid_dims
    .group_segment_fixed_size: 0
    .kernarg_segment_align: 8
    .kernarg_segment_size: 3408
    .language:       OpenCL C
    .language_version:
      - 2
      - 0
    .max_flat_workgroup_size: 512
    .name:           _ZN2at6native12_GLOBAL__N_125multi_tensor_apply_kernelINS1_18TensorListMetadataILi3EEENS1_24PointwiseOpScalarFunctorIfLi3ELi3ELi0EEEJSt7dividesIfEfEEEvT_T0_DpT1_
    .private_segment_fixed_size: 0
    .sgpr_count:     28
    .sgpr_spill_count: 0
    .symbol:         _ZN2at6native12_GLOBAL__N_125multi_tensor_apply_kernelINS1_18TensorListMetadataILi3EEENS1_24PointwiseOpScalarFunctorIfLi3ELi3ELi0EEEJSt7dividesIfEfEEEvT_T0_DpT1_.kd
    .uniform_work_group_size: 1
    .uses_dynamic_stack: false
    .vgpr_count:     48
    .vgpr_spill_count: 0
    .wavefront_size: 32
    .workgroup_processor_mode: 1
  - .args:
      - .offset:         0
        .size:           3144
        .value_kind:     by_value
      - .offset:         3144
        .size:           1
        .value_kind:     by_value
      - .offset:         3145
        .size:           1
        .value_kind:     by_value
      - .offset:         3152
        .size:           16
        .value_kind:     by_value
      - .offset:         3168
        .size:           4
        .value_kind:     hidden_block_count_x
      - .offset:         3172
        .size:           4
        .value_kind:     hidden_block_count_y
      - .offset:         3176
        .size:           4
        .value_kind:     hidden_block_count_z
      - .offset:         3180
        .size:           2
        .value_kind:     hidden_group_size_x
      - .offset:         3182
        .size:           2
        .value_kind:     hidden_group_size_y
      - .offset:         3184
        .size:           2
        .value_kind:     hidden_group_size_z
      - .offset:         3186
        .size:           2
        .value_kind:     hidden_remainder_x
      - .offset:         3188
        .size:           2
        .value_kind:     hidden_remainder_y
      - .offset:         3190
        .size:           2
        .value_kind:     hidden_remainder_z
      - .offset:         3208
        .size:           8
        .value_kind:     hidden_global_offset_x
      - .offset:         3216
        .size:           8
        .value_kind:     hidden_global_offset_y
      - .offset:         3224
        .size:           8
        .value_kind:     hidden_global_offset_z
      - .offset:         3232
        .size:           2
        .value_kind:     hidden_grid_dims
    .group_segment_fixed_size: 0
    .kernarg_segment_align: 16
    .kernarg_segment_size: 3424
    .language:       OpenCL C
    .language_version:
      - 2
      - 0
    .max_flat_workgroup_size: 512
    .name:           _ZN2at6native12_GLOBAL__N_125multi_tensor_apply_kernelINS1_18TensorListMetadataILi3EEENS1_24PointwiseOpScalarFunctorIN3c107complexIdEELi3ELi3ELi0EEEJSt7dividesIS8_ES8_EEEvT_T0_DpT1_
    .private_segment_fixed_size: 0
    .sgpr_count:     37
    .sgpr_spill_count: 0
    .symbol:         _ZN2at6native12_GLOBAL__N_125multi_tensor_apply_kernelINS1_18TensorListMetadataILi3EEENS1_24PointwiseOpScalarFunctorIN3c107complexIdEELi3ELi3ELi0EEEJSt7dividesIS8_ES8_EEEvT_T0_DpT1_.kd
    .uniform_work_group_size: 1
    .uses_dynamic_stack: false
    .vgpr_count:     95
    .vgpr_spill_count: 0
    .wavefront_size: 32
    .workgroup_processor_mode: 1
  - .args:
      - .offset:         0
        .size:           3144
        .value_kind:     by_value
      - .offset:         3144
        .size:           1
        .value_kind:     by_value
      - .offset:         3145
        .size:           1
        .value_kind:     by_value
      - .offset:         3152
        .size:           8
        .value_kind:     by_value
      - .offset:         3160
        .size:           4
        .value_kind:     hidden_block_count_x
      - .offset:         3164
        .size:           4
        .value_kind:     hidden_block_count_y
      - .offset:         3168
        .size:           4
        .value_kind:     hidden_block_count_z
      - .offset:         3172
        .size:           2
        .value_kind:     hidden_group_size_x
      - .offset:         3174
        .size:           2
        .value_kind:     hidden_group_size_y
      - .offset:         3176
        .size:           2
        .value_kind:     hidden_group_size_z
      - .offset:         3178
        .size:           2
        .value_kind:     hidden_remainder_x
      - .offset:         3180
        .size:           2
        .value_kind:     hidden_remainder_y
      - .offset:         3182
        .size:           2
        .value_kind:     hidden_remainder_z
      - .offset:         3200
        .size:           8
        .value_kind:     hidden_global_offset_x
      - .offset:         3208
        .size:           8
        .value_kind:     hidden_global_offset_y
      - .offset:         3216
        .size:           8
        .value_kind:     hidden_global_offset_z
      - .offset:         3224
        .size:           2
        .value_kind:     hidden_grid_dims
    .group_segment_fixed_size: 0
    .kernarg_segment_align: 8
    .kernarg_segment_size: 3416
    .language:       OpenCL C
    .language_version:
      - 2
      - 0
    .max_flat_workgroup_size: 512
    .name:           _ZN2at6native12_GLOBAL__N_125multi_tensor_apply_kernelINS1_18TensorListMetadataILi3EEENS1_24PointwiseOpScalarFunctorIN3c107complexIfEELi3ELi3ELi0EEEJSt7dividesIS8_ES8_EEEvT_T0_DpT1_
    .private_segment_fixed_size: 0
    .sgpr_count:     31
    .sgpr_spill_count: 0
    .symbol:         _ZN2at6native12_GLOBAL__N_125multi_tensor_apply_kernelINS1_18TensorListMetadataILi3EEENS1_24PointwiseOpScalarFunctorIN3c107complexIfEELi3ELi3ELi0EEEJSt7dividesIS8_ES8_EEEvT_T0_DpT1_.kd
    .uniform_work_group_size: 1
    .uses_dynamic_stack: false
    .vgpr_count:     67
    .vgpr_spill_count: 0
    .wavefront_size: 32
    .workgroup_processor_mode: 1
  - .args:
      - .offset:         0
        .size:           3144
        .value_kind:     by_value
      - .offset:         3144
        .size:           1
        .value_kind:     by_value
      - .offset:         3145
        .size:           1
        .value_kind:     by_value
      - .offset:         3148
        .size:           4
        .value_kind:     by_value
      - .offset:         3152
        .size:           4
        .value_kind:     hidden_block_count_x
      - .offset:         3156
        .size:           4
        .value_kind:     hidden_block_count_y
      - .offset:         3160
        .size:           4
        .value_kind:     hidden_block_count_z
      - .offset:         3164
        .size:           2
        .value_kind:     hidden_group_size_x
      - .offset:         3166
        .size:           2
        .value_kind:     hidden_group_size_y
      - .offset:         3168
        .size:           2
        .value_kind:     hidden_group_size_z
      - .offset:         3170
        .size:           2
        .value_kind:     hidden_remainder_x
      - .offset:         3172
        .size:           2
        .value_kind:     hidden_remainder_y
      - .offset:         3174
        .size:           2
        .value_kind:     hidden_remainder_z
      - .offset:         3192
        .size:           8
        .value_kind:     hidden_global_offset_x
      - .offset:         3200
        .size:           8
        .value_kind:     hidden_global_offset_y
      - .offset:         3208
        .size:           8
        .value_kind:     hidden_global_offset_z
      - .offset:         3216
        .size:           2
        .value_kind:     hidden_grid_dims
    .group_segment_fixed_size: 0
    .kernarg_segment_align: 8
    .kernarg_segment_size: 3408
    .language:       OpenCL C
    .language_version:
      - 2
      - 0
    .max_flat_workgroup_size: 512
    .name:           _ZN2at6native12_GLOBAL__N_125multi_tensor_apply_kernelINS1_18TensorListMetadataILi3EEENS1_24PointwiseOpScalarFunctorIN3c104HalfELi3ELi3ELi0EEEJSt7dividesIfEfEEEvT_T0_DpT1_
    .private_segment_fixed_size: 0
    .sgpr_count:     27
    .sgpr_spill_count: 0
    .symbol:         _ZN2at6native12_GLOBAL__N_125multi_tensor_apply_kernelINS1_18TensorListMetadataILi3EEENS1_24PointwiseOpScalarFunctorIN3c104HalfELi3ELi3ELi0EEEJSt7dividesIfEfEEEvT_T0_DpT1_.kd
    .uniform_work_group_size: 1
    .uses_dynamic_stack: false
    .vgpr_count:     48
    .vgpr_spill_count: 0
    .wavefront_size: 32
    .workgroup_processor_mode: 1
  - .args:
      - .offset:         0
        .size:           3144
        .value_kind:     by_value
      - .offset:         3144
        .size:           1
        .value_kind:     by_value
      - .offset:         3145
        .size:           1
        .value_kind:     by_value
      - .offset:         3148
        .size:           4
        .value_kind:     by_value
      - .offset:         3152
        .size:           4
        .value_kind:     hidden_block_count_x
      - .offset:         3156
        .size:           4
        .value_kind:     hidden_block_count_y
      - .offset:         3160
        .size:           4
        .value_kind:     hidden_block_count_z
      - .offset:         3164
        .size:           2
        .value_kind:     hidden_group_size_x
      - .offset:         3166
        .size:           2
        .value_kind:     hidden_group_size_y
      - .offset:         3168
        .size:           2
        .value_kind:     hidden_group_size_z
      - .offset:         3170
        .size:           2
        .value_kind:     hidden_remainder_x
      - .offset:         3172
        .size:           2
        .value_kind:     hidden_remainder_y
      - .offset:         3174
        .size:           2
        .value_kind:     hidden_remainder_z
      - .offset:         3192
        .size:           8
        .value_kind:     hidden_global_offset_x
      - .offset:         3200
        .size:           8
        .value_kind:     hidden_global_offset_y
      - .offset:         3208
        .size:           8
        .value_kind:     hidden_global_offset_z
      - .offset:         3216
        .size:           2
        .value_kind:     hidden_grid_dims
    .group_segment_fixed_size: 0
    .kernarg_segment_align: 8
    .kernarg_segment_size: 3408
    .language:       OpenCL C
    .language_version:
      - 2
      - 0
    .max_flat_workgroup_size: 512
    .name:           _ZN2at6native12_GLOBAL__N_125multi_tensor_apply_kernelINS1_18TensorListMetadataILi3EEENS1_24PointwiseOpScalarFunctorIN3c108BFloat16ELi3ELi3ELi0EEEJSt7dividesIfEfEEEvT_T0_DpT1_
    .private_segment_fixed_size: 0
    .sgpr_count:     27
    .sgpr_spill_count: 0
    .symbol:         _ZN2at6native12_GLOBAL__N_125multi_tensor_apply_kernelINS1_18TensorListMetadataILi3EEENS1_24PointwiseOpScalarFunctorIN3c108BFloat16ELi3ELi3ELi0EEEJSt7dividesIfEfEEEvT_T0_DpT1_.kd
    .uniform_work_group_size: 1
    .uses_dynamic_stack: false
    .vgpr_count:     48
    .vgpr_spill_count: 0
    .wavefront_size: 32
    .workgroup_processor_mode: 1
  - .args:
      - .offset:         0
        .size:           3144
        .value_kind:     by_value
      - .offset:         3144
        .size:           1
        .value_kind:     by_value
      - .offset:         3145
        .size:           1
        .value_kind:     by_value
      - .offset:         3146
        .size:           1
        .value_kind:     by_value
      - .offset:         3152
        .size:           4
        .value_kind:     hidden_block_count_x
      - .offset:         3156
        .size:           4
        .value_kind:     hidden_block_count_y
      - .offset:         3160
        .size:           4
        .value_kind:     hidden_block_count_z
      - .offset:         3164
        .size:           2
        .value_kind:     hidden_group_size_x
      - .offset:         3166
        .size:           2
        .value_kind:     hidden_group_size_y
      - .offset:         3168
        .size:           2
        .value_kind:     hidden_group_size_z
      - .offset:         3170
        .size:           2
        .value_kind:     hidden_remainder_x
      - .offset:         3172
        .size:           2
        .value_kind:     hidden_remainder_y
      - .offset:         3174
        .size:           2
        .value_kind:     hidden_remainder_z
      - .offset:         3192
        .size:           8
        .value_kind:     hidden_global_offset_x
      - .offset:         3200
        .size:           8
        .value_kind:     hidden_global_offset_y
      - .offset:         3208
        .size:           8
        .value_kind:     hidden_global_offset_z
      - .offset:         3216
        .size:           2
        .value_kind:     hidden_grid_dims
    .group_segment_fixed_size: 0
    .kernarg_segment_align: 8
    .kernarg_segment_size: 3408
    .language:       OpenCL C
    .language_version:
      - 2
      - 0
    .max_flat_workgroup_size: 512
    .name:           _ZN2at6native12_GLOBAL__N_125multi_tensor_apply_kernelINS1_18TensorListMetadataILi3EEENS1_32PointwiseOpScalar0dTensorFunctorIhLi3ELi2ELi0EEEJSt7dividesIhEhEEEvT_T0_DpT1_
    .private_segment_fixed_size: 0
    .sgpr_count:     22
    .sgpr_spill_count: 0
    .symbol:         _ZN2at6native12_GLOBAL__N_125multi_tensor_apply_kernelINS1_18TensorListMetadataILi3EEENS1_32PointwiseOpScalar0dTensorFunctorIhLi3ELi2ELi0EEEJSt7dividesIhEhEEEvT_T0_DpT1_.kd
    .uniform_work_group_size: 1
    .uses_dynamic_stack: false
    .vgpr_count:     38
    .vgpr_spill_count: 0
    .wavefront_size: 32
    .workgroup_processor_mode: 1
  - .args:
      - .offset:         0
        .size:           3144
        .value_kind:     by_value
      - .offset:         3144
        .size:           1
        .value_kind:     by_value
      - .offset:         3145
        .size:           1
        .value_kind:     by_value
      - .offset:         3146
        .size:           1
        .value_kind:     by_value
      - .offset:         3152
        .size:           4
        .value_kind:     hidden_block_count_x
      - .offset:         3156
        .size:           4
        .value_kind:     hidden_block_count_y
      - .offset:         3160
        .size:           4
        .value_kind:     hidden_block_count_z
      - .offset:         3164
        .size:           2
        .value_kind:     hidden_group_size_x
      - .offset:         3166
        .size:           2
        .value_kind:     hidden_group_size_y
      - .offset:         3168
        .size:           2
        .value_kind:     hidden_group_size_z
      - .offset:         3170
        .size:           2
        .value_kind:     hidden_remainder_x
      - .offset:         3172
        .size:           2
        .value_kind:     hidden_remainder_y
      - .offset:         3174
        .size:           2
        .value_kind:     hidden_remainder_z
      - .offset:         3192
        .size:           8
        .value_kind:     hidden_global_offset_x
      - .offset:         3200
        .size:           8
        .value_kind:     hidden_global_offset_y
      - .offset:         3208
        .size:           8
        .value_kind:     hidden_global_offset_z
      - .offset:         3216
        .size:           2
        .value_kind:     hidden_grid_dims
    .group_segment_fixed_size: 0
    .kernarg_segment_align: 8
    .kernarg_segment_size: 3408
    .language:       OpenCL C
    .language_version:
      - 2
      - 0
    .max_flat_workgroup_size: 512
    .name:           _ZN2at6native12_GLOBAL__N_125multi_tensor_apply_kernelINS1_18TensorListMetadataILi3EEENS1_32PointwiseOpScalar0dTensorFunctorIaLi3ELi2ELi0EEEJSt7dividesIaEaEEEvT_T0_DpT1_
    .private_segment_fixed_size: 0
    .sgpr_count:     22
    .sgpr_spill_count: 0
    .symbol:         _ZN2at6native12_GLOBAL__N_125multi_tensor_apply_kernelINS1_18TensorListMetadataILi3EEENS1_32PointwiseOpScalar0dTensorFunctorIaLi3ELi2ELi0EEEJSt7dividesIaEaEEEvT_T0_DpT1_.kd
    .uniform_work_group_size: 1
    .uses_dynamic_stack: false
    .vgpr_count:     39
    .vgpr_spill_count: 0
    .wavefront_size: 32
    .workgroup_processor_mode: 1
  - .args:
      - .offset:         0
        .size:           3144
        .value_kind:     by_value
      - .offset:         3144
        .size:           1
        .value_kind:     by_value
      - .offset:         3145
        .size:           1
        .value_kind:     by_value
      - .offset:         3148
        .size:           4
        .value_kind:     by_value
      - .offset:         3152
        .size:           4
        .value_kind:     hidden_block_count_x
      - .offset:         3156
        .size:           4
        .value_kind:     hidden_block_count_y
      - .offset:         3160
        .size:           4
        .value_kind:     hidden_block_count_z
      - .offset:         3164
        .size:           2
        .value_kind:     hidden_group_size_x
      - .offset:         3166
        .size:           2
        .value_kind:     hidden_group_size_y
      - .offset:         3168
        .size:           2
        .value_kind:     hidden_group_size_z
      - .offset:         3170
        .size:           2
        .value_kind:     hidden_remainder_x
      - .offset:         3172
        .size:           2
        .value_kind:     hidden_remainder_y
      - .offset:         3174
        .size:           2
        .value_kind:     hidden_remainder_z
      - .offset:         3192
        .size:           8
        .value_kind:     hidden_global_offset_x
      - .offset:         3200
        .size:           8
        .value_kind:     hidden_global_offset_y
      - .offset:         3208
        .size:           8
        .value_kind:     hidden_global_offset_z
      - .offset:         3216
        .size:           2
        .value_kind:     hidden_grid_dims
    .group_segment_fixed_size: 0
    .kernarg_segment_align: 8
    .kernarg_segment_size: 3408
    .language:       OpenCL C
    .language_version:
      - 2
      - 0
    .max_flat_workgroup_size: 512
    .name:           _ZN2at6native12_GLOBAL__N_125multi_tensor_apply_kernelINS1_18TensorListMetadataILi3EEENS1_32PointwiseOpScalar0dTensorFunctorIiLi3ELi2ELi0EEEJSt7dividesIiEiEEEvT_T0_DpT1_
    .private_segment_fixed_size: 0
    .sgpr_count:     28
    .sgpr_spill_count: 0
    .symbol:         _ZN2at6native12_GLOBAL__N_125multi_tensor_apply_kernelINS1_18TensorListMetadataILi3EEENS1_32PointwiseOpScalar0dTensorFunctorIiLi3ELi2ELi0EEEJSt7dividesIiEiEEEvT_T0_DpT1_.kd
    .uniform_work_group_size: 1
    .uses_dynamic_stack: false
    .vgpr_count:     37
    .vgpr_spill_count: 0
    .wavefront_size: 32
    .workgroup_processor_mode: 1
  - .args:
      - .offset:         0
        .size:           3144
        .value_kind:     by_value
      - .offset:         3144
        .size:           1
        .value_kind:     by_value
      - .offset:         3145
        .size:           1
        .value_kind:     by_value
      - .offset:         3152
        .size:           8
        .value_kind:     by_value
      - .offset:         3160
        .size:           4
        .value_kind:     hidden_block_count_x
      - .offset:         3164
        .size:           4
        .value_kind:     hidden_block_count_y
      - .offset:         3168
        .size:           4
        .value_kind:     hidden_block_count_z
      - .offset:         3172
        .size:           2
        .value_kind:     hidden_group_size_x
      - .offset:         3174
        .size:           2
        .value_kind:     hidden_group_size_y
      - .offset:         3176
        .size:           2
        .value_kind:     hidden_group_size_z
      - .offset:         3178
        .size:           2
        .value_kind:     hidden_remainder_x
      - .offset:         3180
        .size:           2
        .value_kind:     hidden_remainder_y
      - .offset:         3182
        .size:           2
        .value_kind:     hidden_remainder_z
      - .offset:         3200
        .size:           8
        .value_kind:     hidden_global_offset_x
      - .offset:         3208
        .size:           8
        .value_kind:     hidden_global_offset_y
      - .offset:         3216
        .size:           8
        .value_kind:     hidden_global_offset_z
      - .offset:         3224
        .size:           2
        .value_kind:     hidden_grid_dims
    .group_segment_fixed_size: 0
    .kernarg_segment_align: 8
    .kernarg_segment_size: 3416
    .language:       OpenCL C
    .language_version:
      - 2
      - 0
    .max_flat_workgroup_size: 512
    .name:           _ZN2at6native12_GLOBAL__N_125multi_tensor_apply_kernelINS1_18TensorListMetadataILi3EEENS1_32PointwiseOpScalar0dTensorFunctorIlLi3ELi2ELi0EEEJSt7dividesIlElEEEvT_T0_DpT1_
    .private_segment_fixed_size: 0
    .sgpr_count:     30
    .sgpr_spill_count: 0
    .symbol:         _ZN2at6native12_GLOBAL__N_125multi_tensor_apply_kernelINS1_18TensorListMetadataILi3EEENS1_32PointwiseOpScalar0dTensorFunctorIlLi3ELi2ELi0EEEJSt7dividesIlElEEEvT_T0_DpT1_.kd
    .uniform_work_group_size: 1
    .uses_dynamic_stack: false
    .vgpr_count:     55
    .vgpr_spill_count: 0
    .wavefront_size: 32
    .workgroup_processor_mode: 1
  - .args:
      - .offset:         0
        .size:           3144
        .value_kind:     by_value
      - .offset:         3144
        .size:           1
        .value_kind:     by_value
      - .offset:         3145
        .size:           1
        .value_kind:     by_value
      - .offset:         3146
        .size:           2
        .value_kind:     by_value
      - .offset:         3152
        .size:           4
        .value_kind:     hidden_block_count_x
      - .offset:         3156
        .size:           4
        .value_kind:     hidden_block_count_y
      - .offset:         3160
        .size:           4
        .value_kind:     hidden_block_count_z
      - .offset:         3164
        .size:           2
        .value_kind:     hidden_group_size_x
      - .offset:         3166
        .size:           2
        .value_kind:     hidden_group_size_y
      - .offset:         3168
        .size:           2
        .value_kind:     hidden_group_size_z
      - .offset:         3170
        .size:           2
        .value_kind:     hidden_remainder_x
      - .offset:         3172
        .size:           2
        .value_kind:     hidden_remainder_y
      - .offset:         3174
        .size:           2
        .value_kind:     hidden_remainder_z
      - .offset:         3192
        .size:           8
        .value_kind:     hidden_global_offset_x
      - .offset:         3200
        .size:           8
        .value_kind:     hidden_global_offset_y
      - .offset:         3208
        .size:           8
        .value_kind:     hidden_global_offset_z
      - .offset:         3216
        .size:           2
        .value_kind:     hidden_grid_dims
    .group_segment_fixed_size: 0
    .kernarg_segment_align: 8
    .kernarg_segment_size: 3408
    .language:       OpenCL C
    .language_version:
      - 2
      - 0
    .max_flat_workgroup_size: 512
    .name:           _ZN2at6native12_GLOBAL__N_125multi_tensor_apply_kernelINS1_18TensorListMetadataILi3EEENS1_32PointwiseOpScalar0dTensorFunctorIsLi3ELi2ELi0EEEJSt7dividesIsEsEEEvT_T0_DpT1_
    .private_segment_fixed_size: 0
    .sgpr_count:     20
    .sgpr_spill_count: 0
    .symbol:         _ZN2at6native12_GLOBAL__N_125multi_tensor_apply_kernelINS1_18TensorListMetadataILi3EEENS1_32PointwiseOpScalar0dTensorFunctorIsLi3ELi2ELi0EEEJSt7dividesIsEsEEEvT_T0_DpT1_.kd
    .uniform_work_group_size: 1
    .uses_dynamic_stack: false
    .vgpr_count:     36
    .vgpr_spill_count: 0
    .wavefront_size: 32
    .workgroup_processor_mode: 1
  - .args:
      - .offset:         0
        .size:           3144
        .value_kind:     by_value
      - .offset:         3144
        .size:           1
        .value_kind:     by_value
      - .offset:         3145
        .size:           1
        .value_kind:     by_value
      - .offset:         3152
        .size:           8
        .value_kind:     by_value
      - .offset:         3160
        .size:           4
        .value_kind:     hidden_block_count_x
      - .offset:         3164
        .size:           4
        .value_kind:     hidden_block_count_y
      - .offset:         3168
        .size:           4
        .value_kind:     hidden_block_count_z
      - .offset:         3172
        .size:           2
        .value_kind:     hidden_group_size_x
      - .offset:         3174
        .size:           2
        .value_kind:     hidden_group_size_y
      - .offset:         3176
        .size:           2
        .value_kind:     hidden_group_size_z
      - .offset:         3178
        .size:           2
        .value_kind:     hidden_remainder_x
      - .offset:         3180
        .size:           2
        .value_kind:     hidden_remainder_y
      - .offset:         3182
        .size:           2
        .value_kind:     hidden_remainder_z
      - .offset:         3200
        .size:           8
        .value_kind:     hidden_global_offset_x
      - .offset:         3208
        .size:           8
        .value_kind:     hidden_global_offset_y
      - .offset:         3216
        .size:           8
        .value_kind:     hidden_global_offset_z
      - .offset:         3224
        .size:           2
        .value_kind:     hidden_grid_dims
    .group_segment_fixed_size: 0
    .kernarg_segment_align: 8
    .kernarg_segment_size: 3416
    .language:       OpenCL C
    .language_version:
      - 2
      - 0
    .max_flat_workgroup_size: 512
    .name:           _ZN2at6native12_GLOBAL__N_125multi_tensor_apply_kernelINS1_18TensorListMetadataILi3EEENS1_32PointwiseOpScalar0dTensorFunctorIdLi3ELi2ELi0EEEJSt7dividesIdEdEEEvT_T0_DpT1_
    .private_segment_fixed_size: 0
    .sgpr_count:     28
    .sgpr_spill_count: 0
    .symbol:         _ZN2at6native12_GLOBAL__N_125multi_tensor_apply_kernelINS1_18TensorListMetadataILi3EEENS1_32PointwiseOpScalar0dTensorFunctorIdLi3ELi2ELi0EEEJSt7dividesIdEdEEEvT_T0_DpT1_.kd
    .uniform_work_group_size: 1
    .uses_dynamic_stack: false
    .vgpr_count:     48
    .vgpr_spill_count: 0
    .wavefront_size: 32
    .workgroup_processor_mode: 1
  - .args:
      - .offset:         0
        .size:           3144
        .value_kind:     by_value
      - .offset:         3144
        .size:           1
        .value_kind:     by_value
      - .offset:         3145
        .size:           1
        .value_kind:     by_value
      - .offset:         3148
        .size:           4
        .value_kind:     by_value
      - .offset:         3152
        .size:           4
        .value_kind:     hidden_block_count_x
      - .offset:         3156
        .size:           4
        .value_kind:     hidden_block_count_y
      - .offset:         3160
        .size:           4
        .value_kind:     hidden_block_count_z
      - .offset:         3164
        .size:           2
        .value_kind:     hidden_group_size_x
      - .offset:         3166
        .size:           2
        .value_kind:     hidden_group_size_y
      - .offset:         3168
        .size:           2
        .value_kind:     hidden_group_size_z
      - .offset:         3170
        .size:           2
        .value_kind:     hidden_remainder_x
      - .offset:         3172
        .size:           2
        .value_kind:     hidden_remainder_y
      - .offset:         3174
        .size:           2
        .value_kind:     hidden_remainder_z
      - .offset:         3192
        .size:           8
        .value_kind:     hidden_global_offset_x
      - .offset:         3200
        .size:           8
        .value_kind:     hidden_global_offset_y
      - .offset:         3208
        .size:           8
        .value_kind:     hidden_global_offset_z
      - .offset:         3216
        .size:           2
        .value_kind:     hidden_grid_dims
    .group_segment_fixed_size: 0
    .kernarg_segment_align: 8
    .kernarg_segment_size: 3408
    .language:       OpenCL C
    .language_version:
      - 2
      - 0
    .max_flat_workgroup_size: 512
    .name:           _ZN2at6native12_GLOBAL__N_125multi_tensor_apply_kernelINS1_18TensorListMetadataILi3EEENS1_32PointwiseOpScalar0dTensorFunctorIfLi3ELi2ELi0EEEJSt7dividesIfEfEEEvT_T0_DpT1_
    .private_segment_fixed_size: 0
    .sgpr_count:     29
    .sgpr_spill_count: 0
    .symbol:         _ZN2at6native12_GLOBAL__N_125multi_tensor_apply_kernelINS1_18TensorListMetadataILi3EEENS1_32PointwiseOpScalar0dTensorFunctorIfLi3ELi2ELi0EEEJSt7dividesIfEfEEEvT_T0_DpT1_.kd
    .uniform_work_group_size: 1
    .uses_dynamic_stack: false
    .vgpr_count:     37
    .vgpr_spill_count: 0
    .wavefront_size: 32
    .workgroup_processor_mode: 1
  - .args:
      - .offset:         0
        .size:           3144
        .value_kind:     by_value
      - .offset:         3144
        .size:           1
        .value_kind:     by_value
      - .offset:         3145
        .size:           1
        .value_kind:     by_value
      - .offset:         3152
        .size:           16
        .value_kind:     by_value
      - .offset:         3168
        .size:           4
        .value_kind:     hidden_block_count_x
      - .offset:         3172
        .size:           4
        .value_kind:     hidden_block_count_y
      - .offset:         3176
        .size:           4
        .value_kind:     hidden_block_count_z
      - .offset:         3180
        .size:           2
        .value_kind:     hidden_group_size_x
      - .offset:         3182
        .size:           2
        .value_kind:     hidden_group_size_y
      - .offset:         3184
        .size:           2
        .value_kind:     hidden_group_size_z
      - .offset:         3186
        .size:           2
        .value_kind:     hidden_remainder_x
      - .offset:         3188
        .size:           2
        .value_kind:     hidden_remainder_y
      - .offset:         3190
        .size:           2
        .value_kind:     hidden_remainder_z
      - .offset:         3208
        .size:           8
        .value_kind:     hidden_global_offset_x
      - .offset:         3216
        .size:           8
        .value_kind:     hidden_global_offset_y
      - .offset:         3224
        .size:           8
        .value_kind:     hidden_global_offset_z
      - .offset:         3232
        .size:           2
        .value_kind:     hidden_grid_dims
    .group_segment_fixed_size: 0
    .kernarg_segment_align: 16
    .kernarg_segment_size: 3424
    .language:       OpenCL C
    .language_version:
      - 2
      - 0
    .max_flat_workgroup_size: 512
    .name:           _ZN2at6native12_GLOBAL__N_125multi_tensor_apply_kernelINS1_18TensorListMetadataILi3EEENS1_32PointwiseOpScalar0dTensorFunctorIN3c107complexIdEELi3ELi2ELi0EEEJSt7dividesIS8_ES8_EEEvT_T0_DpT1_
    .private_segment_fixed_size: 0
    .sgpr_count:     33
    .sgpr_spill_count: 0
    .symbol:         _ZN2at6native12_GLOBAL__N_125multi_tensor_apply_kernelINS1_18TensorListMetadataILi3EEENS1_32PointwiseOpScalar0dTensorFunctorIN3c107complexIdEELi3ELi2ELi0EEEJSt7dividesIS8_ES8_EEEvT_T0_DpT1_.kd
    .uniform_work_group_size: 1
    .uses_dynamic_stack: false
    .vgpr_count:     76
    .vgpr_spill_count: 0
    .wavefront_size: 32
    .workgroup_processor_mode: 1
  - .args:
      - .offset:         0
        .size:           3144
        .value_kind:     by_value
      - .offset:         3144
        .size:           1
        .value_kind:     by_value
      - .offset:         3145
        .size:           1
        .value_kind:     by_value
      - .offset:         3152
        .size:           8
        .value_kind:     by_value
      - .offset:         3160
        .size:           4
        .value_kind:     hidden_block_count_x
      - .offset:         3164
        .size:           4
        .value_kind:     hidden_block_count_y
      - .offset:         3168
        .size:           4
        .value_kind:     hidden_block_count_z
      - .offset:         3172
        .size:           2
        .value_kind:     hidden_group_size_x
      - .offset:         3174
        .size:           2
        .value_kind:     hidden_group_size_y
      - .offset:         3176
        .size:           2
        .value_kind:     hidden_group_size_z
      - .offset:         3178
        .size:           2
        .value_kind:     hidden_remainder_x
      - .offset:         3180
        .size:           2
        .value_kind:     hidden_remainder_y
      - .offset:         3182
        .size:           2
        .value_kind:     hidden_remainder_z
      - .offset:         3200
        .size:           8
        .value_kind:     hidden_global_offset_x
      - .offset:         3208
        .size:           8
        .value_kind:     hidden_global_offset_y
      - .offset:         3216
        .size:           8
        .value_kind:     hidden_global_offset_z
      - .offset:         3224
        .size:           2
        .value_kind:     hidden_grid_dims
    .group_segment_fixed_size: 0
    .kernarg_segment_align: 8
    .kernarg_segment_size: 3416
    .language:       OpenCL C
    .language_version:
      - 2
      - 0
    .max_flat_workgroup_size: 512
    .name:           _ZN2at6native12_GLOBAL__N_125multi_tensor_apply_kernelINS1_18TensorListMetadataILi3EEENS1_32PointwiseOpScalar0dTensorFunctorIN3c107complexIfEELi3ELi2ELi0EEEJSt7dividesIS8_ES8_EEEvT_T0_DpT1_
    .private_segment_fixed_size: 0
    .sgpr_count:     29
    .sgpr_spill_count: 0
    .symbol:         _ZN2at6native12_GLOBAL__N_125multi_tensor_apply_kernelINS1_18TensorListMetadataILi3EEENS1_32PointwiseOpScalar0dTensorFunctorIN3c107complexIfEELi3ELi2ELi0EEEJSt7dividesIS8_ES8_EEEvT_T0_DpT1_.kd
    .uniform_work_group_size: 1
    .uses_dynamic_stack: false
    .vgpr_count:     52
    .vgpr_spill_count: 0
    .wavefront_size: 32
    .workgroup_processor_mode: 1
  - .args:
      - .offset:         0
        .size:           3144
        .value_kind:     by_value
      - .offset:         3144
        .size:           1
        .value_kind:     by_value
      - .offset:         3145
        .size:           1
        .value_kind:     by_value
      - .offset:         3148
        .size:           4
        .value_kind:     by_value
      - .offset:         3152
        .size:           4
        .value_kind:     hidden_block_count_x
      - .offset:         3156
        .size:           4
        .value_kind:     hidden_block_count_y
      - .offset:         3160
        .size:           4
        .value_kind:     hidden_block_count_z
      - .offset:         3164
        .size:           2
        .value_kind:     hidden_group_size_x
      - .offset:         3166
        .size:           2
        .value_kind:     hidden_group_size_y
      - .offset:         3168
        .size:           2
        .value_kind:     hidden_group_size_z
      - .offset:         3170
        .size:           2
        .value_kind:     hidden_remainder_x
      - .offset:         3172
        .size:           2
        .value_kind:     hidden_remainder_y
      - .offset:         3174
        .size:           2
        .value_kind:     hidden_remainder_z
      - .offset:         3192
        .size:           8
        .value_kind:     hidden_global_offset_x
      - .offset:         3200
        .size:           8
        .value_kind:     hidden_global_offset_y
      - .offset:         3208
        .size:           8
        .value_kind:     hidden_global_offset_z
      - .offset:         3216
        .size:           2
        .value_kind:     hidden_grid_dims
    .group_segment_fixed_size: 0
    .kernarg_segment_align: 8
    .kernarg_segment_size: 3408
    .language:       OpenCL C
    .language_version:
      - 2
      - 0
    .max_flat_workgroup_size: 512
    .name:           _ZN2at6native12_GLOBAL__N_125multi_tensor_apply_kernelINS1_18TensorListMetadataILi3EEENS1_32PointwiseOpScalar0dTensorFunctorIN3c104HalfELi3ELi2ELi0EEEJSt7dividesIfEfEEEvT_T0_DpT1_
    .private_segment_fixed_size: 0
    .sgpr_count:     27
    .sgpr_spill_count: 0
    .symbol:         _ZN2at6native12_GLOBAL__N_125multi_tensor_apply_kernelINS1_18TensorListMetadataILi3EEENS1_32PointwiseOpScalar0dTensorFunctorIN3c104HalfELi3ELi2ELi0EEEJSt7dividesIfEfEEEvT_T0_DpT1_.kd
    .uniform_work_group_size: 1
    .uses_dynamic_stack: false
    .vgpr_count:     38
    .vgpr_spill_count: 0
    .wavefront_size: 32
    .workgroup_processor_mode: 1
  - .args:
      - .offset:         0
        .size:           3144
        .value_kind:     by_value
      - .offset:         3144
        .size:           1
        .value_kind:     by_value
      - .offset:         3145
        .size:           1
        .value_kind:     by_value
      - .offset:         3148
        .size:           4
        .value_kind:     by_value
      - .offset:         3152
        .size:           4
        .value_kind:     hidden_block_count_x
      - .offset:         3156
        .size:           4
        .value_kind:     hidden_block_count_y
      - .offset:         3160
        .size:           4
        .value_kind:     hidden_block_count_z
      - .offset:         3164
        .size:           2
        .value_kind:     hidden_group_size_x
      - .offset:         3166
        .size:           2
        .value_kind:     hidden_group_size_y
      - .offset:         3168
        .size:           2
        .value_kind:     hidden_group_size_z
      - .offset:         3170
        .size:           2
        .value_kind:     hidden_remainder_x
      - .offset:         3172
        .size:           2
        .value_kind:     hidden_remainder_y
      - .offset:         3174
        .size:           2
        .value_kind:     hidden_remainder_z
      - .offset:         3192
        .size:           8
        .value_kind:     hidden_global_offset_x
      - .offset:         3200
        .size:           8
        .value_kind:     hidden_global_offset_y
      - .offset:         3208
        .size:           8
        .value_kind:     hidden_global_offset_z
      - .offset:         3216
        .size:           2
        .value_kind:     hidden_grid_dims
    .group_segment_fixed_size: 0
    .kernarg_segment_align: 8
    .kernarg_segment_size: 3408
    .language:       OpenCL C
    .language_version:
      - 2
      - 0
    .max_flat_workgroup_size: 512
    .name:           _ZN2at6native12_GLOBAL__N_125multi_tensor_apply_kernelINS1_18TensorListMetadataILi3EEENS1_32PointwiseOpScalar0dTensorFunctorIN3c108BFloat16ELi3ELi2ELi0EEEJSt7dividesIfEfEEEvT_T0_DpT1_
    .private_segment_fixed_size: 0
    .sgpr_count:     24
    .sgpr_spill_count: 0
    .symbol:         _ZN2at6native12_GLOBAL__N_125multi_tensor_apply_kernelINS1_18TensorListMetadataILi3EEENS1_32PointwiseOpScalar0dTensorFunctorIN3c108BFloat16ELi3ELi2ELi0EEEJSt7dividesIfEfEEEvT_T0_DpT1_.kd
    .uniform_work_group_size: 1
    .uses_dynamic_stack: false
    .vgpr_count:     35
    .vgpr_spill_count: 0
    .wavefront_size: 32
    .workgroup_processor_mode: 1
  - .args:
      - .offset:         0
        .size:           3080
        .value_kind:     by_value
      - .offset:         3080
        .size:           1
        .value_kind:     by_value
      - .offset:         3081
        .size:           1
        .value_kind:     by_value
      - .offset:         3088
        .size:           4
        .value_kind:     hidden_block_count_x
      - .offset:         3092
        .size:           4
        .value_kind:     hidden_block_count_y
      - .offset:         3096
        .size:           4
        .value_kind:     hidden_block_count_z
      - .offset:         3100
        .size:           2
        .value_kind:     hidden_group_size_x
      - .offset:         3102
        .size:           2
        .value_kind:     hidden_group_size_y
      - .offset:         3104
        .size:           2
        .value_kind:     hidden_group_size_z
      - .offset:         3106
        .size:           2
        .value_kind:     hidden_remainder_x
      - .offset:         3108
        .size:           2
        .value_kind:     hidden_remainder_y
      - .offset:         3110
        .size:           2
        .value_kind:     hidden_remainder_z
      - .offset:         3128
        .size:           8
        .value_kind:     hidden_global_offset_x
      - .offset:         3136
        .size:           8
        .value_kind:     hidden_global_offset_y
      - .offset:         3144
        .size:           8
        .value_kind:     hidden_global_offset_z
      - .offset:         3152
        .size:           2
        .value_kind:     hidden_grid_dims
    .group_segment_fixed_size: 0
    .kernarg_segment_align: 8
    .kernarg_segment_size: 3344
    .language:       OpenCL C
    .language_version:
      - 2
      - 0
    .max_flat_workgroup_size: 512
    .name:           _ZN2at6native12_GLOBAL__N_125multi_tensor_apply_kernelINS1_28TensorListScalarListMetadataIhLi4EEENS1_28PointwiseOpScalarListFunctorIhLi4ELi3ELi3EEEJSt10multipliesIhEEEEvT_T0_DpT1_
    .private_segment_fixed_size: 0
    .sgpr_count:     32
    .sgpr_spill_count: 0
    .symbol:         _ZN2at6native12_GLOBAL__N_125multi_tensor_apply_kernelINS1_28TensorListScalarListMetadataIhLi4EEENS1_28PointwiseOpScalarListFunctorIhLi4ELi3ELi3EEEJSt10multipliesIhEEEEvT_T0_DpT1_.kd
    .uniform_work_group_size: 1
    .uses_dynamic_stack: false
    .vgpr_count:     54
    .vgpr_spill_count: 0
    .wavefront_size: 32
    .workgroup_processor_mode: 1
  - .args:
      - .offset:         0
        .size:           3080
        .value_kind:     by_value
      - .offset:         3080
        .size:           1
        .value_kind:     by_value
      - .offset:         3081
        .size:           1
        .value_kind:     by_value
      - .offset:         3088
        .size:           4
        .value_kind:     hidden_block_count_x
      - .offset:         3092
        .size:           4
        .value_kind:     hidden_block_count_y
      - .offset:         3096
        .size:           4
        .value_kind:     hidden_block_count_z
      - .offset:         3100
        .size:           2
        .value_kind:     hidden_group_size_x
      - .offset:         3102
        .size:           2
        .value_kind:     hidden_group_size_y
      - .offset:         3104
        .size:           2
        .value_kind:     hidden_group_size_z
      - .offset:         3106
        .size:           2
        .value_kind:     hidden_remainder_x
      - .offset:         3108
        .size:           2
        .value_kind:     hidden_remainder_y
      - .offset:         3110
        .size:           2
        .value_kind:     hidden_remainder_z
      - .offset:         3128
        .size:           8
        .value_kind:     hidden_global_offset_x
      - .offset:         3136
        .size:           8
        .value_kind:     hidden_global_offset_y
      - .offset:         3144
        .size:           8
        .value_kind:     hidden_global_offset_z
      - .offset:         3152
        .size:           2
        .value_kind:     hidden_grid_dims
    .group_segment_fixed_size: 0
    .kernarg_segment_align: 8
    .kernarg_segment_size: 3344
    .language:       OpenCL C
    .language_version:
      - 2
      - 0
    .max_flat_workgroup_size: 512
    .name:           _ZN2at6native12_GLOBAL__N_125multi_tensor_apply_kernelINS1_28TensorListScalarListMetadataIaLi4EEENS1_28PointwiseOpScalarListFunctorIaLi4ELi3ELi3EEEJSt10multipliesIaEEEEvT_T0_DpT1_
    .private_segment_fixed_size: 0
    .sgpr_count:     32
    .sgpr_spill_count: 0
    .symbol:         _ZN2at6native12_GLOBAL__N_125multi_tensor_apply_kernelINS1_28TensorListScalarListMetadataIaLi4EEENS1_28PointwiseOpScalarListFunctorIaLi4ELi3ELi3EEEJSt10multipliesIaEEEEvT_T0_DpT1_.kd
    .uniform_work_group_size: 1
    .uses_dynamic_stack: false
    .vgpr_count:     54
    .vgpr_spill_count: 0
    .wavefront_size: 32
    .workgroup_processor_mode: 1
  - .args:
      - .offset:         0
        .size:           3184
        .value_kind:     by_value
      - .offset:         3184
        .size:           1
        .value_kind:     by_value
      - .offset:         3185
        .size:           1
        .value_kind:     by_value
      - .offset:         3192
        .size:           4
        .value_kind:     hidden_block_count_x
      - .offset:         3196
        .size:           4
        .value_kind:     hidden_block_count_y
      - .offset:         3200
        .size:           4
        .value_kind:     hidden_block_count_z
      - .offset:         3204
        .size:           2
        .value_kind:     hidden_group_size_x
      - .offset:         3206
        .size:           2
        .value_kind:     hidden_group_size_y
      - .offset:         3208
        .size:           2
        .value_kind:     hidden_group_size_z
      - .offset:         3210
        .size:           2
        .value_kind:     hidden_remainder_x
      - .offset:         3212
        .size:           2
        .value_kind:     hidden_remainder_y
      - .offset:         3214
        .size:           2
        .value_kind:     hidden_remainder_z
      - .offset:         3232
        .size:           8
        .value_kind:     hidden_global_offset_x
      - .offset:         3240
        .size:           8
        .value_kind:     hidden_global_offset_y
      - .offset:         3248
        .size:           8
        .value_kind:     hidden_global_offset_z
      - .offset:         3256
        .size:           2
        .value_kind:     hidden_grid_dims
    .group_segment_fixed_size: 0
    .kernarg_segment_align: 8
    .kernarg_segment_size: 3448
    .language:       OpenCL C
    .language_version:
      - 2
      - 0
    .max_flat_workgroup_size: 512
    .name:           _ZN2at6native12_GLOBAL__N_125multi_tensor_apply_kernelINS1_28TensorListScalarListMetadataIiLi4EEENS1_28PointwiseOpScalarListFunctorIiLi4ELi3ELi3EEEJSt10multipliesIiEEEEvT_T0_DpT1_
    .private_segment_fixed_size: 0
    .sgpr_count:     32
    .sgpr_spill_count: 0
    .symbol:         _ZN2at6native12_GLOBAL__N_125multi_tensor_apply_kernelINS1_28TensorListScalarListMetadataIiLi4EEENS1_28PointwiseOpScalarListFunctorIiLi4ELi3ELi3EEEJSt10multipliesIiEEEEvT_T0_DpT1_.kd
    .uniform_work_group_size: 1
    .uses_dynamic_stack: false
    .vgpr_count:     53
    .vgpr_spill_count: 0
    .wavefront_size: 32
    .workgroup_processor_mode: 1
  - .args:
      - .offset:         0
        .size:           3328
        .value_kind:     by_value
      - .offset:         3328
        .size:           1
        .value_kind:     by_value
      - .offset:         3329
        .size:           1
        .value_kind:     by_value
      - .offset:         3336
        .size:           4
        .value_kind:     hidden_block_count_x
      - .offset:         3340
        .size:           4
        .value_kind:     hidden_block_count_y
      - .offset:         3344
        .size:           4
        .value_kind:     hidden_block_count_z
      - .offset:         3348
        .size:           2
        .value_kind:     hidden_group_size_x
      - .offset:         3350
        .size:           2
        .value_kind:     hidden_group_size_y
      - .offset:         3352
        .size:           2
        .value_kind:     hidden_group_size_z
      - .offset:         3354
        .size:           2
        .value_kind:     hidden_remainder_x
      - .offset:         3356
        .size:           2
        .value_kind:     hidden_remainder_y
      - .offset:         3358
        .size:           2
        .value_kind:     hidden_remainder_z
      - .offset:         3376
        .size:           8
        .value_kind:     hidden_global_offset_x
      - .offset:         3384
        .size:           8
        .value_kind:     hidden_global_offset_y
      - .offset:         3392
        .size:           8
        .value_kind:     hidden_global_offset_z
      - .offset:         3400
        .size:           2
        .value_kind:     hidden_grid_dims
    .group_segment_fixed_size: 0
    .kernarg_segment_align: 8
    .kernarg_segment_size: 3592
    .language:       OpenCL C
    .language_version:
      - 2
      - 0
    .max_flat_workgroup_size: 512
    .name:           _ZN2at6native12_GLOBAL__N_125multi_tensor_apply_kernelINS1_28TensorListScalarListMetadataIlLi4EEENS1_28PointwiseOpScalarListFunctorIlLi4ELi3ELi3EEEJSt10multipliesIlEEEEvT_T0_DpT1_
    .private_segment_fixed_size: 0
    .sgpr_count:     32
    .sgpr_spill_count: 0
    .symbol:         _ZN2at6native12_GLOBAL__N_125multi_tensor_apply_kernelINS1_28TensorListScalarListMetadataIlLi4EEENS1_28PointwiseOpScalarListFunctorIlLi4ELi3ELi3EEEJSt10multipliesIlEEEEvT_T0_DpT1_.kd
    .uniform_work_group_size: 1
    .uses_dynamic_stack: false
    .vgpr_count:     66
    .vgpr_spill_count: 0
    .wavefront_size: 32
    .workgroup_processor_mode: 1
  - .args:
      - .offset:         0
        .size:           3112
        .value_kind:     by_value
      - .offset:         3112
        .size:           1
        .value_kind:     by_value
      - .offset:         3113
        .size:           1
        .value_kind:     by_value
      - .offset:         3120
        .size:           4
        .value_kind:     hidden_block_count_x
      - .offset:         3124
        .size:           4
        .value_kind:     hidden_block_count_y
      - .offset:         3128
        .size:           4
        .value_kind:     hidden_block_count_z
      - .offset:         3132
        .size:           2
        .value_kind:     hidden_group_size_x
      - .offset:         3134
        .size:           2
        .value_kind:     hidden_group_size_y
      - .offset:         3136
        .size:           2
        .value_kind:     hidden_group_size_z
      - .offset:         3138
        .size:           2
        .value_kind:     hidden_remainder_x
      - .offset:         3140
        .size:           2
        .value_kind:     hidden_remainder_y
      - .offset:         3142
        .size:           2
        .value_kind:     hidden_remainder_z
      - .offset:         3160
        .size:           8
        .value_kind:     hidden_global_offset_x
      - .offset:         3168
        .size:           8
        .value_kind:     hidden_global_offset_y
      - .offset:         3176
        .size:           8
        .value_kind:     hidden_global_offset_z
      - .offset:         3184
        .size:           2
        .value_kind:     hidden_grid_dims
    .group_segment_fixed_size: 0
    .kernarg_segment_align: 8
    .kernarg_segment_size: 3376
    .language:       OpenCL C
    .language_version:
      - 2
      - 0
    .max_flat_workgroup_size: 512
    .name:           _ZN2at6native12_GLOBAL__N_125multi_tensor_apply_kernelINS1_28TensorListScalarListMetadataIsLi4EEENS1_28PointwiseOpScalarListFunctorIsLi4ELi3ELi3EEEJSt10multipliesIsEEEEvT_T0_DpT1_
    .private_segment_fixed_size: 0
    .sgpr_count:     27
    .sgpr_spill_count: 0
    .symbol:         _ZN2at6native12_GLOBAL__N_125multi_tensor_apply_kernelINS1_28TensorListScalarListMetadataIsLi4EEENS1_28PointwiseOpScalarListFunctorIsLi4ELi3ELi3EEEJSt10multipliesIsEEEEvT_T0_DpT1_.kd
    .uniform_work_group_size: 1
    .uses_dynamic_stack: false
    .vgpr_count:     54
    .vgpr_spill_count: 0
    .wavefront_size: 32
    .workgroup_processor_mode: 1
  - .args:
      - .offset:         0
        .size:           3328
        .value_kind:     by_value
      - .offset:         3328
        .size:           1
        .value_kind:     by_value
      - .offset:         3329
        .size:           1
        .value_kind:     by_value
      - .offset:         3336
        .size:           4
        .value_kind:     hidden_block_count_x
      - .offset:         3340
        .size:           4
        .value_kind:     hidden_block_count_y
      - .offset:         3344
        .size:           4
        .value_kind:     hidden_block_count_z
      - .offset:         3348
        .size:           2
        .value_kind:     hidden_group_size_x
      - .offset:         3350
        .size:           2
        .value_kind:     hidden_group_size_y
      - .offset:         3352
        .size:           2
        .value_kind:     hidden_group_size_z
      - .offset:         3354
        .size:           2
        .value_kind:     hidden_remainder_x
      - .offset:         3356
        .size:           2
        .value_kind:     hidden_remainder_y
      - .offset:         3358
        .size:           2
        .value_kind:     hidden_remainder_z
      - .offset:         3376
        .size:           8
        .value_kind:     hidden_global_offset_x
      - .offset:         3384
        .size:           8
        .value_kind:     hidden_global_offset_y
      - .offset:         3392
        .size:           8
        .value_kind:     hidden_global_offset_z
      - .offset:         3400
        .size:           2
        .value_kind:     hidden_grid_dims
    .group_segment_fixed_size: 0
    .kernarg_segment_align: 8
    .kernarg_segment_size: 3592
    .language:       OpenCL C
    .language_version:
      - 2
      - 0
    .max_flat_workgroup_size: 512
    .name:           _ZN2at6native12_GLOBAL__N_125multi_tensor_apply_kernelINS1_28TensorListScalarListMetadataIdLi4EEENS1_28PointwiseOpScalarListFunctorIdLi4ELi3ELi3EEEJSt10multipliesIdEEEEvT_T0_DpT1_
    .private_segment_fixed_size: 0
    .sgpr_count:     33
    .sgpr_spill_count: 0
    .symbol:         _ZN2at6native12_GLOBAL__N_125multi_tensor_apply_kernelINS1_28TensorListScalarListMetadataIdLi4EEENS1_28PointwiseOpScalarListFunctorIdLi4ELi3ELi3EEEJSt10multipliesIdEEEEvT_T0_DpT1_.kd
    .uniform_work_group_size: 1
    .uses_dynamic_stack: false
    .vgpr_count:     65
    .vgpr_spill_count: 0
    .wavefront_size: 32
    .workgroup_processor_mode: 1
  - .args:
      - .offset:         0
        .size:           3184
        .value_kind:     by_value
      - .offset:         3184
        .size:           1
        .value_kind:     by_value
      - .offset:         3185
        .size:           1
        .value_kind:     by_value
      - .offset:         3192
        .size:           4
        .value_kind:     hidden_block_count_x
      - .offset:         3196
        .size:           4
        .value_kind:     hidden_block_count_y
      - .offset:         3200
        .size:           4
        .value_kind:     hidden_block_count_z
      - .offset:         3204
        .size:           2
        .value_kind:     hidden_group_size_x
      - .offset:         3206
        .size:           2
        .value_kind:     hidden_group_size_y
      - .offset:         3208
        .size:           2
        .value_kind:     hidden_group_size_z
      - .offset:         3210
        .size:           2
        .value_kind:     hidden_remainder_x
      - .offset:         3212
        .size:           2
        .value_kind:     hidden_remainder_y
      - .offset:         3214
        .size:           2
        .value_kind:     hidden_remainder_z
      - .offset:         3232
        .size:           8
        .value_kind:     hidden_global_offset_x
      - .offset:         3240
        .size:           8
        .value_kind:     hidden_global_offset_y
      - .offset:         3248
        .size:           8
        .value_kind:     hidden_global_offset_z
      - .offset:         3256
        .size:           2
        .value_kind:     hidden_grid_dims
    .group_segment_fixed_size: 0
    .kernarg_segment_align: 8
    .kernarg_segment_size: 3448
    .language:       OpenCL C
    .language_version:
      - 2
      - 0
    .max_flat_workgroup_size: 512
    .name:           _ZN2at6native12_GLOBAL__N_125multi_tensor_apply_kernelINS1_28TensorListScalarListMetadataIfLi4EEENS1_28PointwiseOpScalarListFunctorIfLi4ELi3ELi3EEEJSt10multipliesIfEEEEvT_T0_DpT1_
    .private_segment_fixed_size: 0
    .sgpr_count:     32
    .sgpr_spill_count: 0
    .symbol:         _ZN2at6native12_GLOBAL__N_125multi_tensor_apply_kernelINS1_28TensorListScalarListMetadataIfLi4EEENS1_28PointwiseOpScalarListFunctorIfLi4ELi3ELi3EEEJSt10multipliesIfEEEEvT_T0_DpT1_.kd
    .uniform_work_group_size: 1
    .uses_dynamic_stack: false
    .vgpr_count:     54
    .vgpr_spill_count: 0
    .wavefront_size: 32
    .workgroup_processor_mode: 1
  - .args:
      - .offset:         0
        .size:           3616
        .value_kind:     by_value
      - .offset:         3616
        .size:           1
        .value_kind:     by_value
      - .offset:         3617
        .size:           1
        .value_kind:     by_value
      - .offset:         3624
        .size:           4
        .value_kind:     hidden_block_count_x
      - .offset:         3628
        .size:           4
        .value_kind:     hidden_block_count_y
      - .offset:         3632
        .size:           4
        .value_kind:     hidden_block_count_z
      - .offset:         3636
        .size:           2
        .value_kind:     hidden_group_size_x
      - .offset:         3638
        .size:           2
        .value_kind:     hidden_group_size_y
      - .offset:         3640
        .size:           2
        .value_kind:     hidden_group_size_z
      - .offset:         3642
        .size:           2
        .value_kind:     hidden_remainder_x
      - .offset:         3644
        .size:           2
        .value_kind:     hidden_remainder_y
      - .offset:         3646
        .size:           2
        .value_kind:     hidden_remainder_z
      - .offset:         3664
        .size:           8
        .value_kind:     hidden_global_offset_x
      - .offset:         3672
        .size:           8
        .value_kind:     hidden_global_offset_y
      - .offset:         3680
        .size:           8
        .value_kind:     hidden_global_offset_z
      - .offset:         3688
        .size:           2
        .value_kind:     hidden_grid_dims
    .group_segment_fixed_size: 0
    .kernarg_segment_align: 16
    .kernarg_segment_size: 3880
    .language:       OpenCL C
    .language_version:
      - 2
      - 0
    .max_flat_workgroup_size: 512
    .name:           _ZN2at6native12_GLOBAL__N_125multi_tensor_apply_kernelINS1_28TensorListScalarListMetadataIN3c107complexIdEELi4EEENS1_28PointwiseOpScalarListFunctorIS6_Li4ELi3ELi3EEEJSt10multipliesIS6_EEEEvT_T0_DpT1_
    .private_segment_fixed_size: 0
    .sgpr_count:     38
    .sgpr_spill_count: 0
    .symbol:         _ZN2at6native12_GLOBAL__N_125multi_tensor_apply_kernelINS1_28TensorListScalarListMetadataIN3c107complexIdEELi4EEENS1_28PointwiseOpScalarListFunctorIS6_Li4ELi3ELi3EEEJSt10multipliesIS6_EEEEvT_T0_DpT1_.kd
    .uniform_work_group_size: 1
    .uses_dynamic_stack: false
    .vgpr_count:     85
    .vgpr_spill_count: 0
    .wavefront_size: 32
    .workgroup_processor_mode: 1
  - .args:
      - .offset:         0
        .size:           3328
        .value_kind:     by_value
      - .offset:         3328
        .size:           1
        .value_kind:     by_value
      - .offset:         3329
        .size:           1
        .value_kind:     by_value
      - .offset:         3336
        .size:           4
        .value_kind:     hidden_block_count_x
      - .offset:         3340
        .size:           4
        .value_kind:     hidden_block_count_y
      - .offset:         3344
        .size:           4
        .value_kind:     hidden_block_count_z
      - .offset:         3348
        .size:           2
        .value_kind:     hidden_group_size_x
      - .offset:         3350
        .size:           2
        .value_kind:     hidden_group_size_y
      - .offset:         3352
        .size:           2
        .value_kind:     hidden_group_size_z
      - .offset:         3354
        .size:           2
        .value_kind:     hidden_remainder_x
      - .offset:         3356
        .size:           2
        .value_kind:     hidden_remainder_y
      - .offset:         3358
        .size:           2
        .value_kind:     hidden_remainder_z
      - .offset:         3376
        .size:           8
        .value_kind:     hidden_global_offset_x
      - .offset:         3384
        .size:           8
        .value_kind:     hidden_global_offset_y
      - .offset:         3392
        .size:           8
        .value_kind:     hidden_global_offset_z
      - .offset:         3400
        .size:           2
        .value_kind:     hidden_grid_dims
    .group_segment_fixed_size: 0
    .kernarg_segment_align: 8
    .kernarg_segment_size: 3592
    .language:       OpenCL C
    .language_version:
      - 2
      - 0
    .max_flat_workgroup_size: 512
    .name:           _ZN2at6native12_GLOBAL__N_125multi_tensor_apply_kernelINS1_28TensorListScalarListMetadataIN3c107complexIfEELi4EEENS1_28PointwiseOpScalarListFunctorIS6_Li4ELi3ELi3EEEJSt10multipliesIS6_EEEEvT_T0_DpT1_
    .private_segment_fixed_size: 0
    .sgpr_count:     36
    .sgpr_spill_count: 0
    .symbol:         _ZN2at6native12_GLOBAL__N_125multi_tensor_apply_kernelINS1_28TensorListScalarListMetadataIN3c107complexIfEELi4EEENS1_28PointwiseOpScalarListFunctorIS6_Li4ELi3ELi3EEEJSt10multipliesIS6_EEEEvT_T0_DpT1_.kd
    .uniform_work_group_size: 1
    .uses_dynamic_stack: false
    .vgpr_count:     60
    .vgpr_spill_count: 0
    .wavefront_size: 32
    .workgroup_processor_mode: 1
  - .args:
      - .offset:         0
        .size:           3184
        .value_kind:     by_value
      - .offset:         3184
        .size:           1
        .value_kind:     by_value
      - .offset:         3185
        .size:           1
        .value_kind:     by_value
      - .offset:         3192
        .size:           4
        .value_kind:     hidden_block_count_x
      - .offset:         3196
        .size:           4
        .value_kind:     hidden_block_count_y
      - .offset:         3200
        .size:           4
        .value_kind:     hidden_block_count_z
      - .offset:         3204
        .size:           2
        .value_kind:     hidden_group_size_x
      - .offset:         3206
        .size:           2
        .value_kind:     hidden_group_size_y
      - .offset:         3208
        .size:           2
        .value_kind:     hidden_group_size_z
      - .offset:         3210
        .size:           2
        .value_kind:     hidden_remainder_x
      - .offset:         3212
        .size:           2
        .value_kind:     hidden_remainder_y
      - .offset:         3214
        .size:           2
        .value_kind:     hidden_remainder_z
      - .offset:         3232
        .size:           8
        .value_kind:     hidden_global_offset_x
      - .offset:         3240
        .size:           8
        .value_kind:     hidden_global_offset_y
      - .offset:         3248
        .size:           8
        .value_kind:     hidden_global_offset_z
      - .offset:         3256
        .size:           2
        .value_kind:     hidden_grid_dims
    .group_segment_fixed_size: 0
    .kernarg_segment_align: 8
    .kernarg_segment_size: 3448
    .language:       OpenCL C
    .language_version:
      - 2
      - 0
    .max_flat_workgroup_size: 512
    .name:           _ZN2at6native12_GLOBAL__N_125multi_tensor_apply_kernelINS1_28TensorListScalarListMetadataIfLi4EEENS1_28PointwiseOpScalarListFunctorIN3c104HalfELi4ELi3ELi3EEEJSt10multipliesIfEEEEvT_T0_DpT1_
    .private_segment_fixed_size: 0
    .sgpr_count:     33
    .sgpr_spill_count: 0
    .symbol:         _ZN2at6native12_GLOBAL__N_125multi_tensor_apply_kernelINS1_28TensorListScalarListMetadataIfLi4EEENS1_28PointwiseOpScalarListFunctorIN3c104HalfELi4ELi3ELi3EEEJSt10multipliesIfEEEEvT_T0_DpT1_.kd
    .uniform_work_group_size: 1
    .uses_dynamic_stack: false
    .vgpr_count:     54
    .vgpr_spill_count: 0
    .wavefront_size: 32
    .workgroup_processor_mode: 1
  - .args:
      - .offset:         0
        .size:           3184
        .value_kind:     by_value
      - .offset:         3184
        .size:           1
        .value_kind:     by_value
      - .offset:         3185
        .size:           1
        .value_kind:     by_value
      - .offset:         3192
        .size:           4
        .value_kind:     hidden_block_count_x
      - .offset:         3196
        .size:           4
        .value_kind:     hidden_block_count_y
      - .offset:         3200
        .size:           4
        .value_kind:     hidden_block_count_z
      - .offset:         3204
        .size:           2
        .value_kind:     hidden_group_size_x
      - .offset:         3206
        .size:           2
        .value_kind:     hidden_group_size_y
      - .offset:         3208
        .size:           2
        .value_kind:     hidden_group_size_z
      - .offset:         3210
        .size:           2
        .value_kind:     hidden_remainder_x
      - .offset:         3212
        .size:           2
        .value_kind:     hidden_remainder_y
      - .offset:         3214
        .size:           2
        .value_kind:     hidden_remainder_z
      - .offset:         3232
        .size:           8
        .value_kind:     hidden_global_offset_x
      - .offset:         3240
        .size:           8
        .value_kind:     hidden_global_offset_y
      - .offset:         3248
        .size:           8
        .value_kind:     hidden_global_offset_z
      - .offset:         3256
        .size:           2
        .value_kind:     hidden_grid_dims
    .group_segment_fixed_size: 0
    .kernarg_segment_align: 8
    .kernarg_segment_size: 3448
    .language:       OpenCL C
    .language_version:
      - 2
      - 0
    .max_flat_workgroup_size: 512
    .name:           _ZN2at6native12_GLOBAL__N_125multi_tensor_apply_kernelINS1_28TensorListScalarListMetadataIfLi4EEENS1_28PointwiseOpScalarListFunctorIN3c108BFloat16ELi4ELi3ELi3EEEJSt10multipliesIfEEEEvT_T0_DpT1_
    .private_segment_fixed_size: 0
    .sgpr_count:     29
    .sgpr_spill_count: 0
    .symbol:         _ZN2at6native12_GLOBAL__N_125multi_tensor_apply_kernelINS1_28TensorListScalarListMetadataIfLi4EEENS1_28PointwiseOpScalarListFunctorIN3c108BFloat16ELi4ELi3ELi3EEEJSt10multipliesIfEEEEvT_T0_DpT1_.kd
    .uniform_work_group_size: 1
    .uses_dynamic_stack: false
    .vgpr_count:     54
    .vgpr_spill_count: 0
    .wavefront_size: 32
    .workgroup_processor_mode: 1
  - .args:
      - .offset:         0
        .size:           3184
        .value_kind:     by_value
      - .offset:         3184
        .size:           1
        .value_kind:     by_value
      - .offset:         3185
        .size:           1
        .value_kind:     by_value
      - .offset:         3192
        .size:           4
        .value_kind:     hidden_block_count_x
      - .offset:         3196
        .size:           4
        .value_kind:     hidden_block_count_y
      - .offset:         3200
        .size:           4
        .value_kind:     hidden_block_count_z
      - .offset:         3204
        .size:           2
        .value_kind:     hidden_group_size_x
      - .offset:         3206
        .size:           2
        .value_kind:     hidden_group_size_y
      - .offset:         3208
        .size:           2
        .value_kind:     hidden_group_size_z
      - .offset:         3210
        .size:           2
        .value_kind:     hidden_remainder_x
      - .offset:         3212
        .size:           2
        .value_kind:     hidden_remainder_y
      - .offset:         3214
        .size:           2
        .value_kind:     hidden_remainder_z
      - .offset:         3232
        .size:           8
        .value_kind:     hidden_global_offset_x
      - .offset:         3240
        .size:           8
        .value_kind:     hidden_global_offset_y
      - .offset:         3248
        .size:           8
        .value_kind:     hidden_global_offset_z
      - .offset:         3256
        .size:           2
        .value_kind:     hidden_grid_dims
    .group_segment_fixed_size: 0
    .kernarg_segment_align: 8
    .kernarg_segment_size: 3448
    .language:       OpenCL C
    .language_version:
      - 2
      - 0
    .max_flat_workgroup_size: 512
    .name:           _ZN2at6native12_GLOBAL__N_125multi_tensor_apply_kernelINS1_28TensorListScalarListMetadataIhLi3EEENS1_28PointwiseOpScalarListFunctorIhLi3ELi3ELi0EEEJSt10multipliesIhEEEEvT_T0_DpT1_
    .private_segment_fixed_size: 0
    .sgpr_count:     28
    .sgpr_spill_count: 0
    .symbol:         _ZN2at6native12_GLOBAL__N_125multi_tensor_apply_kernelINS1_28TensorListScalarListMetadataIhLi3EEENS1_28PointwiseOpScalarListFunctorIhLi3ELi3ELi0EEEJSt10multipliesIhEEEEvT_T0_DpT1_.kd
    .uniform_work_group_size: 1
    .uses_dynamic_stack: false
    .vgpr_count:     46
    .vgpr_spill_count: 0
    .wavefront_size: 32
    .workgroup_processor_mode: 1
  - .args:
      - .offset:         0
        .size:           3184
        .value_kind:     by_value
      - .offset:         3184
        .size:           1
        .value_kind:     by_value
      - .offset:         3185
        .size:           1
        .value_kind:     by_value
      - .offset:         3192
        .size:           4
        .value_kind:     hidden_block_count_x
      - .offset:         3196
        .size:           4
        .value_kind:     hidden_block_count_y
      - .offset:         3200
        .size:           4
        .value_kind:     hidden_block_count_z
      - .offset:         3204
        .size:           2
        .value_kind:     hidden_group_size_x
      - .offset:         3206
        .size:           2
        .value_kind:     hidden_group_size_y
      - .offset:         3208
        .size:           2
        .value_kind:     hidden_group_size_z
      - .offset:         3210
        .size:           2
        .value_kind:     hidden_remainder_x
      - .offset:         3212
        .size:           2
        .value_kind:     hidden_remainder_y
      - .offset:         3214
        .size:           2
        .value_kind:     hidden_remainder_z
      - .offset:         3232
        .size:           8
        .value_kind:     hidden_global_offset_x
      - .offset:         3240
        .size:           8
        .value_kind:     hidden_global_offset_y
      - .offset:         3248
        .size:           8
        .value_kind:     hidden_global_offset_z
      - .offset:         3256
        .size:           2
        .value_kind:     hidden_grid_dims
    .group_segment_fixed_size: 0
    .kernarg_segment_align: 8
    .kernarg_segment_size: 3448
    .language:       OpenCL C
    .language_version:
      - 2
      - 0
    .max_flat_workgroup_size: 512
    .name:           _ZN2at6native12_GLOBAL__N_125multi_tensor_apply_kernelINS1_28TensorListScalarListMetadataIaLi3EEENS1_28PointwiseOpScalarListFunctorIaLi3ELi3ELi0EEEJSt10multipliesIaEEEEvT_T0_DpT1_
    .private_segment_fixed_size: 0
    .sgpr_count:     28
    .sgpr_spill_count: 0
    .symbol:         _ZN2at6native12_GLOBAL__N_125multi_tensor_apply_kernelINS1_28TensorListScalarListMetadataIaLi3EEENS1_28PointwiseOpScalarListFunctorIaLi3ELi3ELi0EEEJSt10multipliesIaEEEEvT_T0_DpT1_.kd
    .uniform_work_group_size: 1
    .uses_dynamic_stack: false
    .vgpr_count:     46
    .vgpr_spill_count: 0
    .wavefront_size: 32
    .workgroup_processor_mode: 1
  - .args:
      - .offset:         0
        .size:           3328
        .value_kind:     by_value
      - .offset:         3328
        .size:           1
        .value_kind:     by_value
      - .offset:         3329
        .size:           1
        .value_kind:     by_value
      - .offset:         3336
        .size:           4
        .value_kind:     hidden_block_count_x
      - .offset:         3340
        .size:           4
        .value_kind:     hidden_block_count_y
      - .offset:         3344
        .size:           4
        .value_kind:     hidden_block_count_z
      - .offset:         3348
        .size:           2
        .value_kind:     hidden_group_size_x
      - .offset:         3350
        .size:           2
        .value_kind:     hidden_group_size_y
      - .offset:         3352
        .size:           2
        .value_kind:     hidden_group_size_z
      - .offset:         3354
        .size:           2
        .value_kind:     hidden_remainder_x
      - .offset:         3356
        .size:           2
        .value_kind:     hidden_remainder_y
      - .offset:         3358
        .size:           2
        .value_kind:     hidden_remainder_z
      - .offset:         3376
        .size:           8
        .value_kind:     hidden_global_offset_x
      - .offset:         3384
        .size:           8
        .value_kind:     hidden_global_offset_y
      - .offset:         3392
        .size:           8
        .value_kind:     hidden_global_offset_z
      - .offset:         3400
        .size:           2
        .value_kind:     hidden_grid_dims
    .group_segment_fixed_size: 0
    .kernarg_segment_align: 8
    .kernarg_segment_size: 3592
    .language:       OpenCL C
    .language_version:
      - 2
      - 0
    .max_flat_workgroup_size: 512
    .name:           _ZN2at6native12_GLOBAL__N_125multi_tensor_apply_kernelINS1_28TensorListScalarListMetadataIiLi3EEENS1_28PointwiseOpScalarListFunctorIiLi3ELi3ELi0EEEJSt10multipliesIiEEEEvT_T0_DpT1_
    .private_segment_fixed_size: 0
    .sgpr_count:     27
    .sgpr_spill_count: 0
    .symbol:         _ZN2at6native12_GLOBAL__N_125multi_tensor_apply_kernelINS1_28TensorListScalarListMetadataIiLi3EEENS1_28PointwiseOpScalarListFunctorIiLi3ELi3ELi0EEEJSt10multipliesIiEEEEvT_T0_DpT1_.kd
    .uniform_work_group_size: 1
    .uses_dynamic_stack: false
    .vgpr_count:     45
    .vgpr_spill_count: 0
    .wavefront_size: 32
    .workgroup_processor_mode: 1
  - .args:
      - .offset:         0
        .size:           3520
        .value_kind:     by_value
      - .offset:         3520
        .size:           1
        .value_kind:     by_value
      - .offset:         3521
        .size:           1
        .value_kind:     by_value
      - .offset:         3528
        .size:           4
        .value_kind:     hidden_block_count_x
      - .offset:         3532
        .size:           4
        .value_kind:     hidden_block_count_y
      - .offset:         3536
        .size:           4
        .value_kind:     hidden_block_count_z
      - .offset:         3540
        .size:           2
        .value_kind:     hidden_group_size_x
      - .offset:         3542
        .size:           2
        .value_kind:     hidden_group_size_y
      - .offset:         3544
        .size:           2
        .value_kind:     hidden_group_size_z
      - .offset:         3546
        .size:           2
        .value_kind:     hidden_remainder_x
      - .offset:         3548
        .size:           2
        .value_kind:     hidden_remainder_y
      - .offset:         3550
        .size:           2
        .value_kind:     hidden_remainder_z
      - .offset:         3568
        .size:           8
        .value_kind:     hidden_global_offset_x
      - .offset:         3576
        .size:           8
        .value_kind:     hidden_global_offset_y
      - .offset:         3584
        .size:           8
        .value_kind:     hidden_global_offset_z
      - .offset:         3592
        .size:           2
        .value_kind:     hidden_grid_dims
    .group_segment_fixed_size: 0
    .kernarg_segment_align: 8
    .kernarg_segment_size: 3784
    .language:       OpenCL C
    .language_version:
      - 2
      - 0
    .max_flat_workgroup_size: 512
    .name:           _ZN2at6native12_GLOBAL__N_125multi_tensor_apply_kernelINS1_28TensorListScalarListMetadataIlLi3EEENS1_28PointwiseOpScalarListFunctorIlLi3ELi3ELi0EEEJSt10multipliesIlEEEEvT_T0_DpT1_
    .private_segment_fixed_size: 0
    .sgpr_count:     28
    .sgpr_spill_count: 0
    .symbol:         _ZN2at6native12_GLOBAL__N_125multi_tensor_apply_kernelINS1_28TensorListScalarListMetadataIlLi3EEENS1_28PointwiseOpScalarListFunctorIlLi3ELi3ELi0EEEJSt10multipliesIlEEEEvT_T0_DpT1_.kd
    .uniform_work_group_size: 1
    .uses_dynamic_stack: false
    .vgpr_count:     58
    .vgpr_spill_count: 0
    .wavefront_size: 32
    .workgroup_processor_mode: 1
  - .args:
      - .offset:         0
        .size:           3232
        .value_kind:     by_value
      - .offset:         3232
        .size:           1
        .value_kind:     by_value
      - .offset:         3233
        .size:           1
        .value_kind:     by_value
      - .offset:         3240
        .size:           4
        .value_kind:     hidden_block_count_x
      - .offset:         3244
        .size:           4
        .value_kind:     hidden_block_count_y
      - .offset:         3248
        .size:           4
        .value_kind:     hidden_block_count_z
      - .offset:         3252
        .size:           2
        .value_kind:     hidden_group_size_x
      - .offset:         3254
        .size:           2
        .value_kind:     hidden_group_size_y
      - .offset:         3256
        .size:           2
        .value_kind:     hidden_group_size_z
      - .offset:         3258
        .size:           2
        .value_kind:     hidden_remainder_x
      - .offset:         3260
        .size:           2
        .value_kind:     hidden_remainder_y
      - .offset:         3262
        .size:           2
        .value_kind:     hidden_remainder_z
      - .offset:         3280
        .size:           8
        .value_kind:     hidden_global_offset_x
      - .offset:         3288
        .size:           8
        .value_kind:     hidden_global_offset_y
      - .offset:         3296
        .size:           8
        .value_kind:     hidden_global_offset_z
      - .offset:         3304
        .size:           2
        .value_kind:     hidden_grid_dims
    .group_segment_fixed_size: 0
    .kernarg_segment_align: 8
    .kernarg_segment_size: 3496
    .language:       OpenCL C
    .language_version:
      - 2
      - 0
    .max_flat_workgroup_size: 512
    .name:           _ZN2at6native12_GLOBAL__N_125multi_tensor_apply_kernelINS1_28TensorListScalarListMetadataIsLi3EEENS1_28PointwiseOpScalarListFunctorIsLi3ELi3ELi0EEEJSt10multipliesIsEEEEvT_T0_DpT1_
    .private_segment_fixed_size: 0
    .sgpr_count:     25
    .sgpr_spill_count: 0
    .symbol:         _ZN2at6native12_GLOBAL__N_125multi_tensor_apply_kernelINS1_28TensorListScalarListMetadataIsLi3EEENS1_28PointwiseOpScalarListFunctorIsLi3ELi3ELi0EEEJSt10multipliesIsEEEEvT_T0_DpT1_.kd
    .uniform_work_group_size: 1
    .uses_dynamic_stack: false
    .vgpr_count:     46
    .vgpr_spill_count: 0
    .wavefront_size: 32
    .workgroup_processor_mode: 1
  - .args:
      - .offset:         0
        .size:           3520
        .value_kind:     by_value
      - .offset:         3520
        .size:           1
        .value_kind:     by_value
      - .offset:         3521
        .size:           1
        .value_kind:     by_value
      - .offset:         3528
        .size:           4
        .value_kind:     hidden_block_count_x
      - .offset:         3532
        .size:           4
        .value_kind:     hidden_block_count_y
      - .offset:         3536
        .size:           4
        .value_kind:     hidden_block_count_z
      - .offset:         3540
        .size:           2
        .value_kind:     hidden_group_size_x
      - .offset:         3542
        .size:           2
        .value_kind:     hidden_group_size_y
      - .offset:         3544
        .size:           2
        .value_kind:     hidden_group_size_z
      - .offset:         3546
        .size:           2
        .value_kind:     hidden_remainder_x
      - .offset:         3548
        .size:           2
        .value_kind:     hidden_remainder_y
      - .offset:         3550
        .size:           2
        .value_kind:     hidden_remainder_z
      - .offset:         3568
        .size:           8
        .value_kind:     hidden_global_offset_x
      - .offset:         3576
        .size:           8
        .value_kind:     hidden_global_offset_y
      - .offset:         3584
        .size:           8
        .value_kind:     hidden_global_offset_z
      - .offset:         3592
        .size:           2
        .value_kind:     hidden_grid_dims
    .group_segment_fixed_size: 0
    .kernarg_segment_align: 8
    .kernarg_segment_size: 3784
    .language:       OpenCL C
    .language_version:
      - 2
      - 0
    .max_flat_workgroup_size: 512
    .name:           _ZN2at6native12_GLOBAL__N_125multi_tensor_apply_kernelINS1_28TensorListScalarListMetadataIdLi3EEENS1_28PointwiseOpScalarListFunctorIdLi3ELi3ELi0EEEJSt10multipliesIdEEEEvT_T0_DpT1_
    .private_segment_fixed_size: 0
    .sgpr_count:     29
    .sgpr_spill_count: 0
    .symbol:         _ZN2at6native12_GLOBAL__N_125multi_tensor_apply_kernelINS1_28TensorListScalarListMetadataIdLi3EEENS1_28PointwiseOpScalarListFunctorIdLi3ELi3ELi0EEEJSt10multipliesIdEEEEvT_T0_DpT1_.kd
    .uniform_work_group_size: 1
    .uses_dynamic_stack: false
    .vgpr_count:     57
    .vgpr_spill_count: 0
    .wavefront_size: 32
    .workgroup_processor_mode: 1
  - .args:
      - .offset:         0
        .size:           3328
        .value_kind:     by_value
      - .offset:         3328
        .size:           1
        .value_kind:     by_value
      - .offset:         3329
        .size:           1
        .value_kind:     by_value
      - .offset:         3336
        .size:           4
        .value_kind:     hidden_block_count_x
      - .offset:         3340
        .size:           4
        .value_kind:     hidden_block_count_y
      - .offset:         3344
        .size:           4
        .value_kind:     hidden_block_count_z
      - .offset:         3348
        .size:           2
        .value_kind:     hidden_group_size_x
      - .offset:         3350
        .size:           2
        .value_kind:     hidden_group_size_y
      - .offset:         3352
        .size:           2
        .value_kind:     hidden_group_size_z
      - .offset:         3354
        .size:           2
        .value_kind:     hidden_remainder_x
      - .offset:         3356
        .size:           2
        .value_kind:     hidden_remainder_y
      - .offset:         3358
        .size:           2
        .value_kind:     hidden_remainder_z
      - .offset:         3376
        .size:           8
        .value_kind:     hidden_global_offset_x
      - .offset:         3384
        .size:           8
        .value_kind:     hidden_global_offset_y
      - .offset:         3392
        .size:           8
        .value_kind:     hidden_global_offset_z
      - .offset:         3400
        .size:           2
        .value_kind:     hidden_grid_dims
    .group_segment_fixed_size: 0
    .kernarg_segment_align: 8
    .kernarg_segment_size: 3592
    .language:       OpenCL C
    .language_version:
      - 2
      - 0
    .max_flat_workgroup_size: 512
    .name:           _ZN2at6native12_GLOBAL__N_125multi_tensor_apply_kernelINS1_28TensorListScalarListMetadataIfLi3EEENS1_28PointwiseOpScalarListFunctorIfLi3ELi3ELi0EEEJSt10multipliesIfEEEEvT_T0_DpT1_
    .private_segment_fixed_size: 0
    .sgpr_count:     28
    .sgpr_spill_count: 0
    .symbol:         _ZN2at6native12_GLOBAL__N_125multi_tensor_apply_kernelINS1_28TensorListScalarListMetadataIfLi3EEENS1_28PointwiseOpScalarListFunctorIfLi3ELi3ELi0EEEJSt10multipliesIfEEEEvT_T0_DpT1_.kd
    .uniform_work_group_size: 1
    .uses_dynamic_stack: false
    .vgpr_count:     46
    .vgpr_spill_count: 0
    .wavefront_size: 32
    .workgroup_processor_mode: 1
  - .args:
      - .offset:         0
        .size:           3904
        .value_kind:     by_value
      - .offset:         3904
        .size:           1
        .value_kind:     by_value
      - .offset:         3905
        .size:           1
        .value_kind:     by_value
      - .offset:         3912
        .size:           4
        .value_kind:     hidden_block_count_x
      - .offset:         3916
        .size:           4
        .value_kind:     hidden_block_count_y
      - .offset:         3920
        .size:           4
        .value_kind:     hidden_block_count_z
      - .offset:         3924
        .size:           2
        .value_kind:     hidden_group_size_x
      - .offset:         3926
        .size:           2
        .value_kind:     hidden_group_size_y
      - .offset:         3928
        .size:           2
        .value_kind:     hidden_group_size_z
      - .offset:         3930
        .size:           2
        .value_kind:     hidden_remainder_x
      - .offset:         3932
        .size:           2
        .value_kind:     hidden_remainder_y
      - .offset:         3934
        .size:           2
        .value_kind:     hidden_remainder_z
      - .offset:         3952
        .size:           8
        .value_kind:     hidden_global_offset_x
      - .offset:         3960
        .size:           8
        .value_kind:     hidden_global_offset_y
      - .offset:         3968
        .size:           8
        .value_kind:     hidden_global_offset_z
      - .offset:         3976
        .size:           2
        .value_kind:     hidden_grid_dims
    .group_segment_fixed_size: 0
    .kernarg_segment_align: 16
    .kernarg_segment_size: 4168
    .language:       OpenCL C
    .language_version:
      - 2
      - 0
    .max_flat_workgroup_size: 512
    .name:           _ZN2at6native12_GLOBAL__N_125multi_tensor_apply_kernelINS1_28TensorListScalarListMetadataIN3c107complexIdEELi3EEENS1_28PointwiseOpScalarListFunctorIS6_Li3ELi3ELi0EEEJSt10multipliesIS6_EEEEvT_T0_DpT1_
    .private_segment_fixed_size: 0
    .sgpr_count:     33
    .sgpr_spill_count: 0
    .symbol:         _ZN2at6native12_GLOBAL__N_125multi_tensor_apply_kernelINS1_28TensorListScalarListMetadataIN3c107complexIdEELi3EEENS1_28PointwiseOpScalarListFunctorIS6_Li3ELi3ELi0EEEJSt10multipliesIS6_EEEEvT_T0_DpT1_.kd
    .uniform_work_group_size: 1
    .uses_dynamic_stack: false
    .vgpr_count:     77
    .vgpr_spill_count: 0
    .wavefront_size: 32
    .workgroup_processor_mode: 1
  - .args:
      - .offset:         0
        .size:           3520
        .value_kind:     by_value
      - .offset:         3520
        .size:           1
        .value_kind:     by_value
      - .offset:         3521
        .size:           1
        .value_kind:     by_value
      - .offset:         3528
        .size:           4
        .value_kind:     hidden_block_count_x
      - .offset:         3532
        .size:           4
        .value_kind:     hidden_block_count_y
      - .offset:         3536
        .size:           4
        .value_kind:     hidden_block_count_z
      - .offset:         3540
        .size:           2
        .value_kind:     hidden_group_size_x
      - .offset:         3542
        .size:           2
        .value_kind:     hidden_group_size_y
      - .offset:         3544
        .size:           2
        .value_kind:     hidden_group_size_z
      - .offset:         3546
        .size:           2
        .value_kind:     hidden_remainder_x
      - .offset:         3548
        .size:           2
        .value_kind:     hidden_remainder_y
      - .offset:         3550
        .size:           2
        .value_kind:     hidden_remainder_z
      - .offset:         3568
        .size:           8
        .value_kind:     hidden_global_offset_x
      - .offset:         3576
        .size:           8
        .value_kind:     hidden_global_offset_y
      - .offset:         3584
        .size:           8
        .value_kind:     hidden_global_offset_z
      - .offset:         3592
        .size:           2
        .value_kind:     hidden_grid_dims
    .group_segment_fixed_size: 0
    .kernarg_segment_align: 8
    .kernarg_segment_size: 3784
    .language:       OpenCL C
    .language_version:
      - 2
      - 0
    .max_flat_workgroup_size: 512
    .name:           _ZN2at6native12_GLOBAL__N_125multi_tensor_apply_kernelINS1_28TensorListScalarListMetadataIN3c107complexIfEELi3EEENS1_28PointwiseOpScalarListFunctorIS6_Li3ELi3ELi0EEEJSt10multipliesIS6_EEEEvT_T0_DpT1_
    .private_segment_fixed_size: 0
    .sgpr_count:     29
    .sgpr_spill_count: 0
    .symbol:         _ZN2at6native12_GLOBAL__N_125multi_tensor_apply_kernelINS1_28TensorListScalarListMetadataIN3c107complexIfEELi3EEENS1_28PointwiseOpScalarListFunctorIS6_Li3ELi3ELi0EEEJSt10multipliesIS6_EEEEvT_T0_DpT1_.kd
    .uniform_work_group_size: 1
    .uses_dynamic_stack: false
    .vgpr_count:     56
    .vgpr_spill_count: 0
    .wavefront_size: 32
    .workgroup_processor_mode: 1
  - .args:
      - .offset:         0
        .size:           3328
        .value_kind:     by_value
      - .offset:         3328
        .size:           1
        .value_kind:     by_value
      - .offset:         3329
        .size:           1
        .value_kind:     by_value
      - .offset:         3336
        .size:           4
        .value_kind:     hidden_block_count_x
      - .offset:         3340
        .size:           4
        .value_kind:     hidden_block_count_y
      - .offset:         3344
        .size:           4
        .value_kind:     hidden_block_count_z
      - .offset:         3348
        .size:           2
        .value_kind:     hidden_group_size_x
      - .offset:         3350
        .size:           2
        .value_kind:     hidden_group_size_y
      - .offset:         3352
        .size:           2
        .value_kind:     hidden_group_size_z
      - .offset:         3354
        .size:           2
        .value_kind:     hidden_remainder_x
      - .offset:         3356
        .size:           2
        .value_kind:     hidden_remainder_y
      - .offset:         3358
        .size:           2
        .value_kind:     hidden_remainder_z
      - .offset:         3376
        .size:           8
        .value_kind:     hidden_global_offset_x
      - .offset:         3384
        .size:           8
        .value_kind:     hidden_global_offset_y
      - .offset:         3392
        .size:           8
        .value_kind:     hidden_global_offset_z
      - .offset:         3400
        .size:           2
        .value_kind:     hidden_grid_dims
    .group_segment_fixed_size: 0
    .kernarg_segment_align: 8
    .kernarg_segment_size: 3592
    .language:       OpenCL C
    .language_version:
      - 2
      - 0
    .max_flat_workgroup_size: 512
    .name:           _ZN2at6native12_GLOBAL__N_125multi_tensor_apply_kernelINS1_28TensorListScalarListMetadataIfLi3EEENS1_28PointwiseOpScalarListFunctorIN3c104HalfELi3ELi3ELi0EEEJSt10multipliesIfEEEEvT_T0_DpT1_
    .private_segment_fixed_size: 0
    .sgpr_count:     29
    .sgpr_spill_count: 0
    .symbol:         _ZN2at6native12_GLOBAL__N_125multi_tensor_apply_kernelINS1_28TensorListScalarListMetadataIfLi3EEENS1_28PointwiseOpScalarListFunctorIN3c104HalfELi3ELi3ELi0EEEJSt10multipliesIfEEEEvT_T0_DpT1_.kd
    .uniform_work_group_size: 1
    .uses_dynamic_stack: false
    .vgpr_count:     46
    .vgpr_spill_count: 0
    .wavefront_size: 32
    .workgroup_processor_mode: 1
  - .args:
      - .offset:         0
        .size:           3328
        .value_kind:     by_value
      - .offset:         3328
        .size:           1
        .value_kind:     by_value
      - .offset:         3329
        .size:           1
        .value_kind:     by_value
      - .offset:         3336
        .size:           4
        .value_kind:     hidden_block_count_x
      - .offset:         3340
        .size:           4
        .value_kind:     hidden_block_count_y
      - .offset:         3344
        .size:           4
        .value_kind:     hidden_block_count_z
      - .offset:         3348
        .size:           2
        .value_kind:     hidden_group_size_x
      - .offset:         3350
        .size:           2
        .value_kind:     hidden_group_size_y
      - .offset:         3352
        .size:           2
        .value_kind:     hidden_group_size_z
      - .offset:         3354
        .size:           2
        .value_kind:     hidden_remainder_x
      - .offset:         3356
        .size:           2
        .value_kind:     hidden_remainder_y
      - .offset:         3358
        .size:           2
        .value_kind:     hidden_remainder_z
      - .offset:         3376
        .size:           8
        .value_kind:     hidden_global_offset_x
      - .offset:         3384
        .size:           8
        .value_kind:     hidden_global_offset_y
      - .offset:         3392
        .size:           8
        .value_kind:     hidden_global_offset_z
      - .offset:         3400
        .size:           2
        .value_kind:     hidden_grid_dims
    .group_segment_fixed_size: 0
    .kernarg_segment_align: 8
    .kernarg_segment_size: 3592
    .language:       OpenCL C
    .language_version:
      - 2
      - 0
    .max_flat_workgroup_size: 512
    .name:           _ZN2at6native12_GLOBAL__N_125multi_tensor_apply_kernelINS1_28TensorListScalarListMetadataIfLi3EEENS1_28PointwiseOpScalarListFunctorIN3c108BFloat16ELi3ELi3ELi0EEEJSt10multipliesIfEEEEvT_T0_DpT1_
    .private_segment_fixed_size: 0
    .sgpr_count:     27
    .sgpr_spill_count: 0
    .symbol:         _ZN2at6native12_GLOBAL__N_125multi_tensor_apply_kernelINS1_28TensorListScalarListMetadataIfLi3EEENS1_28PointwiseOpScalarListFunctorIN3c108BFloat16ELi3ELi3ELi0EEEJSt10multipliesIfEEEEvT_T0_DpT1_.kd
    .uniform_work_group_size: 1
    .uses_dynamic_stack: false
    .vgpr_count:     46
    .vgpr_spill_count: 0
    .wavefront_size: 32
    .workgroup_processor_mode: 1
  - .args:
      - .offset:         0
        .size:           3080
        .value_kind:     by_value
      - .offset:         3080
        .size:           1
        .value_kind:     by_value
      - .offset:         3081
        .size:           1
        .value_kind:     by_value
      - .offset:         3088
        .size:           4
        .value_kind:     hidden_block_count_x
      - .offset:         3092
        .size:           4
        .value_kind:     hidden_block_count_y
      - .offset:         3096
        .size:           4
        .value_kind:     hidden_block_count_z
      - .offset:         3100
        .size:           2
        .value_kind:     hidden_group_size_x
      - .offset:         3102
        .size:           2
        .value_kind:     hidden_group_size_y
      - .offset:         3104
        .size:           2
        .value_kind:     hidden_group_size_z
      - .offset:         3106
        .size:           2
        .value_kind:     hidden_remainder_x
      - .offset:         3108
        .size:           2
        .value_kind:     hidden_remainder_y
      - .offset:         3110
        .size:           2
        .value_kind:     hidden_remainder_z
      - .offset:         3128
        .size:           8
        .value_kind:     hidden_global_offset_x
      - .offset:         3136
        .size:           8
        .value_kind:     hidden_global_offset_y
      - .offset:         3144
        .size:           8
        .value_kind:     hidden_global_offset_z
      - .offset:         3152
        .size:           2
        .value_kind:     hidden_grid_dims
    .group_segment_fixed_size: 0
    .kernarg_segment_align: 8
    .kernarg_segment_size: 3344
    .language:       OpenCL C
    .language_version:
      - 2
      - 0
    .max_flat_workgroup_size: 512
    .name:           _ZN2at6native12_GLOBAL__N_125multi_tensor_apply_kernelINS1_28TensorListScalarListMetadataIhLi4EEENS1_28PointwiseOpScalarListFunctorIhLi4ELi3ELi3EEEJSt7dividesIhEEEEvT_T0_DpT1_
    .private_segment_fixed_size: 0
    .sgpr_count:     32
    .sgpr_spill_count: 0
    .symbol:         _ZN2at6native12_GLOBAL__N_125multi_tensor_apply_kernelINS1_28TensorListScalarListMetadataIhLi4EEENS1_28PointwiseOpScalarListFunctorIhLi4ELi3ELi3EEEJSt7dividesIhEEEEvT_T0_DpT1_.kd
    .uniform_work_group_size: 1
    .uses_dynamic_stack: false
    .vgpr_count:     54
    .vgpr_spill_count: 0
    .wavefront_size: 32
    .workgroup_processor_mode: 1
  - .args:
      - .offset:         0
        .size:           3080
        .value_kind:     by_value
      - .offset:         3080
        .size:           1
        .value_kind:     by_value
      - .offset:         3081
        .size:           1
        .value_kind:     by_value
      - .offset:         3088
        .size:           4
        .value_kind:     hidden_block_count_x
      - .offset:         3092
        .size:           4
        .value_kind:     hidden_block_count_y
      - .offset:         3096
        .size:           4
        .value_kind:     hidden_block_count_z
      - .offset:         3100
        .size:           2
        .value_kind:     hidden_group_size_x
      - .offset:         3102
        .size:           2
        .value_kind:     hidden_group_size_y
      - .offset:         3104
        .size:           2
        .value_kind:     hidden_group_size_z
      - .offset:         3106
        .size:           2
        .value_kind:     hidden_remainder_x
      - .offset:         3108
        .size:           2
        .value_kind:     hidden_remainder_y
      - .offset:         3110
        .size:           2
        .value_kind:     hidden_remainder_z
      - .offset:         3128
        .size:           8
        .value_kind:     hidden_global_offset_x
      - .offset:         3136
        .size:           8
        .value_kind:     hidden_global_offset_y
      - .offset:         3144
        .size:           8
        .value_kind:     hidden_global_offset_z
      - .offset:         3152
        .size:           2
        .value_kind:     hidden_grid_dims
    .group_segment_fixed_size: 0
    .kernarg_segment_align: 8
    .kernarg_segment_size: 3344
    .language:       OpenCL C
    .language_version:
      - 2
      - 0
    .max_flat_workgroup_size: 512
    .name:           _ZN2at6native12_GLOBAL__N_125multi_tensor_apply_kernelINS1_28TensorListScalarListMetadataIaLi4EEENS1_28PointwiseOpScalarListFunctorIaLi4ELi3ELi3EEEJSt7dividesIaEEEEvT_T0_DpT1_
    .private_segment_fixed_size: 0
    .sgpr_count:     32
    .sgpr_spill_count: 0
    .symbol:         _ZN2at6native12_GLOBAL__N_125multi_tensor_apply_kernelINS1_28TensorListScalarListMetadataIaLi4EEENS1_28PointwiseOpScalarListFunctorIaLi4ELi3ELi3EEEJSt7dividesIaEEEEvT_T0_DpT1_.kd
    .uniform_work_group_size: 1
    .uses_dynamic_stack: false
    .vgpr_count:     55
    .vgpr_spill_count: 0
    .wavefront_size: 32
    .workgroup_processor_mode: 1
  - .args:
      - .offset:         0
        .size:           3184
        .value_kind:     by_value
      - .offset:         3184
        .size:           1
        .value_kind:     by_value
      - .offset:         3185
        .size:           1
        .value_kind:     by_value
      - .offset:         3192
        .size:           4
        .value_kind:     hidden_block_count_x
      - .offset:         3196
        .size:           4
        .value_kind:     hidden_block_count_y
      - .offset:         3200
        .size:           4
        .value_kind:     hidden_block_count_z
      - .offset:         3204
        .size:           2
        .value_kind:     hidden_group_size_x
      - .offset:         3206
        .size:           2
        .value_kind:     hidden_group_size_y
      - .offset:         3208
        .size:           2
        .value_kind:     hidden_group_size_z
      - .offset:         3210
        .size:           2
        .value_kind:     hidden_remainder_x
      - .offset:         3212
        .size:           2
        .value_kind:     hidden_remainder_y
      - .offset:         3214
        .size:           2
        .value_kind:     hidden_remainder_z
      - .offset:         3232
        .size:           8
        .value_kind:     hidden_global_offset_x
      - .offset:         3240
        .size:           8
        .value_kind:     hidden_global_offset_y
      - .offset:         3248
        .size:           8
        .value_kind:     hidden_global_offset_z
      - .offset:         3256
        .size:           2
        .value_kind:     hidden_grid_dims
    .group_segment_fixed_size: 0
    .kernarg_segment_align: 8
    .kernarg_segment_size: 3448
    .language:       OpenCL C
    .language_version:
      - 2
      - 0
    .max_flat_workgroup_size: 512
    .name:           _ZN2at6native12_GLOBAL__N_125multi_tensor_apply_kernelINS1_28TensorListScalarListMetadataIiLi4EEENS1_28PointwiseOpScalarListFunctorIiLi4ELi3ELi3EEEJSt7dividesIiEEEEvT_T0_DpT1_
    .private_segment_fixed_size: 0
    .sgpr_count:     32
    .sgpr_spill_count: 0
    .symbol:         _ZN2at6native12_GLOBAL__N_125multi_tensor_apply_kernelINS1_28TensorListScalarListMetadataIiLi4EEENS1_28PointwiseOpScalarListFunctorIiLi4ELi3ELi3EEEJSt7dividesIiEEEEvT_T0_DpT1_.kd
    .uniform_work_group_size: 1
    .uses_dynamic_stack: false
    .vgpr_count:     56
    .vgpr_spill_count: 0
    .wavefront_size: 32
    .workgroup_processor_mode: 1
  - .args:
      - .offset:         0
        .size:           3328
        .value_kind:     by_value
      - .offset:         3328
        .size:           1
        .value_kind:     by_value
      - .offset:         3329
        .size:           1
        .value_kind:     by_value
      - .offset:         3336
        .size:           4
        .value_kind:     hidden_block_count_x
      - .offset:         3340
        .size:           4
        .value_kind:     hidden_block_count_y
      - .offset:         3344
        .size:           4
        .value_kind:     hidden_block_count_z
      - .offset:         3348
        .size:           2
        .value_kind:     hidden_group_size_x
      - .offset:         3350
        .size:           2
        .value_kind:     hidden_group_size_y
      - .offset:         3352
        .size:           2
        .value_kind:     hidden_group_size_z
      - .offset:         3354
        .size:           2
        .value_kind:     hidden_remainder_x
      - .offset:         3356
        .size:           2
        .value_kind:     hidden_remainder_y
      - .offset:         3358
        .size:           2
        .value_kind:     hidden_remainder_z
      - .offset:         3376
        .size:           8
        .value_kind:     hidden_global_offset_x
      - .offset:         3384
        .size:           8
        .value_kind:     hidden_global_offset_y
      - .offset:         3392
        .size:           8
        .value_kind:     hidden_global_offset_z
      - .offset:         3400
        .size:           2
        .value_kind:     hidden_grid_dims
    .group_segment_fixed_size: 0
    .kernarg_segment_align: 8
    .kernarg_segment_size: 3592
    .language:       OpenCL C
    .language_version:
      - 2
      - 0
    .max_flat_workgroup_size: 512
    .name:           _ZN2at6native12_GLOBAL__N_125multi_tensor_apply_kernelINS1_28TensorListScalarListMetadataIlLi4EEENS1_28PointwiseOpScalarListFunctorIlLi4ELi3ELi3EEEJSt7dividesIlEEEEvT_T0_DpT1_
    .private_segment_fixed_size: 0
    .sgpr_count:     32
    .sgpr_spill_count: 0
    .symbol:         _ZN2at6native12_GLOBAL__N_125multi_tensor_apply_kernelINS1_28TensorListScalarListMetadataIlLi4EEENS1_28PointwiseOpScalarListFunctorIlLi4ELi3ELi3EEEJSt7dividesIlEEEEvT_T0_DpT1_.kd
    .uniform_work_group_size: 1
    .uses_dynamic_stack: false
    .vgpr_count:     77
    .vgpr_spill_count: 0
    .wavefront_size: 32
    .workgroup_processor_mode: 1
  - .args:
      - .offset:         0
        .size:           3112
        .value_kind:     by_value
      - .offset:         3112
        .size:           1
        .value_kind:     by_value
      - .offset:         3113
        .size:           1
        .value_kind:     by_value
      - .offset:         3120
        .size:           4
        .value_kind:     hidden_block_count_x
      - .offset:         3124
        .size:           4
        .value_kind:     hidden_block_count_y
      - .offset:         3128
        .size:           4
        .value_kind:     hidden_block_count_z
      - .offset:         3132
        .size:           2
        .value_kind:     hidden_group_size_x
      - .offset:         3134
        .size:           2
        .value_kind:     hidden_group_size_y
      - .offset:         3136
        .size:           2
        .value_kind:     hidden_group_size_z
      - .offset:         3138
        .size:           2
        .value_kind:     hidden_remainder_x
      - .offset:         3140
        .size:           2
        .value_kind:     hidden_remainder_y
      - .offset:         3142
        .size:           2
        .value_kind:     hidden_remainder_z
      - .offset:         3160
        .size:           8
        .value_kind:     hidden_global_offset_x
      - .offset:         3168
        .size:           8
        .value_kind:     hidden_global_offset_y
      - .offset:         3176
        .size:           8
        .value_kind:     hidden_global_offset_z
      - .offset:         3184
        .size:           2
        .value_kind:     hidden_grid_dims
    .group_segment_fixed_size: 0
    .kernarg_segment_align: 8
    .kernarg_segment_size: 3376
    .language:       OpenCL C
    .language_version:
      - 2
      - 0
    .max_flat_workgroup_size: 512
    .name:           _ZN2at6native12_GLOBAL__N_125multi_tensor_apply_kernelINS1_28TensorListScalarListMetadataIsLi4EEENS1_28PointwiseOpScalarListFunctorIsLi4ELi3ELi3EEEJSt7dividesIsEEEEvT_T0_DpT1_
    .private_segment_fixed_size: 0
    .sgpr_count:     27
    .sgpr_spill_count: 0
    .symbol:         _ZN2at6native12_GLOBAL__N_125multi_tensor_apply_kernelINS1_28TensorListScalarListMetadataIsLi4EEENS1_28PointwiseOpScalarListFunctorIsLi4ELi3ELi3EEEJSt7dividesIsEEEEvT_T0_DpT1_.kd
    .uniform_work_group_size: 1
    .uses_dynamic_stack: false
    .vgpr_count:     55
    .vgpr_spill_count: 0
    .wavefront_size: 32
    .workgroup_processor_mode: 1
  - .args:
      - .offset:         0
        .size:           3328
        .value_kind:     by_value
      - .offset:         3328
        .size:           1
        .value_kind:     by_value
      - .offset:         3329
        .size:           1
        .value_kind:     by_value
      - .offset:         3336
        .size:           4
        .value_kind:     hidden_block_count_x
      - .offset:         3340
        .size:           4
        .value_kind:     hidden_block_count_y
      - .offset:         3344
        .size:           4
        .value_kind:     hidden_block_count_z
      - .offset:         3348
        .size:           2
        .value_kind:     hidden_group_size_x
      - .offset:         3350
        .size:           2
        .value_kind:     hidden_group_size_y
      - .offset:         3352
        .size:           2
        .value_kind:     hidden_group_size_z
      - .offset:         3354
        .size:           2
        .value_kind:     hidden_remainder_x
      - .offset:         3356
        .size:           2
        .value_kind:     hidden_remainder_y
      - .offset:         3358
        .size:           2
        .value_kind:     hidden_remainder_z
      - .offset:         3376
        .size:           8
        .value_kind:     hidden_global_offset_x
      - .offset:         3384
        .size:           8
        .value_kind:     hidden_global_offset_y
      - .offset:         3392
        .size:           8
        .value_kind:     hidden_global_offset_z
      - .offset:         3400
        .size:           2
        .value_kind:     hidden_grid_dims
    .group_segment_fixed_size: 0
    .kernarg_segment_align: 8
    .kernarg_segment_size: 3592
    .language:       OpenCL C
    .language_version:
      - 2
      - 0
    .max_flat_workgroup_size: 512
    .name:           _ZN2at6native12_GLOBAL__N_125multi_tensor_apply_kernelINS1_28TensorListScalarListMetadataIdLi4EEENS1_28PointwiseOpScalarListFunctorIdLi4ELi3ELi3EEEJSt7dividesIdEEEEvT_T0_DpT1_
    .private_segment_fixed_size: 0
    .sgpr_count:     33
    .sgpr_spill_count: 0
    .symbol:         _ZN2at6native12_GLOBAL__N_125multi_tensor_apply_kernelINS1_28TensorListScalarListMetadataIdLi4EEENS1_28PointwiseOpScalarListFunctorIdLi4ELi3ELi3EEEJSt7dividesIdEEEEvT_T0_DpT1_.kd
    .uniform_work_group_size: 1
    .uses_dynamic_stack: false
    .vgpr_count:     71
    .vgpr_spill_count: 0
    .wavefront_size: 32
    .workgroup_processor_mode: 1
  - .args:
      - .offset:         0
        .size:           3184
        .value_kind:     by_value
      - .offset:         3184
        .size:           1
        .value_kind:     by_value
      - .offset:         3185
        .size:           1
        .value_kind:     by_value
      - .offset:         3192
        .size:           4
        .value_kind:     hidden_block_count_x
      - .offset:         3196
        .size:           4
        .value_kind:     hidden_block_count_y
      - .offset:         3200
        .size:           4
        .value_kind:     hidden_block_count_z
      - .offset:         3204
        .size:           2
        .value_kind:     hidden_group_size_x
      - .offset:         3206
        .size:           2
        .value_kind:     hidden_group_size_y
      - .offset:         3208
        .size:           2
        .value_kind:     hidden_group_size_z
      - .offset:         3210
        .size:           2
        .value_kind:     hidden_remainder_x
      - .offset:         3212
        .size:           2
        .value_kind:     hidden_remainder_y
      - .offset:         3214
        .size:           2
        .value_kind:     hidden_remainder_z
      - .offset:         3232
        .size:           8
        .value_kind:     hidden_global_offset_x
      - .offset:         3240
        .size:           8
        .value_kind:     hidden_global_offset_y
      - .offset:         3248
        .size:           8
        .value_kind:     hidden_global_offset_z
      - .offset:         3256
        .size:           2
        .value_kind:     hidden_grid_dims
    .group_segment_fixed_size: 0
    .kernarg_segment_align: 8
    .kernarg_segment_size: 3448
    .language:       OpenCL C
    .language_version:
      - 2
      - 0
    .max_flat_workgroup_size: 512
    .name:           _ZN2at6native12_GLOBAL__N_125multi_tensor_apply_kernelINS1_28TensorListScalarListMetadataIfLi4EEENS1_28PointwiseOpScalarListFunctorIfLi4ELi3ELi3EEEJSt7dividesIfEEEEvT_T0_DpT1_
    .private_segment_fixed_size: 0
    .sgpr_count:     33
    .sgpr_spill_count: 0
    .symbol:         _ZN2at6native12_GLOBAL__N_125multi_tensor_apply_kernelINS1_28TensorListScalarListMetadataIfLi4EEENS1_28PointwiseOpScalarListFunctorIfLi4ELi3ELi3EEEJSt7dividesIfEEEEvT_T0_DpT1_.kd
    .uniform_work_group_size: 1
    .uses_dynamic_stack: false
    .vgpr_count:     56
    .vgpr_spill_count: 0
    .wavefront_size: 32
    .workgroup_processor_mode: 1
  - .args:
      - .offset:         0
        .size:           3616
        .value_kind:     by_value
      - .offset:         3616
        .size:           1
        .value_kind:     by_value
      - .offset:         3617
        .size:           1
        .value_kind:     by_value
      - .offset:         3624
        .size:           4
        .value_kind:     hidden_block_count_x
      - .offset:         3628
        .size:           4
        .value_kind:     hidden_block_count_y
      - .offset:         3632
        .size:           4
        .value_kind:     hidden_block_count_z
      - .offset:         3636
        .size:           2
        .value_kind:     hidden_group_size_x
      - .offset:         3638
        .size:           2
        .value_kind:     hidden_group_size_y
      - .offset:         3640
        .size:           2
        .value_kind:     hidden_group_size_z
      - .offset:         3642
        .size:           2
        .value_kind:     hidden_remainder_x
      - .offset:         3644
        .size:           2
        .value_kind:     hidden_remainder_y
      - .offset:         3646
        .size:           2
        .value_kind:     hidden_remainder_z
      - .offset:         3664
        .size:           8
        .value_kind:     hidden_global_offset_x
      - .offset:         3672
        .size:           8
        .value_kind:     hidden_global_offset_y
      - .offset:         3680
        .size:           8
        .value_kind:     hidden_global_offset_z
      - .offset:         3688
        .size:           2
        .value_kind:     hidden_grid_dims
    .group_segment_fixed_size: 0
    .kernarg_segment_align: 16
    .kernarg_segment_size: 3880
    .language:       OpenCL C
    .language_version:
      - 2
      - 0
    .max_flat_workgroup_size: 512
    .name:           _ZN2at6native12_GLOBAL__N_125multi_tensor_apply_kernelINS1_28TensorListScalarListMetadataIN3c107complexIdEELi4EEENS1_28PointwiseOpScalarListFunctorIS6_Li4ELi3ELi3EEEJSt7dividesIS6_EEEEvT_T0_DpT1_
    .private_segment_fixed_size: 0
    .sgpr_count:     39
    .sgpr_spill_count: 0
    .symbol:         _ZN2at6native12_GLOBAL__N_125multi_tensor_apply_kernelINS1_28TensorListScalarListMetadataIN3c107complexIdEELi4EEENS1_28PointwiseOpScalarListFunctorIS6_Li4ELi3ELi3EEEJSt7dividesIS6_EEEEvT_T0_DpT1_.kd
    .uniform_work_group_size: 1
    .uses_dynamic_stack: false
    .vgpr_count:     103
    .vgpr_spill_count: 0
    .wavefront_size: 32
    .workgroup_processor_mode: 1
  - .args:
      - .offset:         0
        .size:           3328
        .value_kind:     by_value
      - .offset:         3328
        .size:           1
        .value_kind:     by_value
      - .offset:         3329
        .size:           1
        .value_kind:     by_value
      - .offset:         3336
        .size:           4
        .value_kind:     hidden_block_count_x
      - .offset:         3340
        .size:           4
        .value_kind:     hidden_block_count_y
      - .offset:         3344
        .size:           4
        .value_kind:     hidden_block_count_z
      - .offset:         3348
        .size:           2
        .value_kind:     hidden_group_size_x
      - .offset:         3350
        .size:           2
        .value_kind:     hidden_group_size_y
      - .offset:         3352
        .size:           2
        .value_kind:     hidden_group_size_z
      - .offset:         3354
        .size:           2
        .value_kind:     hidden_remainder_x
      - .offset:         3356
        .size:           2
        .value_kind:     hidden_remainder_y
      - .offset:         3358
        .size:           2
        .value_kind:     hidden_remainder_z
      - .offset:         3376
        .size:           8
        .value_kind:     hidden_global_offset_x
      - .offset:         3384
        .size:           8
        .value_kind:     hidden_global_offset_y
      - .offset:         3392
        .size:           8
        .value_kind:     hidden_global_offset_z
      - .offset:         3400
        .size:           2
        .value_kind:     hidden_grid_dims
    .group_segment_fixed_size: 0
    .kernarg_segment_align: 8
    .kernarg_segment_size: 3592
    .language:       OpenCL C
    .language_version:
      - 2
      - 0
    .max_flat_workgroup_size: 512
    .name:           _ZN2at6native12_GLOBAL__N_125multi_tensor_apply_kernelINS1_28TensorListScalarListMetadataIN3c107complexIfEELi4EEENS1_28PointwiseOpScalarListFunctorIS6_Li4ELi3ELi3EEEJSt7dividesIS6_EEEEvT_T0_DpT1_
    .private_segment_fixed_size: 0
    .sgpr_count:     37
    .sgpr_spill_count: 0
    .symbol:         _ZN2at6native12_GLOBAL__N_125multi_tensor_apply_kernelINS1_28TensorListScalarListMetadataIN3c107complexIfEELi4EEENS1_28PointwiseOpScalarListFunctorIS6_Li4ELi3ELi3EEEJSt7dividesIS6_EEEEvT_T0_DpT1_.kd
    .uniform_work_group_size: 1
    .uses_dynamic_stack: false
    .vgpr_count:     71
    .vgpr_spill_count: 0
    .wavefront_size: 32
    .workgroup_processor_mode: 1
  - .args:
      - .offset:         0
        .size:           3184
        .value_kind:     by_value
      - .offset:         3184
        .size:           1
        .value_kind:     by_value
      - .offset:         3185
        .size:           1
        .value_kind:     by_value
      - .offset:         3192
        .size:           4
        .value_kind:     hidden_block_count_x
      - .offset:         3196
        .size:           4
        .value_kind:     hidden_block_count_y
      - .offset:         3200
        .size:           4
        .value_kind:     hidden_block_count_z
      - .offset:         3204
        .size:           2
        .value_kind:     hidden_group_size_x
      - .offset:         3206
        .size:           2
        .value_kind:     hidden_group_size_y
      - .offset:         3208
        .size:           2
        .value_kind:     hidden_group_size_z
      - .offset:         3210
        .size:           2
        .value_kind:     hidden_remainder_x
      - .offset:         3212
        .size:           2
        .value_kind:     hidden_remainder_y
      - .offset:         3214
        .size:           2
        .value_kind:     hidden_remainder_z
      - .offset:         3232
        .size:           8
        .value_kind:     hidden_global_offset_x
      - .offset:         3240
        .size:           8
        .value_kind:     hidden_global_offset_y
      - .offset:         3248
        .size:           8
        .value_kind:     hidden_global_offset_z
      - .offset:         3256
        .size:           2
        .value_kind:     hidden_grid_dims
    .group_segment_fixed_size: 0
    .kernarg_segment_align: 8
    .kernarg_segment_size: 3448
    .language:       OpenCL C
    .language_version:
      - 2
      - 0
    .max_flat_workgroup_size: 512
    .name:           _ZN2at6native12_GLOBAL__N_125multi_tensor_apply_kernelINS1_28TensorListScalarListMetadataIfLi4EEENS1_28PointwiseOpScalarListFunctorIN3c104HalfELi4ELi3ELi3EEEJSt7dividesIfEEEEvT_T0_DpT1_
    .private_segment_fixed_size: 0
    .sgpr_count:     29
    .sgpr_spill_count: 0
    .symbol:         _ZN2at6native12_GLOBAL__N_125multi_tensor_apply_kernelINS1_28TensorListScalarListMetadataIfLi4EEENS1_28PointwiseOpScalarListFunctorIN3c104HalfELi4ELi3ELi3EEEJSt7dividesIfEEEEvT_T0_DpT1_.kd
    .uniform_work_group_size: 1
    .uses_dynamic_stack: false
    .vgpr_count:     56
    .vgpr_spill_count: 0
    .wavefront_size: 32
    .workgroup_processor_mode: 1
  - .args:
      - .offset:         0
        .size:           3184
        .value_kind:     by_value
      - .offset:         3184
        .size:           1
        .value_kind:     by_value
      - .offset:         3185
        .size:           1
        .value_kind:     by_value
      - .offset:         3192
        .size:           4
        .value_kind:     hidden_block_count_x
      - .offset:         3196
        .size:           4
        .value_kind:     hidden_block_count_y
      - .offset:         3200
        .size:           4
        .value_kind:     hidden_block_count_z
      - .offset:         3204
        .size:           2
        .value_kind:     hidden_group_size_x
      - .offset:         3206
        .size:           2
        .value_kind:     hidden_group_size_y
      - .offset:         3208
        .size:           2
        .value_kind:     hidden_group_size_z
      - .offset:         3210
        .size:           2
        .value_kind:     hidden_remainder_x
      - .offset:         3212
        .size:           2
        .value_kind:     hidden_remainder_y
      - .offset:         3214
        .size:           2
        .value_kind:     hidden_remainder_z
      - .offset:         3232
        .size:           8
        .value_kind:     hidden_global_offset_x
      - .offset:         3240
        .size:           8
        .value_kind:     hidden_global_offset_y
      - .offset:         3248
        .size:           8
        .value_kind:     hidden_global_offset_z
      - .offset:         3256
        .size:           2
        .value_kind:     hidden_grid_dims
    .group_segment_fixed_size: 0
    .kernarg_segment_align: 8
    .kernarg_segment_size: 3448
    .language:       OpenCL C
    .language_version:
      - 2
      - 0
    .max_flat_workgroup_size: 512
    .name:           _ZN2at6native12_GLOBAL__N_125multi_tensor_apply_kernelINS1_28TensorListScalarListMetadataIfLi4EEENS1_28PointwiseOpScalarListFunctorIN3c108BFloat16ELi4ELi3ELi3EEEJSt7dividesIfEEEEvT_T0_DpT1_
    .private_segment_fixed_size: 0
    .sgpr_count:     29
    .sgpr_spill_count: 0
    .symbol:         _ZN2at6native12_GLOBAL__N_125multi_tensor_apply_kernelINS1_28TensorListScalarListMetadataIfLi4EEENS1_28PointwiseOpScalarListFunctorIN3c108BFloat16ELi4ELi3ELi3EEEJSt7dividesIfEEEEvT_T0_DpT1_.kd
    .uniform_work_group_size: 1
    .uses_dynamic_stack: false
    .vgpr_count:     56
    .vgpr_spill_count: 0
    .wavefront_size: 32
    .workgroup_processor_mode: 1
  - .args:
      - .offset:         0
        .size:           3184
        .value_kind:     by_value
      - .offset:         3184
        .size:           1
        .value_kind:     by_value
      - .offset:         3185
        .size:           1
        .value_kind:     by_value
      - .offset:         3192
        .size:           4
        .value_kind:     hidden_block_count_x
      - .offset:         3196
        .size:           4
        .value_kind:     hidden_block_count_y
      - .offset:         3200
        .size:           4
        .value_kind:     hidden_block_count_z
      - .offset:         3204
        .size:           2
        .value_kind:     hidden_group_size_x
      - .offset:         3206
        .size:           2
        .value_kind:     hidden_group_size_y
      - .offset:         3208
        .size:           2
        .value_kind:     hidden_group_size_z
      - .offset:         3210
        .size:           2
        .value_kind:     hidden_remainder_x
      - .offset:         3212
        .size:           2
        .value_kind:     hidden_remainder_y
      - .offset:         3214
        .size:           2
        .value_kind:     hidden_remainder_z
      - .offset:         3232
        .size:           8
        .value_kind:     hidden_global_offset_x
      - .offset:         3240
        .size:           8
        .value_kind:     hidden_global_offset_y
      - .offset:         3248
        .size:           8
        .value_kind:     hidden_global_offset_z
      - .offset:         3256
        .size:           2
        .value_kind:     hidden_grid_dims
    .group_segment_fixed_size: 0
    .kernarg_segment_align: 8
    .kernarg_segment_size: 3448
    .language:       OpenCL C
    .language_version:
      - 2
      - 0
    .max_flat_workgroup_size: 512
    .name:           _ZN2at6native12_GLOBAL__N_125multi_tensor_apply_kernelINS1_28TensorListScalarListMetadataIhLi3EEENS1_28PointwiseOpScalarListFunctorIhLi3ELi3ELi0EEEJSt7dividesIhEEEEvT_T0_DpT1_
    .private_segment_fixed_size: 0
    .sgpr_count:     28
    .sgpr_spill_count: 0
    .symbol:         _ZN2at6native12_GLOBAL__N_125multi_tensor_apply_kernelINS1_28TensorListScalarListMetadataIhLi3EEENS1_28PointwiseOpScalarListFunctorIhLi3ELi3ELi0EEEJSt7dividesIhEEEEvT_T0_DpT1_.kd
    .uniform_work_group_size: 1
    .uses_dynamic_stack: false
    .vgpr_count:     46
    .vgpr_spill_count: 0
    .wavefront_size: 32
    .workgroup_processor_mode: 1
  - .args:
      - .offset:         0
        .size:           3184
        .value_kind:     by_value
      - .offset:         3184
        .size:           1
        .value_kind:     by_value
      - .offset:         3185
        .size:           1
        .value_kind:     by_value
      - .offset:         3192
        .size:           4
        .value_kind:     hidden_block_count_x
      - .offset:         3196
        .size:           4
        .value_kind:     hidden_block_count_y
      - .offset:         3200
        .size:           4
        .value_kind:     hidden_block_count_z
      - .offset:         3204
        .size:           2
        .value_kind:     hidden_group_size_x
      - .offset:         3206
        .size:           2
        .value_kind:     hidden_group_size_y
      - .offset:         3208
        .size:           2
        .value_kind:     hidden_group_size_z
      - .offset:         3210
        .size:           2
        .value_kind:     hidden_remainder_x
      - .offset:         3212
        .size:           2
        .value_kind:     hidden_remainder_y
      - .offset:         3214
        .size:           2
        .value_kind:     hidden_remainder_z
      - .offset:         3232
        .size:           8
        .value_kind:     hidden_global_offset_x
      - .offset:         3240
        .size:           8
        .value_kind:     hidden_global_offset_y
      - .offset:         3248
        .size:           8
        .value_kind:     hidden_global_offset_z
      - .offset:         3256
        .size:           2
        .value_kind:     hidden_grid_dims
    .group_segment_fixed_size: 0
    .kernarg_segment_align: 8
    .kernarg_segment_size: 3448
    .language:       OpenCL C
    .language_version:
      - 2
      - 0
    .max_flat_workgroup_size: 512
    .name:           _ZN2at6native12_GLOBAL__N_125multi_tensor_apply_kernelINS1_28TensorListScalarListMetadataIaLi3EEENS1_28PointwiseOpScalarListFunctorIaLi3ELi3ELi0EEEJSt7dividesIaEEEEvT_T0_DpT1_
    .private_segment_fixed_size: 0
    .sgpr_count:     28
    .sgpr_spill_count: 0
    .symbol:         _ZN2at6native12_GLOBAL__N_125multi_tensor_apply_kernelINS1_28TensorListScalarListMetadataIaLi3EEENS1_28PointwiseOpScalarListFunctorIaLi3ELi3ELi0EEEJSt7dividesIaEEEEvT_T0_DpT1_.kd
    .uniform_work_group_size: 1
    .uses_dynamic_stack: false
    .vgpr_count:     47
    .vgpr_spill_count: 0
    .wavefront_size: 32
    .workgroup_processor_mode: 1
  - .args:
      - .offset:         0
        .size:           3328
        .value_kind:     by_value
      - .offset:         3328
        .size:           1
        .value_kind:     by_value
      - .offset:         3329
        .size:           1
        .value_kind:     by_value
      - .offset:         3336
        .size:           4
        .value_kind:     hidden_block_count_x
      - .offset:         3340
        .size:           4
        .value_kind:     hidden_block_count_y
      - .offset:         3344
        .size:           4
        .value_kind:     hidden_block_count_z
      - .offset:         3348
        .size:           2
        .value_kind:     hidden_group_size_x
      - .offset:         3350
        .size:           2
        .value_kind:     hidden_group_size_y
      - .offset:         3352
        .size:           2
        .value_kind:     hidden_group_size_z
      - .offset:         3354
        .size:           2
        .value_kind:     hidden_remainder_x
      - .offset:         3356
        .size:           2
        .value_kind:     hidden_remainder_y
      - .offset:         3358
        .size:           2
        .value_kind:     hidden_remainder_z
      - .offset:         3376
        .size:           8
        .value_kind:     hidden_global_offset_x
      - .offset:         3384
        .size:           8
        .value_kind:     hidden_global_offset_y
      - .offset:         3392
        .size:           8
        .value_kind:     hidden_global_offset_z
      - .offset:         3400
        .size:           2
        .value_kind:     hidden_grid_dims
    .group_segment_fixed_size: 0
    .kernarg_segment_align: 8
    .kernarg_segment_size: 3592
    .language:       OpenCL C
    .language_version:
      - 2
      - 0
    .max_flat_workgroup_size: 512
    .name:           _ZN2at6native12_GLOBAL__N_125multi_tensor_apply_kernelINS1_28TensorListScalarListMetadataIiLi3EEENS1_28PointwiseOpScalarListFunctorIiLi3ELi3ELi0EEEJSt7dividesIiEEEEvT_T0_DpT1_
    .private_segment_fixed_size: 0
    .sgpr_count:     27
    .sgpr_spill_count: 0
    .symbol:         _ZN2at6native12_GLOBAL__N_125multi_tensor_apply_kernelINS1_28TensorListScalarListMetadataIiLi3EEENS1_28PointwiseOpScalarListFunctorIiLi3ELi3ELi0EEEJSt7dividesIiEEEEvT_T0_DpT1_.kd
    .uniform_work_group_size: 1
    .uses_dynamic_stack: false
    .vgpr_count:     48
    .vgpr_spill_count: 0
    .wavefront_size: 32
    .workgroup_processor_mode: 1
  - .args:
      - .offset:         0
        .size:           3520
        .value_kind:     by_value
      - .offset:         3520
        .size:           1
        .value_kind:     by_value
      - .offset:         3521
        .size:           1
        .value_kind:     by_value
      - .offset:         3528
        .size:           4
        .value_kind:     hidden_block_count_x
      - .offset:         3532
        .size:           4
        .value_kind:     hidden_block_count_y
      - .offset:         3536
        .size:           4
        .value_kind:     hidden_block_count_z
      - .offset:         3540
        .size:           2
        .value_kind:     hidden_group_size_x
      - .offset:         3542
        .size:           2
        .value_kind:     hidden_group_size_y
      - .offset:         3544
        .size:           2
        .value_kind:     hidden_group_size_z
      - .offset:         3546
        .size:           2
        .value_kind:     hidden_remainder_x
      - .offset:         3548
        .size:           2
        .value_kind:     hidden_remainder_y
      - .offset:         3550
        .size:           2
        .value_kind:     hidden_remainder_z
      - .offset:         3568
        .size:           8
        .value_kind:     hidden_global_offset_x
      - .offset:         3576
        .size:           8
        .value_kind:     hidden_global_offset_y
      - .offset:         3584
        .size:           8
        .value_kind:     hidden_global_offset_z
      - .offset:         3592
        .size:           2
        .value_kind:     hidden_grid_dims
    .group_segment_fixed_size: 0
    .kernarg_segment_align: 8
    .kernarg_segment_size: 3784
    .language:       OpenCL C
    .language_version:
      - 2
      - 0
    .max_flat_workgroup_size: 512
    .name:           _ZN2at6native12_GLOBAL__N_125multi_tensor_apply_kernelINS1_28TensorListScalarListMetadataIlLi3EEENS1_28PointwiseOpScalarListFunctorIlLi3ELi3ELi0EEEJSt7dividesIlEEEEvT_T0_DpT1_
    .private_segment_fixed_size: 0
    .sgpr_count:     28
    .sgpr_spill_count: 0
    .symbol:         _ZN2at6native12_GLOBAL__N_125multi_tensor_apply_kernelINS1_28TensorListScalarListMetadataIlLi3EEENS1_28PointwiseOpScalarListFunctorIlLi3ELi3ELi0EEEJSt7dividesIlEEEEvT_T0_DpT1_.kd
    .uniform_work_group_size: 1
    .uses_dynamic_stack: false
    .vgpr_count:     69
    .vgpr_spill_count: 0
    .wavefront_size: 32
    .workgroup_processor_mode: 1
  - .args:
      - .offset:         0
        .size:           3232
        .value_kind:     by_value
      - .offset:         3232
        .size:           1
        .value_kind:     by_value
      - .offset:         3233
        .size:           1
        .value_kind:     by_value
      - .offset:         3240
        .size:           4
        .value_kind:     hidden_block_count_x
      - .offset:         3244
        .size:           4
        .value_kind:     hidden_block_count_y
      - .offset:         3248
        .size:           4
        .value_kind:     hidden_block_count_z
      - .offset:         3252
        .size:           2
        .value_kind:     hidden_group_size_x
      - .offset:         3254
        .size:           2
        .value_kind:     hidden_group_size_y
      - .offset:         3256
        .size:           2
        .value_kind:     hidden_group_size_z
      - .offset:         3258
        .size:           2
        .value_kind:     hidden_remainder_x
      - .offset:         3260
        .size:           2
        .value_kind:     hidden_remainder_y
      - .offset:         3262
        .size:           2
        .value_kind:     hidden_remainder_z
      - .offset:         3280
        .size:           8
        .value_kind:     hidden_global_offset_x
      - .offset:         3288
        .size:           8
        .value_kind:     hidden_global_offset_y
      - .offset:         3296
        .size:           8
        .value_kind:     hidden_global_offset_z
      - .offset:         3304
        .size:           2
        .value_kind:     hidden_grid_dims
    .group_segment_fixed_size: 0
    .kernarg_segment_align: 8
    .kernarg_segment_size: 3496
    .language:       OpenCL C
    .language_version:
      - 2
      - 0
    .max_flat_workgroup_size: 512
    .name:           _ZN2at6native12_GLOBAL__N_125multi_tensor_apply_kernelINS1_28TensorListScalarListMetadataIsLi3EEENS1_28PointwiseOpScalarListFunctorIsLi3ELi3ELi0EEEJSt7dividesIsEEEEvT_T0_DpT1_
    .private_segment_fixed_size: 0
    .sgpr_count:     25
    .sgpr_spill_count: 0
    .symbol:         _ZN2at6native12_GLOBAL__N_125multi_tensor_apply_kernelINS1_28TensorListScalarListMetadataIsLi3EEENS1_28PointwiseOpScalarListFunctorIsLi3ELi3ELi0EEEJSt7dividesIsEEEEvT_T0_DpT1_.kd
    .uniform_work_group_size: 1
    .uses_dynamic_stack: false
    .vgpr_count:     47
    .vgpr_spill_count: 0
    .wavefront_size: 32
    .workgroup_processor_mode: 1
  - .args:
      - .offset:         0
        .size:           3520
        .value_kind:     by_value
      - .offset:         3520
        .size:           1
        .value_kind:     by_value
      - .offset:         3521
        .size:           1
        .value_kind:     by_value
      - .offset:         3528
        .size:           4
        .value_kind:     hidden_block_count_x
      - .offset:         3532
        .size:           4
        .value_kind:     hidden_block_count_y
      - .offset:         3536
        .size:           4
        .value_kind:     hidden_block_count_z
      - .offset:         3540
        .size:           2
        .value_kind:     hidden_group_size_x
      - .offset:         3542
        .size:           2
        .value_kind:     hidden_group_size_y
      - .offset:         3544
        .size:           2
        .value_kind:     hidden_group_size_z
      - .offset:         3546
        .size:           2
        .value_kind:     hidden_remainder_x
      - .offset:         3548
        .size:           2
        .value_kind:     hidden_remainder_y
      - .offset:         3550
        .size:           2
        .value_kind:     hidden_remainder_z
      - .offset:         3568
        .size:           8
        .value_kind:     hidden_global_offset_x
      - .offset:         3576
        .size:           8
        .value_kind:     hidden_global_offset_y
      - .offset:         3584
        .size:           8
        .value_kind:     hidden_global_offset_z
      - .offset:         3592
        .size:           2
        .value_kind:     hidden_grid_dims
    .group_segment_fixed_size: 0
    .kernarg_segment_align: 8
    .kernarg_segment_size: 3784
    .language:       OpenCL C
    .language_version:
      - 2
      - 0
    .max_flat_workgroup_size: 512
    .name:           _ZN2at6native12_GLOBAL__N_125multi_tensor_apply_kernelINS1_28TensorListScalarListMetadataIdLi3EEENS1_28PointwiseOpScalarListFunctorIdLi3ELi3ELi0EEEJSt7dividesIdEEEEvT_T0_DpT1_
    .private_segment_fixed_size: 0
    .sgpr_count:     29
    .sgpr_spill_count: 0
    .symbol:         _ZN2at6native12_GLOBAL__N_125multi_tensor_apply_kernelINS1_28TensorListScalarListMetadataIdLi3EEENS1_28PointwiseOpScalarListFunctorIdLi3ELi3ELi0EEEJSt7dividesIdEEEEvT_T0_DpT1_.kd
    .uniform_work_group_size: 1
    .uses_dynamic_stack: false
    .vgpr_count:     63
    .vgpr_spill_count: 0
    .wavefront_size: 32
    .workgroup_processor_mode: 1
  - .args:
      - .offset:         0
        .size:           3328
        .value_kind:     by_value
      - .offset:         3328
        .size:           1
        .value_kind:     by_value
      - .offset:         3329
        .size:           1
        .value_kind:     by_value
      - .offset:         3336
        .size:           4
        .value_kind:     hidden_block_count_x
      - .offset:         3340
        .size:           4
        .value_kind:     hidden_block_count_y
      - .offset:         3344
        .size:           4
        .value_kind:     hidden_block_count_z
      - .offset:         3348
        .size:           2
        .value_kind:     hidden_group_size_x
      - .offset:         3350
        .size:           2
        .value_kind:     hidden_group_size_y
      - .offset:         3352
        .size:           2
        .value_kind:     hidden_group_size_z
      - .offset:         3354
        .size:           2
        .value_kind:     hidden_remainder_x
      - .offset:         3356
        .size:           2
        .value_kind:     hidden_remainder_y
      - .offset:         3358
        .size:           2
        .value_kind:     hidden_remainder_z
      - .offset:         3376
        .size:           8
        .value_kind:     hidden_global_offset_x
      - .offset:         3384
        .size:           8
        .value_kind:     hidden_global_offset_y
      - .offset:         3392
        .size:           8
        .value_kind:     hidden_global_offset_z
      - .offset:         3400
        .size:           2
        .value_kind:     hidden_grid_dims
    .group_segment_fixed_size: 0
    .kernarg_segment_align: 8
    .kernarg_segment_size: 3592
    .language:       OpenCL C
    .language_version:
      - 2
      - 0
    .max_flat_workgroup_size: 512
    .name:           _ZN2at6native12_GLOBAL__N_125multi_tensor_apply_kernelINS1_28TensorListScalarListMetadataIfLi3EEENS1_28PointwiseOpScalarListFunctorIfLi3ELi3ELi0EEEJSt7dividesIfEEEEvT_T0_DpT1_
    .private_segment_fixed_size: 0
    .sgpr_count:     28
    .sgpr_spill_count: 0
    .symbol:         _ZN2at6native12_GLOBAL__N_125multi_tensor_apply_kernelINS1_28TensorListScalarListMetadataIfLi3EEENS1_28PointwiseOpScalarListFunctorIfLi3ELi3ELi0EEEJSt7dividesIfEEEEvT_T0_DpT1_.kd
    .uniform_work_group_size: 1
    .uses_dynamic_stack: false
    .vgpr_count:     48
    .vgpr_spill_count: 0
    .wavefront_size: 32
    .workgroup_processor_mode: 1
  - .args:
      - .offset:         0
        .size:           3904
        .value_kind:     by_value
      - .offset:         3904
        .size:           1
        .value_kind:     by_value
      - .offset:         3905
        .size:           1
        .value_kind:     by_value
      - .offset:         3912
        .size:           4
        .value_kind:     hidden_block_count_x
      - .offset:         3916
        .size:           4
        .value_kind:     hidden_block_count_y
      - .offset:         3920
        .size:           4
        .value_kind:     hidden_block_count_z
      - .offset:         3924
        .size:           2
        .value_kind:     hidden_group_size_x
      - .offset:         3926
        .size:           2
        .value_kind:     hidden_group_size_y
      - .offset:         3928
        .size:           2
        .value_kind:     hidden_group_size_z
      - .offset:         3930
        .size:           2
        .value_kind:     hidden_remainder_x
      - .offset:         3932
        .size:           2
        .value_kind:     hidden_remainder_y
      - .offset:         3934
        .size:           2
        .value_kind:     hidden_remainder_z
      - .offset:         3952
        .size:           8
        .value_kind:     hidden_global_offset_x
      - .offset:         3960
        .size:           8
        .value_kind:     hidden_global_offset_y
      - .offset:         3968
        .size:           8
        .value_kind:     hidden_global_offset_z
      - .offset:         3976
        .size:           2
        .value_kind:     hidden_grid_dims
    .group_segment_fixed_size: 0
    .kernarg_segment_align: 16
    .kernarg_segment_size: 4168
    .language:       OpenCL C
    .language_version:
      - 2
      - 0
    .max_flat_workgroup_size: 512
    .name:           _ZN2at6native12_GLOBAL__N_125multi_tensor_apply_kernelINS1_28TensorListScalarListMetadataIN3c107complexIdEELi3EEENS1_28PointwiseOpScalarListFunctorIS6_Li3ELi3ELi0EEEJSt7dividesIS6_EEEEvT_T0_DpT1_
    .private_segment_fixed_size: 0
    .sgpr_count:     37
    .sgpr_spill_count: 0
    .symbol:         _ZN2at6native12_GLOBAL__N_125multi_tensor_apply_kernelINS1_28TensorListScalarListMetadataIN3c107complexIdEELi3EEENS1_28PointwiseOpScalarListFunctorIS6_Li3ELi3ELi0EEEJSt7dividesIS6_EEEEvT_T0_DpT1_.kd
    .uniform_work_group_size: 1
    .uses_dynamic_stack: false
    .vgpr_count:     95
    .vgpr_spill_count: 0
    .wavefront_size: 32
    .workgroup_processor_mode: 1
  - .args:
      - .offset:         0
        .size:           3520
        .value_kind:     by_value
      - .offset:         3520
        .size:           1
        .value_kind:     by_value
      - .offset:         3521
        .size:           1
        .value_kind:     by_value
      - .offset:         3528
        .size:           4
        .value_kind:     hidden_block_count_x
      - .offset:         3532
        .size:           4
        .value_kind:     hidden_block_count_y
      - .offset:         3536
        .size:           4
        .value_kind:     hidden_block_count_z
      - .offset:         3540
        .size:           2
        .value_kind:     hidden_group_size_x
      - .offset:         3542
        .size:           2
        .value_kind:     hidden_group_size_y
      - .offset:         3544
        .size:           2
        .value_kind:     hidden_group_size_z
      - .offset:         3546
        .size:           2
        .value_kind:     hidden_remainder_x
      - .offset:         3548
        .size:           2
        .value_kind:     hidden_remainder_y
      - .offset:         3550
        .size:           2
        .value_kind:     hidden_remainder_z
      - .offset:         3568
        .size:           8
        .value_kind:     hidden_global_offset_x
      - .offset:         3576
        .size:           8
        .value_kind:     hidden_global_offset_y
      - .offset:         3584
        .size:           8
        .value_kind:     hidden_global_offset_z
      - .offset:         3592
        .size:           2
        .value_kind:     hidden_grid_dims
    .group_segment_fixed_size: 0
    .kernarg_segment_align: 8
    .kernarg_segment_size: 3784
    .language:       OpenCL C
    .language_version:
      - 2
      - 0
    .max_flat_workgroup_size: 512
    .name:           _ZN2at6native12_GLOBAL__N_125multi_tensor_apply_kernelINS1_28TensorListScalarListMetadataIN3c107complexIfEELi3EEENS1_28PointwiseOpScalarListFunctorIS6_Li3ELi3ELi0EEEJSt7dividesIS6_EEEEvT_T0_DpT1_
    .private_segment_fixed_size: 0
    .sgpr_count:     31
    .sgpr_spill_count: 0
    .symbol:         _ZN2at6native12_GLOBAL__N_125multi_tensor_apply_kernelINS1_28TensorListScalarListMetadataIN3c107complexIfEELi3EEENS1_28PointwiseOpScalarListFunctorIS6_Li3ELi3ELi0EEEJSt7dividesIS6_EEEEvT_T0_DpT1_.kd
    .uniform_work_group_size: 1
    .uses_dynamic_stack: false
    .vgpr_count:     67
    .vgpr_spill_count: 0
    .wavefront_size: 32
    .workgroup_processor_mode: 1
  - .args:
      - .offset:         0
        .size:           3328
        .value_kind:     by_value
      - .offset:         3328
        .size:           1
        .value_kind:     by_value
      - .offset:         3329
        .size:           1
        .value_kind:     by_value
      - .offset:         3336
        .size:           4
        .value_kind:     hidden_block_count_x
      - .offset:         3340
        .size:           4
        .value_kind:     hidden_block_count_y
      - .offset:         3344
        .size:           4
        .value_kind:     hidden_block_count_z
      - .offset:         3348
        .size:           2
        .value_kind:     hidden_group_size_x
      - .offset:         3350
        .size:           2
        .value_kind:     hidden_group_size_y
      - .offset:         3352
        .size:           2
        .value_kind:     hidden_group_size_z
      - .offset:         3354
        .size:           2
        .value_kind:     hidden_remainder_x
      - .offset:         3356
        .size:           2
        .value_kind:     hidden_remainder_y
      - .offset:         3358
        .size:           2
        .value_kind:     hidden_remainder_z
      - .offset:         3376
        .size:           8
        .value_kind:     hidden_global_offset_x
      - .offset:         3384
        .size:           8
        .value_kind:     hidden_global_offset_y
      - .offset:         3392
        .size:           8
        .value_kind:     hidden_global_offset_z
      - .offset:         3400
        .size:           2
        .value_kind:     hidden_grid_dims
    .group_segment_fixed_size: 0
    .kernarg_segment_align: 8
    .kernarg_segment_size: 3592
    .language:       OpenCL C
    .language_version:
      - 2
      - 0
    .max_flat_workgroup_size: 512
    .name:           _ZN2at6native12_GLOBAL__N_125multi_tensor_apply_kernelINS1_28TensorListScalarListMetadataIfLi3EEENS1_28PointwiseOpScalarListFunctorIN3c104HalfELi3ELi3ELi0EEEJSt7dividesIfEEEEvT_T0_DpT1_
    .private_segment_fixed_size: 0
    .sgpr_count:     27
    .sgpr_spill_count: 0
    .symbol:         _ZN2at6native12_GLOBAL__N_125multi_tensor_apply_kernelINS1_28TensorListScalarListMetadataIfLi3EEENS1_28PointwiseOpScalarListFunctorIN3c104HalfELi3ELi3ELi0EEEJSt7dividesIfEEEEvT_T0_DpT1_.kd
    .uniform_work_group_size: 1
    .uses_dynamic_stack: false
    .vgpr_count:     48
    .vgpr_spill_count: 0
    .wavefront_size: 32
    .workgroup_processor_mode: 1
  - .args:
      - .offset:         0
        .size:           3328
        .value_kind:     by_value
      - .offset:         3328
        .size:           1
        .value_kind:     by_value
      - .offset:         3329
        .size:           1
        .value_kind:     by_value
      - .offset:         3336
        .size:           4
        .value_kind:     hidden_block_count_x
      - .offset:         3340
        .size:           4
        .value_kind:     hidden_block_count_y
      - .offset:         3344
        .size:           4
        .value_kind:     hidden_block_count_z
      - .offset:         3348
        .size:           2
        .value_kind:     hidden_group_size_x
      - .offset:         3350
        .size:           2
        .value_kind:     hidden_group_size_y
      - .offset:         3352
        .size:           2
        .value_kind:     hidden_group_size_z
      - .offset:         3354
        .size:           2
        .value_kind:     hidden_remainder_x
      - .offset:         3356
        .size:           2
        .value_kind:     hidden_remainder_y
      - .offset:         3358
        .size:           2
        .value_kind:     hidden_remainder_z
      - .offset:         3376
        .size:           8
        .value_kind:     hidden_global_offset_x
      - .offset:         3384
        .size:           8
        .value_kind:     hidden_global_offset_y
      - .offset:         3392
        .size:           8
        .value_kind:     hidden_global_offset_z
      - .offset:         3400
        .size:           2
        .value_kind:     hidden_grid_dims
    .group_segment_fixed_size: 0
    .kernarg_segment_align: 8
    .kernarg_segment_size: 3592
    .language:       OpenCL C
    .language_version:
      - 2
      - 0
    .max_flat_workgroup_size: 512
    .name:           _ZN2at6native12_GLOBAL__N_125multi_tensor_apply_kernelINS1_28TensorListScalarListMetadataIfLi3EEENS1_28PointwiseOpScalarListFunctorIN3c108BFloat16ELi3ELi3ELi0EEEJSt7dividesIfEEEEvT_T0_DpT1_
    .private_segment_fixed_size: 0
    .sgpr_count:     27
    .sgpr_spill_count: 0
    .symbol:         _ZN2at6native12_GLOBAL__N_125multi_tensor_apply_kernelINS1_28TensorListScalarListMetadataIfLi3EEENS1_28PointwiseOpScalarListFunctorIN3c108BFloat16ELi3ELi3ELi0EEEJSt7dividesIfEEEEvT_T0_DpT1_.kd
    .uniform_work_group_size: 1
    .uses_dynamic_stack: false
    .vgpr_count:     48
    .vgpr_spill_count: 0
    .wavefront_size: 32
    .workgroup_processor_mode: 1
amdhsa.target:   amdgcn-amd-amdhsa--gfx1100
amdhsa.version:
  - 1
  - 2
...

	.end_amdgpu_metadata
